;; amdgpu-corpus repo=ggml-org/llama.cpp kind=compiled arch=gfx90a opt=O3
	.text
	.amdgcn_target "amdgcn-amd-amdhsa--gfx90a"
	.amdhsa_code_object_version 6
	.section	.text._ZL18flash_attn_ext_f16ILi64ELi64ELi16ELi1ELb0ELb0EEvPKcS1_S1_S1_S1_PKiPfP15HIP_vector_typeIfLj2EEffffjfiS5_IjLj3EEiiiiiiiiiiiliiliiiiil,"axG",@progbits,_ZL18flash_attn_ext_f16ILi64ELi64ELi16ELi1ELb0ELb0EEvPKcS1_S1_S1_S1_PKiPfP15HIP_vector_typeIfLj2EEffffjfiS5_IjLj3EEiiiiiiiiiiiliiliiiiil,comdat
	.globl	_ZL18flash_attn_ext_f16ILi64ELi64ELi16ELi1ELb0ELb0EEvPKcS1_S1_S1_S1_PKiPfP15HIP_vector_typeIfLj2EEffffjfiS5_IjLj3EEiiiiiiiiiiiliiliiiiil ; -- Begin function _ZL18flash_attn_ext_f16ILi64ELi64ELi16ELi1ELb0ELb0EEvPKcS1_S1_S1_S1_PKiPfP15HIP_vector_typeIfLj2EEffffjfiS5_IjLj3EEiiiiiiiiiiiliiliiiiil
	.p2align	8
	.type	_ZL18flash_attn_ext_f16ILi64ELi64ELi16ELi1ELb0ELb0EEvPKcS1_S1_S1_S1_PKiPfP15HIP_vector_typeIfLj2EEffffjfiS5_IjLj3EEiiiiiiiiiiiliiliiiiil,@function
_ZL18flash_attn_ext_f16ILi64ELi64ELi16ELi1ELb0ELb0EEvPKcS1_S1_S1_S1_PKiPfP15HIP_vector_typeIfLj2EEffffjfiS5_IjLj3EEiiiiiiiiiiiliiliiiiil: ; @_ZL18flash_attn_ext_f16ILi64ELi64ELi16ELi1ELb0ELb0EEvPKcS1_S1_S1_S1_PKiPfP15HIP_vector_typeIfLj2EEffffjfiS5_IjLj3EEiiiiiiiiiiiliiliiiiil
; %bb.0:
	s_load_dwordx2 s[14:15], s[4:5], 0x80
	s_load_dwordx4 s[56:59], s[4:5], 0x64
	s_add_u32 flat_scratch_lo, s6, s9
	s_addc_u32 flat_scratch_hi, s7, 0
	s_add_u32 s0, s0, s9
	s_addc_u32 s1, s1, 0
	s_waitcnt lgkmcnt(0)
	s_abs_i32 s6, s15
	v_cvt_f32_u32_e32 v1, s6
	s_sub_i32 s10, 0, s6
	s_abs_i32 s9, s57
	s_xor_b32 s7, s57, s15
	v_rcp_iflag_f32_e32 v1, v1
	s_ashr_i32 s7, s7, 31
                                        ; implicit-def: $vgpr159 : SGPR spill to VGPR lane
	s_load_dword s65, s[4:5], 0xd0
	s_mov_b32 s64, s8
	v_mul_f32_e32 v1, 0x4f7ffffe, v1
	v_cvt_u32_f32_e32 v1, v1
	s_mov_b32 s8, 0
	s_waitcnt lgkmcnt(0)
	v_cvt_f32_u32_e32 v2, s65
	v_cvt_f32_ubyte0_e32 v3, 0
	v_readfirstlane_b32 s11, v1
	s_mul_i32 s10, s10, s11
	s_mul_hi_u32 s10, s11, s10
	s_add_i32 s11, s11, s10
	s_mul_hi_u32 s10, s9, s11
	s_mul_i32 s11, s10, s6
	s_sub_i32 s9, s9, s11
	s_add_i32 s12, s10, 1
	s_sub_i32 s11, s9, s6
	s_cmp_ge_u32 s9, s6
	s_cselect_b32 s10, s12, s10
	s_cselect_b32 s9, s11, s9
	s_add_i32 s11, s10, 1
	s_cmp_ge_u32 s9, s6
	s_cselect_b32 s6, s11, s10
	s_add_i32 s9, s14, 63
	s_xor_b32 s6, s6, s7
	s_ashr_i32 s10, s9, 31
	s_sub_i32 s7, s6, s7
	s_lshr_b32 s6, s10, 26
	s_add_i32 s9, s9, s6
	s_add_i32 s6, s56, 15
	s_lshr_b32 s6, s6, 4
	s_ashr_i32 s66, s9, 6
	v_writelane_b32 v159, s6, 0
	s_mul_i32 s6, s6, s66
	v_writelane_b32 v159, s7, 1
	v_writelane_b32 v159, s6, 2
	s_mul_i32 s7, s6, s7
	s_mov_b32 s6, s14
	v_writelane_b32 v159, s6, 3
	v_writelane_b32 v159, s7, 4
	s_mul_i32 s6, s7, s15
	s_mul_i32 s10, s6, s58
	v_writelane_b32 v159, s7, 5
	s_ashr_i32 s11, s10, 31
	v_writelane_b32 v159, s6, 6
	s_mul_i32 s6, s11, s64
	s_mul_hi_u32 s7, s10, s64
	s_add_i32 s9, s7, s6
	s_mul_i32 s12, s10, s64
	s_cmp_lg_u64 s[8:9], 0
	s_cbranch_scc0 .LBB0_2
; %bb.1:
	v_madmk_f32 v1, v3, 0x4f800000, v2
	v_rcp_f32_e32 v1, v1
	s_sub_u32 s8, 0, s65
	s_subb_u32 s13, 0, 0
	s_mov_b64 s[6:7], 0
	v_mul_f32_e32 v1, 0x5f7ffffc, v1
	v_mul_f32_e32 v4, 0x2f800000, v1
	v_trunc_f32_e32 v4, v4
	v_madmk_f32 v1, v4, 0xcf800000, v1
	v_cvt_u32_f32_e32 v4, v4
	v_cvt_u32_f32_e32 v1, v1
	v_readfirstlane_b32 s14, v4
	v_readfirstlane_b32 s15, v1
	s_mul_hi_u32 s17, s8, s15
	s_mul_i32 s18, s8, s14
	s_mul_i32 s16, s13, s15
	s_add_i32 s17, s17, s18
	s_add_i32 s17, s17, s16
	s_mul_i32 s19, s8, s15
	s_mul_hi_u32 s16, s15, s17
	s_mul_i32 s18, s15, s17
	s_mul_hi_u32 s15, s15, s19
	s_add_u32 s15, s15, s18
	s_addc_u32 s16, 0, s16
	s_mul_hi_u32 s20, s14, s19
	s_mul_i32 s19, s14, s19
	s_add_u32 s15, s15, s19
	s_mul_hi_u32 s18, s14, s17
	s_addc_u32 s15, s16, s20
	s_addc_u32 s16, s18, 0
	s_mul_i32 s17, s14, s17
	s_add_u32 s15, s15, s17
	s_addc_u32 s16, 0, s16
	v_add_co_u32_e32 v1, vcc, s15, v1
	s_cmp_lg_u64 vcc, 0
	s_addc_u32 s14, s14, s16
	v_readfirstlane_b32 s16, v1
	s_mul_i32 s15, s8, s14
	s_mul_hi_u32 s17, s8, s16
	s_add_i32 s15, s17, s15
	s_mul_i32 s13, s13, s16
	s_add_i32 s15, s15, s13
	s_mul_i32 s8, s8, s16
	s_mul_hi_u32 s17, s14, s8
	s_mul_i32 s18, s14, s8
	s_mul_i32 s20, s16, s15
	s_mul_hi_u32 s8, s16, s8
	s_mul_hi_u32 s19, s16, s15
	s_add_u32 s8, s8, s20
	s_addc_u32 s16, 0, s19
	s_add_u32 s8, s8, s18
	s_mul_hi_u32 s13, s14, s15
	s_addc_u32 s8, s16, s17
	s_addc_u32 s13, s13, 0
	s_mul_i32 s15, s14, s15
	s_add_u32 s8, s8, s15
	s_addc_u32 s13, 0, s13
	v_add_co_u32_e32 v1, vcc, s8, v1
	s_cmp_lg_u64 vcc, 0
	s_addc_u32 s13, s14, s13
	s_ashr_i32 s14, s9, 31
	s_add_u32 s8, s12, s14
	s_mov_b32 s15, s14
	s_addc_u32 s9, s9, s14
	s_xor_b64 s[8:9], s[8:9], s[14:15]
	v_readfirstlane_b32 s18, v1
	s_mul_i32 s17, s8, s13
	s_mul_hi_u32 s19, s8, s18
	s_mul_hi_u32 s16, s8, s13
	s_add_u32 s17, s19, s17
	s_addc_u32 s16, 0, s16
	s_mul_hi_u32 s20, s9, s18
	s_mul_i32 s18, s9, s18
	s_add_u32 s17, s17, s18
	s_mul_hi_u32 s19, s9, s13
	s_addc_u32 s16, s16, s20
	s_addc_u32 s17, s19, 0
	s_mul_i32 s13, s9, s13
	s_add_u32 s13, s16, s13
	s_addc_u32 s16, 0, s17
	s_add_u32 s17, s13, 1
	s_addc_u32 s18, s16, 0
	s_add_u32 s19, s13, 2
	s_mul_i32 s21, s65, s16
	s_mul_hi_u32 s22, s65, s13
	s_addc_u32 s20, s16, 0
	s_add_i32 s22, s22, s21
	s_mul_i32 s21, s65, s13
	v_mov_b32_e32 v1, s21
	v_sub_co_u32_e32 v1, vcc, s8, v1
	s_cmp_lg_u64 vcc, 0
	s_subb_u32 s8, s9, s22
	v_subrev_co_u32_e32 v4, vcc, s65, v1
	s_cmp_lg_u64 vcc, 0
	s_subb_u32 s9, s8, 0
	v_readfirstlane_b32 s21, v4
	s_cmp_ge_u32 s21, s65
	s_cselect_b32 s21, -1, 0
	s_cmp_eq_u32 s9, 0
	s_cselect_b32 s9, s21, -1
	s_cmp_lg_u32 s9, 0
	s_cselect_b32 s9, s20, s18
	v_readfirstlane_b32 s18, v1
	s_cselect_b32 s17, s19, s17
	s_cmp_ge_u32 s18, s65
	s_cselect_b32 s18, -1, 0
	s_cmp_eq_u32 s8, 0
	s_cselect_b32 s8, s18, -1
	s_cmp_lg_u32 s8, 0
	s_cselect_b32 s9, s9, s16
	s_cselect_b32 s8, s17, s13
	s_xor_b64 s[8:9], s[8:9], s[14:15]
	s_sub_u32 s80, s8, s14
	s_branch .LBB0_3
.LBB0_2:
	s_mov_b64 s[6:7], -1
                                        ; implicit-def: $sgpr80_sgpr81
.LBB0_3:
	s_load_dwordx2 s[8:9], s[4:5], 0x74
	v_cvt_f32_u32_e32 v1, s65
	s_andn2_b64 vcc, exec, s[6:7]
	s_waitcnt lgkmcnt(0)
	v_writelane_b32 v159, s8, 7
	v_writelane_b32 v159, s9, 8
	s_cbranch_vccnz .LBB0_5
; %bb.4:
	v_rcp_iflag_f32_e32 v4, v1
	s_sub_i32 s6, 0, s65
	v_mul_f32_e32 v4, 0x4f7ffffe, v4
	v_cvt_u32_f32_e32 v4, v4
	v_readfirstlane_b32 s7, v4
	s_mul_i32 s6, s6, s7
	s_mul_hi_u32 s6, s7, s6
	s_add_i32 s7, s7, s6
	s_mul_hi_u32 s6, s12, s7
	s_mul_i32 s8, s6, s65
	s_sub_i32 s8, s12, s8
	s_add_i32 s7, s6, 1
	s_sub_i32 s9, s8, s65
	s_cmp_ge_u32 s8, s65
	s_cselect_b32 s6, s7, s6
	s_cselect_b32 s8, s9, s8
	s_add_i32 s7, s6, 1
	s_cmp_ge_u32 s8, s65
	s_cselect_b32 s80, s7, s6
.LBB0_5:
	s_add_i32 s6, s64, 1
	s_mul_i32 s7, s11, s6
	s_mul_hi_u32 s8, s10, s6
	s_add_i32 s9, s8, s7
	s_mov_b32 s8, 0
	s_cmp_lg_u64 s[8:9], 0
	s_mul_i32 s8, s10, s6
	s_cbranch_scc0 .LBB0_195
; %bb.6:
	v_madmk_f32 v2, v3, 0x4f800000, v2
	v_rcp_f32_e32 v2, v2
	s_sub_u32 s10, 0, s65
	s_subb_u32 s11, 0, 0
	v_mul_f32_e32 v2, 0x5f7ffffc, v2
	v_mul_f32_e32 v3, 0x2f800000, v2
	v_trunc_f32_e32 v3, v3
	v_madmk_f32 v2, v3, 0xcf800000, v2
	v_cvt_u32_f32_e32 v3, v3
	v_cvt_u32_f32_e32 v2, v2
	v_readfirstlane_b32 s12, v3
	v_readfirstlane_b32 s13, v2
	s_mul_hi_u32 s15, s10, s13
	s_mul_i32 s16, s10, s12
	s_mul_i32 s14, s11, s13
	s_add_i32 s15, s15, s16
	s_add_i32 s15, s15, s14
	s_mul_i32 s17, s10, s13
	s_mul_hi_u32 s14, s13, s15
	s_mul_i32 s16, s13, s15
	s_mul_hi_u32 s13, s13, s17
	s_add_u32 s13, s13, s16
	s_addc_u32 s14, 0, s14
	s_mul_hi_u32 s18, s12, s17
	s_mul_i32 s17, s12, s17
	s_add_u32 s13, s13, s17
	s_mul_hi_u32 s16, s12, s15
	s_addc_u32 s13, s14, s18
	s_addc_u32 s14, s16, 0
	s_mul_i32 s15, s12, s15
	s_add_u32 s13, s13, s15
	s_addc_u32 s14, 0, s14
	v_add_co_u32_e32 v2, vcc, s13, v2
	s_cmp_lg_u64 vcc, 0
	s_addc_u32 s12, s12, s14
	v_readfirstlane_b32 s14, v2
	s_mul_i32 s13, s10, s12
	s_mul_hi_u32 s15, s10, s14
	s_add_i32 s13, s15, s13
	s_mul_i32 s11, s11, s14
	s_add_i32 s13, s13, s11
	s_mul_i32 s10, s10, s14
	s_mul_hi_u32 s15, s12, s10
	s_mul_i32 s16, s12, s10
	s_mul_i32 s18, s14, s13
	s_mul_hi_u32 s10, s14, s10
	s_mul_hi_u32 s17, s14, s13
	s_add_u32 s10, s10, s18
	s_addc_u32 s14, 0, s17
	s_add_u32 s10, s10, s16
	s_mul_hi_u32 s11, s12, s13
	s_addc_u32 s10, s14, s15
	s_addc_u32 s11, s11, 0
	s_mul_i32 s13, s12, s13
	s_add_u32 s10, s10, s13
	s_addc_u32 s11, 0, s11
	v_add_co_u32_e32 v2, vcc, s10, v2
	s_cmp_lg_u64 vcc, 0
	s_addc_u32 s14, s12, s11
	s_ashr_i32 s10, s9, 31
	s_add_u32 s12, s8, s10
	s_mov_b32 s11, s10
	s_addc_u32 s13, s9, s10
	s_xor_b64 s[12:13], s[12:13], s[10:11]
	v_readfirstlane_b32 s16, v2
	s_mul_i32 s15, s12, s14
	s_mul_hi_u32 s17, s12, s16
	s_mul_hi_u32 s9, s12, s14
	s_add_u32 s15, s17, s15
	s_addc_u32 s9, 0, s9
	s_mul_hi_u32 s18, s13, s16
	s_mul_i32 s16, s13, s16
	s_add_u32 s15, s15, s16
	s_mul_hi_u32 s17, s13, s14
	s_addc_u32 s9, s9, s18
	s_addc_u32 s15, s17, 0
	s_mul_i32 s14, s13, s14
	s_add_u32 s9, s9, s14
	s_addc_u32 s14, 0, s15
	s_add_u32 s15, s9, 1
	s_addc_u32 s16, s14, 0
	s_add_u32 s17, s9, 2
	s_mul_i32 s19, s65, s14
	s_mul_hi_u32 s20, s65, s9
	s_addc_u32 s18, s14, 0
	s_add_i32 s20, s20, s19
	s_mul_i32 s19, s65, s9
	v_mov_b32_e32 v2, s19
	v_sub_co_u32_e32 v2, vcc, s12, v2
	s_cmp_lg_u64 vcc, 0
	s_subb_u32 s12, s13, s20
	v_subrev_co_u32_e32 v3, vcc, s65, v2
	s_cmp_lg_u64 vcc, 0
	s_subb_u32 s13, s12, 0
	v_readfirstlane_b32 s19, v3
	s_cmp_ge_u32 s19, s65
	s_cselect_b32 s19, -1, 0
	s_cmp_eq_u32 s13, 0
	s_cselect_b32 s13, s19, -1
	s_cmp_lg_u32 s13, 0
	s_cselect_b32 s13, s18, s16
	v_readfirstlane_b32 s16, v2
	s_cselect_b32 s15, s17, s15
	s_cmp_ge_u32 s16, s65
	s_cselect_b32 s16, -1, 0
	s_cmp_eq_u32 s12, 0
	s_cselect_b32 s12, s16, -1
	s_cmp_lg_u32 s12, 0
	s_cselect_b32 s13, s13, s14
	s_cselect_b32 s12, s15, s9
	s_xor_b64 s[12:13], s[12:13], s[10:11]
	s_sub_u32 s10, s12, s10
	v_writelane_b32 v159, s10, 9
	v_writelane_b32 v159, s11, 10
	s_load_dwordx2 s[60:61], s[4:5], 0x5c
	s_cbranch_execnz .LBB0_8
.LBB0_7:
	v_rcp_iflag_f32_e32 v1, v1
	s_sub_i32 s6, 0, s65
	v_mul_f32_e32 v1, 0x4f7ffffe, v1
	v_cvt_u32_f32_e32 v1, v1
	v_readfirstlane_b32 s7, v1
	s_mul_i32 s6, s6, s7
	s_mul_hi_u32 s6, s7, s6
	s_add_i32 s7, s7, s6
	s_mul_hi_u32 s6, s8, s7
	s_mul_i32 s9, s6, s65
	s_sub_i32 s8, s8, s9
	s_add_i32 s7, s6, 1
	s_sub_i32 s9, s8, s65
	s_cmp_ge_u32 s8, s65
	s_cselect_b32 s6, s7, s6
	s_cselect_b32 s8, s9, s8
	s_add_i32 s7, s6, 1
	s_cmp_ge_u32 s8, s65
	s_cselect_b32 s6, s7, s6
	v_writelane_b32 v159, s6, 9
	v_writelane_b32 v159, s7, 10
.LBB0_8:
	s_load_dwordx16 s[40:55], s[4:5], 0x0
	s_load_dwordx4 s[20:23], s[4:5], 0x40
	s_load_dword s6, s[4:5], 0x50
	s_abs_i32 s87, s66
	v_cvt_f32_u32_e32 v1, s87
	v_bfe_u32 v47, v0, 10, 10
	s_mov_b32 s89, 0
	s_waitcnt lgkmcnt(0)
	v_writelane_b32 v159, s6, 11
	s_load_dwordx2 s[6:7], s[4:5], 0x8c
	s_load_dwordx4 s[12:15], s[4:5], 0x98
	s_load_dwordx2 s[8:9], s[4:5], 0xa8
	s_load_dwordx2 s[26:27], s[4:5], 0xb8
	s_nop 0
	s_load_dwordx2 s[4:5], s[4:5], 0xc8
	v_rcp_iflag_f32_e32 v1, v1
	s_waitcnt lgkmcnt(0)
	s_ashr_i32 s58, s6, 2
	s_ashr_i32 s38, s14, 2
	v_writelane_b32 v159, s8, 12
	v_writelane_b32 v159, s9, 13
	;; [unrolled: 1-line block ×4, first 2 shown]
	s_ashr_i32 s4, s59, 3
	v_writelane_b32 v159, s4, 16
	s_mov_b32 s5, s7
	v_writelane_b32 v159, s4, 17
	v_mul_f32_e32 v1, 0x4f7ffffe, v1
	v_writelane_b32 v159, s5, 18
	s_mov_b64 s[4:5], s[12:13]
	s_mov_b32 s7, s15
	v_cvt_u32_f32_e32 v1, v1
	v_writelane_b32 v159, s4, 19
	v_writelane_b32 v159, s5, 20
	;; [unrolled: 1-line block ×4, first 2 shown]
	s_sub_i32 s6, 0, s87
	v_readfirstlane_b32 s7, v1
	s_mul_i32 s6, s6, s7
	s_ashr_i32 s5, s66, 31
	s_mul_hi_u32 s6, s7, s6
	v_writelane_b32 v159, s5, 23
	s_abs_i32 s5, s80
	s_add_i32 s72, s7, s6
	s_mul_hi_u32 s6, s5, s72
	s_mul_i32 s6, s6, s87
	s_sub_i32 s5, s5, s6
	s_ashr_i32 s68, s27, 1
	s_ashr_i32 s4, s80, 31
	s_sub_i32 s6, s5, s87
	s_cmp_ge_u32 s5, s87
	s_cselect_b32 s5, s6, s5
	s_sub_i32 s6, s5, s87
	s_cmp_ge_u32 s5, s87
	s_cselect_b32 s5, s6, s5
	s_xor_b32 s5, s5, s4
	s_sub_i32 s36, s5, s4
	v_readlane_b32 s4, v159, 9
	s_mov_b32 s8, s4
	s_sub_i32 s4, s4, s80
	s_add_i32 s6, s4, s36
	s_min_i32 s93, s66, s6
	s_cmp_gt_i32 s8, s80
	v_readlane_b32 s5, v159, 10
	s_cselect_b64 s[24:25], -1, 0
	s_cmp_le_i32 s8, s80
	v_cvt_f16_f32_e32 v1, s20
	s_cselect_b64 s[4:5], -1, 0
	s_cmp_gt_i32 s66, s6
	s_cselect_b64 s[6:7], -1, 0
	s_or_b64 s[4:5], s[6:7], s[4:5]
	s_and_b64 vcc, exec, s[4:5]
	v_pack_b32_f16 v21, v1, v1
	v_lshlrev_b32_e32 v51, 2, v47
	v_lshlrev_b32_e32 v49, 4, v47
	v_and_b32_e32 v53, 3, v47
	v_mbcnt_lo_u32_b32 v54, -1, 0
	s_cbranch_vccz .LBB0_11
; %bb.9:
	s_andn2_b64 vcc, exec, s[24:25]
	s_cbranch_vccz .LBB0_171
.LBB0_10:
	s_endpgm
.LBB0_11:
	s_cmp_lg_u64 s[46:47], 0
	v_writelane_b32 v159, s65, 24
	s_cselect_b64 s[4:5], -1, 0
	v_writelane_b32 v159, s4, 25
	v_writelane_b32 v159, s5, 26
	s_mul_i32 s4, s56, s57
	s_cmp_eq_u64 s[48:49], 0
	v_writelane_b32 v159, s4, 27
	s_cselect_b64 s[4:5], -1, 0
	v_writelane_b32 v159, s4, 28
	v_writelane_b32 v159, s5, 29
	s_mov_b64 s[6:7], s[22:23]
	s_mov_b32 s5, s21
	v_writelane_b32 v159, s4, 30
	v_and_b32_e32 v14, 0x3ff, v0
	v_writelane_b32 v159, s5, 31
	v_lshrrev_b32_e32 v13, 2, v14
	v_writelane_b32 v159, s6, 32
	v_lshrrev_b32_e32 v3, 3, v14
	v_and_b32_e32 v15, 60, v13
	v_writelane_b32 v159, s7, 33
	v_cmp_nle_f32_e64 s[4:5], s21, 0
	v_and_b32_e32 v6, 0x3f0, v51
	s_movk_i32 s8, 0x90
	v_and_b32_e32 v10, 15, v14
	v_and_b32_e32 v11, 30, v3
	;; [unrolled: 1-line block ×3, first 2 shown]
	v_mul_u32_u24_e32 v17, 0x48, v15
	v_writelane_b32 v159, s4, 34
	s_cmp_lg_u64 s[50:51], 0
	v_mad_u32_u24 v2, v6, s8, 0
	v_mul_u32_u24_e32 v7, 0x90, v10
	v_lshlrev_b32_e32 v8, 2, v11
	v_mad_u32_u24 v12, v9, s8, 0
	v_or_b32_e32 v17, v17, v10
	v_or_b32_e32 v13, 3, v13
	v_writelane_b32 v159, s5, 35
	s_cselect_b64 s[4:5], -1, 0
	v_add3_u32 v55, v2, v7, v8
	v_add3_u32 v59, v12, v7, v8
	v_add_u32_e32 v60, v9, v15
	v_or_b32_e32 v6, v6, v10
	v_add_u16_e32 v7, v9, v15
	v_mul_u32_u24_e32 v15, 0x90, v15
	v_mul_u32_u24_e32 v13, 0x90, v13
	v_lshl_add_u32 v62, v17, 1, v12
	v_lshlrev_b32_e32 v17, 1, v10
	v_or_b32_e32 v10, v49, v10
	v_writelane_b32 v159, s4, 36
	v_add3_u32 v63, v12, v15, v17
	v_add3_u32 v64, v12, v13, v17
	v_add_u32_e32 v12, v49, v14
	s_lshl_b32 s88, s64, 4
	v_mad_u32_u24 v10, v10, 36, v11
	v_writelane_b32 v159, s5, 37
	v_lshrrev_b32_e32 v1, 5, v14
	s_ashr_i32 s69, s68, 31
	s_ashr_i32 s59, s58, 31
	;; [unrolled: 1-line block ×3, first 2 shown]
	v_mul_u32_u24_e32 v65, 0x90, v12
	s_lshl_b64 s[8:9], s[88:89], 3
	v_or_b32_e32 v12, v51, v14
	v_lshl_add_u32 v66, v10, 2, 0
	v_lshrrev_b32_e32 v10, 1, v47
	v_writelane_b32 v159, s64, 38
	s_add_u32 s8, s54, s8
	v_lshlrev_b32_e32 v12, 3, v12
	v_add_u32_e32 v67, v1, v10
	s_addc_u32 s9, s55, s9
	v_add_co_u32_e32 v22, vcc, s8, v12
	v_lshlrev_b32_e32 v10, 2, v67
	v_and_b32_e32 v11, 15, v67
	s_movk_i32 s8, 0x3c0
	v_add_u32_e32 v69, 2, v67
	v_readlane_b32 s19, v159, 6
	v_mov_b32_e32 v13, s9
	v_and_or_b32 v10, v10, s8, v11
	v_lshlrev_b32_e32 v11, 2, v69
	v_and_b32_e32 v12, 15, v69
	s_movk_i32 s8, 0x7c0
	v_add_u32_e32 v71, 4, v67
	s_abs_i32 s74, s19
	v_addc_co_u32_e32 v23, vcc, 0, v13, vcc
	v_and_or_b32 v11, v11, s8, v12
	v_lshlrev_b32_e32 v12, 2, v71
	v_and_b32_e32 v13, 15, v71
	v_add_u32_e32 v72, 6, v67
	v_cvt_f32_u32_e32 v24, s74
	v_and_or_b32 v12, v12, s8, v13
	v_lshlrev_b32_e32 v13, 2, v72
	v_and_b32_e32 v15, 15, v72
	v_add_u32_e32 v73, 8, v67
	v_and_or_b32 v13, v13, s8, v15
	v_lshlrev_b32_e32 v15, 2, v73
	v_and_b32_e32 v17, 15, v73
	v_add_u32_e32 v74, 10, v67
	;; [unrolled: 4-line block ×3, first 2 shown]
	v_readlane_b32 s18, v159, 5
	v_and_or_b32 v17, v17, s8, v19
	v_lshlrev_b32_e32 v19, 2, v75
	v_and_b32_e32 v25, 15, v75
	v_rcp_iflag_f32_e32 v24, v24
	s_abs_i32 s75, s18
	v_and_or_b32 v19, v19, s8, v25
	v_cvt_f32_u32_e32 v25, s75
	v_mul_f32_e32 v24, 0x4f7ffffe, v24
	v_cvt_u32_f32_e32 v24, v24
	v_add_u32_e32 v76, 14, v67
	v_rcp_iflag_f32_e32 v25, v25
	v_readlane_b32 s17, v159, 2
	v_lshlrev_b32_e32 v26, 2, v76
	v_and_b32_e32 v27, 15, v76
	s_abs_i32 s62, s17
	v_and_or_b32 v26, v26, s8, v27
	v_readfirstlane_b32 s8, v24
	v_mul_f32_e32 v24, 0x4f7ffffe, v25
	v_cvt_f32_u32_e32 v25, s62
	s_mov_b32 s14, s26
	v_writelane_b32 v159, s14, 39
	v_writelane_b32 v159, s15, 40
	s_lshl_b32 s16, s57, 5
	s_abs_i32 s90, s26
	v_writelane_b32 v159, s16, 41
	s_sub_i32 s16, 0, s74
	v_cvt_f32_u32_e32 v27, s90
	v_cvt_u32_f32_e32 v24, v24
	v_rcp_iflag_f32_e32 v25, v25
	s_mul_i32 s16, s16, s8
	s_mul_hi_u32 s16, s8, s16
	s_add_i32 s8, s8, s16
	v_writelane_b32 v159, s8, 42
	s_ashr_i32 s8, s19, 31
	v_rcp_iflag_f32_e32 v27, v27
	v_readfirstlane_b32 s9, v24
	v_mul_f32_e32 v24, 0x4f7ffffe, v25
	v_writelane_b32 v159, s8, 43
	s_ashr_i32 s8, s18, 31
	v_cvt_u32_f32_e32 v24, v24
	v_writelane_b32 v159, s8, 44
	s_sub_i32 s8, 0, s75
	s_mul_i32 s8, s8, s9
	s_mul_hi_u32 s8, s9, s8
	v_and_b32_e32 v16, 31, v14
	v_lshl_add_u32 v33, v47, 1, v1
	v_mul_f32_e32 v25, 0x4f7ffffe, v27
	s_add_i32 s8, s9, s8
	v_mad_u32_u24 v1, v33, 36, v16
	v_cvt_u32_f32_e32 v25, v25
	v_readfirstlane_b32 s14, v24
	v_writelane_b32 v159, s8, 45
	s_sub_i32 s8, 0, s62
	v_lshl_add_u32 v82, v1, 2, 0
	v_mad_u32_u24 v1, v10, 36, v16
	s_mul_i32 s8, s8, s14
	v_lshl_add_u32 v83, v1, 2, 0
	v_mad_u32_u24 v1, v11, 36, v16
	s_mul_hi_u32 s8, s14, s8
	v_lshl_add_u32 v84, v1, 2, 0
	v_mad_u32_u24 v1, v12, 36, v16
	s_add_i32 s8, s14, s8
	v_lshrrev_b16_e32 v7, 1, v7
	v_readfirstlane_b32 s15, v25
	v_lshl_add_u32 v85, v1, 2, 0
	v_mad_u32_u24 v1, v13, 36, v16
	v_writelane_b32 v159, s8, 46
	s_sub_i32 s8, 0, s90
	v_lshl_add_u32 v57, v47, 3, v3
	v_mul_u32_u24_e32 v6, 0x90, v6
	v_lshlrev_b32_e32 v7, 2, v7
	v_lshl_add_u32 v86, v1, 2, 0
	v_mad_u32_u24 v1, v15, 36, v16
	s_mul_i32 s8, s8, s15
	v_add3_u32 v61, 0, v6, v7
	v_mul_lo_u32 v6, s38, v57
	v_lshl_add_u32 v87, v1, 2, 0
	v_mad_u32_u24 v1, v17, 36, v16
	s_mul_hi_u32 s8, s15, s8
	v_lshlrev_b32_e32 v3, 2, v14
	v_ashrrev_i32_e32 v7, 31, v6
	v_lshl_add_u32 v88, v1, 2, 0
	v_mad_u32_u24 v1, v19, 36, v16
	s_add_i32 s8, s15, s8
	v_mul_u32_u24_e32 v2, 0x90, v47
	v_lshlrev_b32_e32 v18, 1, v14
	v_and_b32_e32 v20, 28, v3
	v_lshl_add_u32 v8, s38, 5, v6
	v_lshl_add_u32 v89, v1, 2, 0
	v_mad_u32_u24 v1, v26, 36, v16
	v_lshlrev_b64 v[24:25], 2, v[6:7]
	v_writelane_b32 v159, s8, 47
	s_ashr_i32 s8, s17, 31
	v_add3_u32 v56, 0, v2, v18
	v_mul_u32_u24_e32 v2, 0x90, v57
	v_lshlrev_b32_e32 v3, 2, v20
	v_ashrrev_i32_e32 v9, 31, v8
	v_lshl_add_u32 v91, v1, 2, 0
	v_mov_b32_e32 v1, s45
	v_add_co_u32_e32 v92, vcc, s44, v24
	v_writelane_b32 v159, s8, 48
	v_cmp_ne_u32_e64 s[8:9], 0, v53
	v_add3_u32 v58, 0, v2, v3
	v_mul_lo_u32 v2, s58, v57
	v_mul_u32_u24_e32 v90, 0x90, v26
	v_addc_co_u32_e32 v93, vcc, v1, v25, vcc
	v_lshlrev_b64 v[26:27], 2, v[8:9]
	v_writelane_b32 v159, s8, 49
	v_ashrrev_i32_e32 v3, 31, v2
	v_add_co_u32_e32 v94, vcc, s44, v26
	v_writelane_b32 v159, s9, 50
	v_cmp_gt_u32_e64 s[8:9], 16, v14
	v_lshl_add_u32 v4, s58, 5, v2
	v_addc_co_u32_e32 v95, vcc, v1, v27, vcc
	v_lshlrev_b64 v[28:29], 2, v[2:3]
	v_writelane_b32 v159, s8, 51
	v_ashrrev_i32_e32 v5, 31, v4
	v_mov_b32_e32 v1, s43
	v_add_co_u32_e32 v96, vcc, s42, v28
	v_writelane_b32 v159, s9, 52
	s_mov_b32 s8, s68
	v_addc_co_u32_e32 v97, vcc, v1, v29, vcc
	v_lshlrev_b64 v[30:31], 2, v[4:5]
	v_writelane_b32 v159, s8, 53
	v_add_co_u32_e32 v98, vcc, s42, v30
	v_writelane_b32 v159, s9, 54
	s_lshl_b64 s[8:9], s[68:69], 1
	s_mov_b64 s[98:99], src_private_base
	v_addc_co_u32_e32 v99, vcc, v1, v31, vcc
	v_and_b32_e32 v1, 7, v14
	v_writelane_b32 v159, s8, 55
	v_cmp_gt_u32_e64 s[4:5], 64, v14
	s_mov_b32 s98, 0
	v_cmp_gt_u32_e64 s[6:7], 64, v57
	v_cmp_gt_u32_e64 s[34:35], 32, v57
	v_cmp_gt_u32_e64 s[10:11], 64, v60
	v_cmp_gt_u32_e64 s[12:13], 63, v60
	v_mul_u32_u24_e32 v68, 0x90, v10
	v_mul_u32_u24_e32 v70, 0x90, v11
	v_mul_u32_u24_e32 v77, 0x90, v12
	v_mul_u32_u24_e32 v78, 0x90, v13
	v_mul_u32_u24_e32 v79, 0x90, v15
	v_mul_u32_u24_e32 v80, 0x90, v17
	v_mul_u32_u24_e32 v81, 0x90, v19
	s_mov_b32 s96, 0x42b17218
	s_mov_b32 s97, 0x3fb8aa3b
	v_mov_b32_e32 v100, 0
	s_mov_b32 s33, 0xc2ce8ed0
	v_add_u32_e32 v101, 4, v47
	v_add_u32_e32 v102, 0x240, v56
	s_mov_b32 s91, 0xc1a00000
	v_add_u32_e32 v103, 8, v47
	s_mov_b32 s57, 0x5040100
	v_add_u32_e32 v104, 0x480, v56
	v_add_u32_e32 v105, 12, v47
	;; [unrolled: 1-line block ×8, first 2 shown]
	v_or_b32_e32 v112, 1, v60
	v_or_b32_e32 v113, 2, v60
	;; [unrolled: 1-line block ×3, first 2 shown]
	v_add_u32_e32 v115, 8, v33
	v_lshlrev_b32_e32 v32, 4, v1
	v_mov_b32_e32 v116, 0x3ecccdef
	v_mov_b32_e32 v117, 0x37000000
	;; [unrolled: 1-line block ×4, first 2 shown]
	v_mbcnt_hi_u32_b32 v120, -1, v54
	s_movk_i32 s92, 0x80
	v_cmp_gt_u32_e64 s[14:15], 62, v60
	v_cmp_gt_u32_e64 s[16:17], 61, v60
	v_cmp_eq_u32_e64 s[18:19], 0, v53
	v_writelane_b32 v159, s9, 56
	s_lshl_b64 s[76:77], s[38:39], 8
	s_lshl_b64 s[8:9], s[58:59], 8
	s_mov_b32 s63, s72
	s_branch .LBB0_14
.LBB0_12:                               ;   in Loop: Header=BB0_14 Depth=1
	s_or_b64 exec, exec, s[24:25]
	s_barrier
.LBB0_13:                               ;   in Loop: Header=BB0_14 Depth=1
	s_add_i32 s20, s80, s66
	s_abs_i32 s22, s20
	s_mul_hi_u32 s23, s22, s72
	s_mul_i32 s23, s23, s87
	s_sub_i32 s22, s22, s23
	s_ashr_i32 s21, s20, 31
	s_sub_i32 s23, s22, s87
	s_cmp_ge_u32 s22, s87
	s_cselect_b32 s22, s23, s22
	s_sub_i32 s23, s22, s87
	s_cmp_ge_u32 s22, s87
	s_cselect_b32 s22, s23, s22
	s_xor_b32 s22, s22, s21
	s_sub_i32 s21, s21, s22
	s_add_i32 s80, s20, s21
	v_readlane_b32 s20, v159, 9
	s_mov_b32 s22, s20
	s_sub_i32 s20, s20, s80
	s_min_i32 s93, s66, s20
	s_cmp_gt_i32 s22, s80
	v_readlane_b32 s21, v159, 10
	s_cselect_b64 s[24:25], -1, 0
	s_cmp_le_i32 s66, s20
	s_cselect_b64 s[20:21], -1, 0
	s_and_b64 s[20:21], s[20:21], s[24:25]
	s_mov_b32 s36, 0
	s_and_b64 vcc, exec, s[20:21]
	s_cbranch_vccz .LBB0_170
.LBB0_14:                               ; =>This Loop Header: Depth=1
                                        ;     Child Loop BB0_111 Depth 2
                                        ;     Child Loop BB0_31 Depth 2
	s_ashr_i32 s20, s80, 31
	v_readlane_b32 s21, v159, 43
	s_xor_b32 s20, s20, s21
	s_abs_i32 s21, s80
	v_readlane_b32 s22, v159, 42
	s_mul_hi_u32 s22, s21, s22
	s_mul_i32 s23, s22, s74
	s_sub_i32 s21, s21, s23
	s_add_i32 s23, s22, 1
	s_sub_i32 s24, s21, s74
	s_cmp_ge_u32 s21, s74
	s_cselect_b32 s22, s23, s22
	s_cselect_b32 s21, s24, s21
	s_add_i32 s23, s22, 1
	s_cmp_ge_u32 s21, s74
	s_cselect_b32 s21, s23, s22
	s_xor_b32 s21, s21, s20
	s_sub_i32 s23, s21, s20
	v_readlane_b32 s20, v159, 25
	v_readlane_b32 s21, v159, 26
	s_ashr_i32 s22, s23, 31
	s_andn2_b64 vcc, exec, s[20:21]
	s_mov_b64 s[64:65], 0
	s_cbranch_vccnz .LBB0_16
; %bb.15:                               ;   in Loop: Header=BB0_14 Depth=1
	s_abs_i32 s20, s23
	v_readlane_b32 s21, v159, 47
	s_mul_hi_u32 s21, s20, s21
	s_mul_i32 s21, s21, s90
	s_sub_i32 s20, s20, s21
	s_sub_i32 s21, s20, s90
	s_cmp_ge_u32 s20, s90
	s_cselect_b32 s20, s21, s20
	s_sub_i32 s21, s20, s90
	s_cmp_ge_u32 s20, s90
	s_cselect_b32 s20, s21, s20
	s_xor_b32 s20, s20, s22
	v_readlane_b32 s26, v159, 14
	s_sub_i32 s20, s20, s22
	v_readlane_b32 s27, v159, 15
	s_ashr_i32 s21, s20, 31
	s_mul_i32 s24, s20, s27
	s_mul_hi_u32 s25, s20, s26
	s_add_i32 s24, s25, s24
	s_mul_i32 s21, s21, s26
	s_add_i32 s24, s24, s21
	s_mul_i32 s20, s20, s26
	s_add_u32 s64, s46, s20
	s_addc_u32 s65, s47, s24
.LBB0_16:                               ;   in Loop: Header=BB0_14 Depth=1
	v_readlane_b32 s20, v159, 6
	s_mul_i32 s20, s23, s20
	s_sub_i32 s20, s80, s20
	s_ashr_i32 s21, s20, 31
	v_readlane_b32 s24, v159, 44
	s_xor_b32 s21, s21, s24
	s_abs_i32 s24, s20
	v_readlane_b32 s25, v159, 45
	s_mul_hi_u32 s25, s24, s25
	s_mul_i32 s26, s25, s75
	s_sub_i32 s24, s24, s26
	s_add_i32 s26, s25, 1
	s_sub_i32 s27, s24, s75
	s_cmp_ge_u32 s24, s75
	s_cselect_b32 s25, s26, s25
	s_cselect_b32 s24, s27, s24
	s_add_i32 s26, s25, 1
	s_cmp_ge_u32 s24, s75
	s_cselect_b32 s24, s26, s25
	s_xor_b32 s24, s24, s21
	s_sub_i32 s37, s24, s21
	v_readlane_b32 s21, v159, 5
	s_mul_i32 s21, s37, s21
	s_sub_i32 s20, s20, s21
	s_ashr_i32 s21, s20, 31
	v_readlane_b32 s24, v159, 48
	s_xor_b32 s21, s21, s24
	s_abs_i32 s24, s20
	v_readlane_b32 s25, v159, 46
	s_mul_hi_u32 s25, s24, s25
	s_mul_i32 s26, s25, s62
	s_sub_i32 s24, s24, s26
	s_add_i32 s26, s25, 1
	s_sub_i32 s27, s24, s62
	s_cmp_ge_u32 s24, s62
	s_cselect_b32 s25, s26, s25
	s_cselect_b32 s24, s27, s24
	s_add_i32 s26, s25, 1
	s_cmp_ge_u32 s24, s62
	s_cselect_b32 s24, s26, s25
	s_xor_b32 s24, s24, s21
	s_sub_i32 s21, s24, s21
	v_readlane_b32 s24, v159, 1
	s_mul_i32 s24, s37, s24
	s_add_i32 s30, s24, s21
	v_readlane_b32 s24, v159, 34
	v_readlane_b32 s25, v159, 35
	s_andn2_b64 vcc, exec, s[24:25]
	v_mov_b32_e32 v34, 1.0
	s_cbranch_vccnz .LBB0_18
; %bb.17:                               ;   in Loop: Header=BB0_14 Depth=1
	v_readlane_b32 s25, v159, 11
	s_sub_i32 s24, s30, s25
	s_lshl_b32 s24, s24, 1
	s_add_i32 s26, s30, 1
	s_or_b32 s27, s24, 1
	s_cmp_lt_u32 s30, s25
	v_readlane_b32 s68, v159, 30
	s_cselect_b64 vcc, -1, 0
	v_readlane_b32 s70, v159, 32
	v_readlane_b32 s71, v159, 33
	s_and_b64 s[24:25], vcc, exec
	v_mov_b32_e32 v1, s71
	v_mov_b32_e32 v2, s70
	s_cselect_b32 s24, s26, s27
	v_cndmask_b32_e32 v15, v1, v2, vcc
	v_cvt_f32_i32_e32 v1, s24
	v_cmp_neq_f32_e32 vcc, 1.0, v15
	s_mov_b32 s24, 0x3f2aaaab
	s_movk_i32 s26, 0x204
	v_cndmask_b32_e32 v17, 1.0, v1, vcc
	v_cmp_eq_f32_e32 vcc, 0, v17
	v_cndmask_b32_e64 v19, |v15|, 1.0, vcc
	v_frexp_mant_f32_e32 v1, v19
	v_cmp_gt_f32_e64 s[24:25], s24, v1
	v_cndmask_b32_e64 v2, 1.0, 2.0, s[24:25]
	v_mul_f32_e32 v1, v1, v2
	v_add_f32_e32 v2, 1.0, v1
	v_rcp_f32_e32 v10, v2
	v_add_f32_e32 v3, -1.0, v2
	v_sub_f32_e32 v5, v1, v3
	v_add_f32_e32 v3, -1.0, v1
	v_mul_f32_e32 v1, v3, v10
	v_mul_f32_e32 v4, v2, v1
	v_fma_f32 v6, v1, v2, -v4
	v_fmac_f32_e32 v6, v1, v5
	v_add_f32_e32 v2, v4, v6
	v_sub_f32_e32 v5, v3, v2
	v_pk_add_f32 v[8:9], v[2:3], v[4:5] neg_lo:[0,1] neg_hi:[0,1]
	v_mov_b32_e32 v7, v2
	v_pk_add_f32 v[2:3], v[8:9], v[6:7] neg_lo:[0,1] neg_hi:[0,1]
	v_add_f32_e32 v2, v2, v3
	v_add_f32_e32 v2, v5, v2
	v_mul_f32_e32 v3, v10, v2
	v_add_f32_e32 v2, v1, v3
	v_sub_f32_e32 v1, v2, v1
	v_sub_f32_e32 v1, v3, v1
	v_mul_f32_e32 v3, v2, v2
	v_fma_f32 v5, v2, v2, -v3
	v_add_f32_e32 v4, v1, v1
	v_fmac_f32_e32 v5, v2, v4
	v_add_f32_e32 v4, v3, v5
	v_mov_b32_e32 v6, 0x3e91f4c4
	v_fmac_f32_e32 v6, 0x3e76c4e1, v4
	v_fma_f32 v6, v4, v6, v116
	v_sub_f32_e32 v3, v4, v3
	v_sub_f32_e32 v12, v5, v3
	v_mul_f32_e32 v3, v4, v6
	v_fma_f32 v5, v4, v6, -v3
	v_fmac_f32_e32 v5, v12, v6
	v_add_f32_e32 v6, v3, v5
	v_add_f32_e32 v7, 0x3f2aaaaa, v6
	v_sub_f32_e32 v3, v6, v3
	v_sub_f32_e32 v3, v5, v3
	v_add_f32_e32 v5, 0xbf2aaaaa, v7
	v_add_f32_e32 v3, 0x31739010, v3
	v_sub_f32_e32 v5, v6, v5
	v_pk_mul_f32 v[8:9], v[2:3], v[4:5]
	v_fma_f32 v6, v4, v2, -v8
	v_pk_add_f32 v[10:11], v[2:3], v[4:5]
	v_fmac_f32_e32 v6, v4, v1
	v_mov_b32_e32 v9, v11
	v_fmac_f32_e32 v6, v12, v2
	v_pk_add_f32 v[4:5], v[8:9], v[6:7]
	v_sub_f32_e32 v3, v4, v8
	v_sub_f32_e32 v3, v6, v3
	;; [unrolled: 1-line block ×3, first 2 shown]
	v_add_f32_e32 v10, v11, v6
	v_mov_b32_e32 v6, v5
	v_pk_mul_f32 v[6:7], v[4:5], v[6:7]
	v_cvt_f64_f32_e32 v[8:9], v19
	v_frexp_exp_i32_f64_e32 v7, v[8:9]
	v_subbrev_co_u32_e64 v7, s[24:25], 0, v7, s[24:25]
	v_cvt_f32_i32_e32 v7, v7
	v_fma_f32 v8, v4, v5, -v6
	v_fmac_f32_e32 v8, v4, v10
	s_mov_b32 s24, 0x3f317218
	v_mul_f32_e32 v4, 0x3f317218, v7
	v_fmac_f32_e32 v8, v3, v5
	v_fma_f32 v10, v7, s24, -v4
	v_fmac_f32_e32 v10, 0xb102e308, v7
	v_ldexp_f32 v11, v2, 1
	v_add_f32_e32 v5, v6, v8
	v_pk_add_f32 v[2:3], v[4:5], v[10:11]
	v_mov_b32_e32 v12, v5
	v_mov_b32_e32 v13, v3
	;; [unrolled: 1-line block ×3, first 2 shown]
	v_pk_add_f32 v[6:7], v[12:13], v[6:7] neg_lo:[0,1] neg_hi:[0,1]
	v_mov_b32_e32 v9, v5
	v_ldexp_f32 v1, v1, 1
	v_pk_add_f32 v[6:7], v[8:9], v[6:7] neg_lo:[0,1] neg_hi:[0,1]
	v_add_f32_e32 v1, v1, v6
	v_add_f32_e32 v5, v1, v7
	v_pk_add_f32 v[6:7], v[2:3], v[4:5] neg_lo:[0,1] neg_hi:[0,1]
	v_pk_add_f32 v[8:9], v[2:3], v[4:5]
	v_mov_b32_e32 v12, v6
	v_mov_b32_e32 v13, v9
	;; [unrolled: 1-line block ×3, first 2 shown]
	v_pk_add_f32 v[12:13], v[10:11], v[12:13]
	v_mov_b32_e32 v4, v13
	v_pk_add_f32 v[34:35], v[4:5], v[2:3] neg_lo:[0,1] neg_hi:[0,1]
	v_mov_b32_e32 v1, v34
	v_mov_b32_e32 v12, v9
	v_mov_b32_e32 v2, v3
	v_mov_b32_e32 v3, v34
	v_pk_add_f32 v[6:7], v[10:11], v[6:7] neg_lo:[0,1] neg_hi:[0,1]
	v_pk_add_f32 v[36:37], v[8:9], v[0:1] neg_lo:[0,1] neg_hi:[0,1]
	v_pk_add_f32 v[2:3], v[12:13], v[2:3] neg_lo:[0,1] neg_hi:[0,1]
	v_mov_b32_e32 v10, v5
	v_pk_add_f32 v[2:3], v[10:11], v[2:3] neg_lo:[0,1] neg_hi:[0,1]
	v_mov_b32_e32 v36, v6
	v_pk_add_f32 v[8:9], v[36:37], v[2:3]
	v_mov_b32_e32 v10, v9
	v_pk_add_f32 v[10:11], v[8:9], v[10:11]
	v_pk_add_f32 v[4:5], v[4:5], v[10:11]
	v_mov_b32_e32 v7, v13
	v_mov_b32_e32 v9, v4
	v_pk_add_f32 v[12:13], v[8:9], v[6:7] neg_lo:[0,1] neg_hi:[0,1]
	v_mov_b32_e32 v3, v10
	v_sub_f32_e32 v1, v8, v12
	v_pk_add_f32 v[2:3], v[2:3], v[12:13] neg_lo:[0,1] neg_hi:[0,1]
	v_sub_f32_e32 v1, v6, v1
	v_add_f32_e32 v1, v2, v1
	v_add_f32_e32 v1, v1, v3
	;; [unrolled: 1-line block ×3, first 2 shown]
	v_sub_f32_e32 v3, v2, v4
	v_sub_f32_e32 v1, v1, v3
	v_mul_f32_e32 v3, v17, v2
	v_fma_f32 v2, v17, v2, -v3
	v_fmac_f32_e32 v2, v17, v1
	v_add_f32_e32 v1, v3, v2
	v_cmp_class_f32_e64 s[24:25], v3, s26
	v_sub_f32_e32 v4, v1, v3
	v_cndmask_b32_e64 v1, v1, v3, s[24:25]
	v_cmp_eq_f32_e64 s[24:25], s96, v1
	v_cndmask_b32_e64 v3, 0, v117, s[24:25]
	v_sub_f32_e32 v2, v2, v4
	v_sub_f32_e32 v4, v1, v3
	v_mul_f32_e32 v5, 0x3fb8aa3b, v4
	v_fma_f32 v6, v4, s97, -v5
	v_rndne_f32_e32 v7, v5
	v_fmac_f32_e32 v6, 0x32a5705f, v4
	v_sub_f32_e32 v5, v5, v7
	v_add_f32_e32 v5, v5, v6
	v_exp_f32_e32 v5, v5
	v_cvt_i32_f32_e32 v6, v7
	s_mov_b32 s27, 0x7f800000
	v_cmp_neq_f32_e64 s[24:25], |v1|, s27
	v_cndmask_b32_e64 v1, 0, v2, s[24:25]
	v_ldexp_f32 v2, v5, v6
	v_cmp_ngt_f32_e64 s[24:25], s33, v4
	v_cndmask_b32_e64 v2, 0, v2, s[24:25]
	v_cmp_nlt_f32_e64 s[24:25], s96, v4
	v_add_f32_e32 v1, v3, v1
	v_cndmask_b32_e64 v2, v118, v2, s[24:25]
	v_fma_f32 v1, v2, v1, v2
	v_cmp_class_f32_e64 s[24:25], v2, s26
	v_trunc_f32_e32 v3, v17
	v_cndmask_b32_e64 v1, v1, v2, s[24:25]
	v_cndmask_b32_e64 v2, v15, 1.0, vcc
	v_cmp_eq_f32_e32 vcc, v3, v17
	v_mul_f32_e32 v3, 0.5, v17
	v_trunc_f32_e32 v4, v3
	v_cmp_neq_f32_e64 s[24:25], v4, v3
	s_and_b64 s[24:25], vcc, s[24:25]
	v_cndmask_b32_e64 v3, 1.0, v2, s[24:25]
	s_brev_b32 s31, -2
	v_bfi_b32 v1, s31, v1, v3
	v_cndmask_b32_e32 v3, v119, v1, vcc
	v_cmp_gt_f32_e32 vcc, 0, v2
	v_cndmask_b32_e32 v1, v1, v3, vcc
	v_cmp_eq_f32_e32 vcc, s27, v19
	v_cmp_eq_f32_e64 s[26:27], 0, v2
	v_cmp_gt_f32_e64 s[28:29], 0, v17
	s_xor_b64 s[28:29], s[28:29], s[26:27]
	v_cndmask_b32_e64 v3, v118, 0, s[28:29]
	v_cndmask_b32_e64 v4, 0, v2, s[24:25]
	v_bfi_b32 v3, s31, v3, v4
	s_or_b64 vcc, vcc, s[26:27]
	v_cndmask_b32_e32 v1, v1, v3, vcc
	v_cmp_o_f32_e32 vcc, v2, v2
	v_cndmask_b32_e32 v34, v119, v1, vcc
	v_readlane_b32 s69, v159, 31
.LBB0_18:                               ;   in Loop: Header=BB0_14 Depth=1
	v_readlane_b32 s24, v159, 2
	s_mul_i32 s21, s21, s24
	s_sub_i32 s20, s20, s21
	s_ashr_i32 s21, s20, 31
	v_readlane_b32 s24, v159, 23
	s_abs_i32 s20, s20
	s_xor_b32 s21, s21, s24
	s_mul_hi_u32 s24, s20, s72
	s_mul_i32 s25, s24, s87
	s_sub_i32 s20, s20, s25
	s_add_i32 s25, s24, 1
	s_sub_i32 s26, s20, s87
	s_cmp_ge_u32 s20, s87
	s_cselect_b32 s24, s25, s24
	s_cselect_b32 s20, s26, s20
	s_add_i32 s25, s24, 1
	s_cmp_ge_u32 s20, s87
	s_cselect_b32 s20, s25, s24
	v_readlane_b32 s24, v159, 36
	s_xor_b32 s20, s20, s21
	v_readlane_b32 s25, v159, 37
	s_andn2_b64 vcc, exec, s[24:25]
	s_sub_i32 s83, s20, s21
	s_cbranch_vccnz .LBB0_20
; %bb.19:                               ;   in Loop: Header=BB0_14 Depth=1
	v_readlane_b32 s20, v159, 0
	s_mul_i32 s20, s23, s20
	s_add_i32 s20, s83, s20
	s_ashr_i32 s21, s20, 31
	s_lshl_b64 s[20:21], s[20:21], 2
	s_add_u32 s20, s50, s20
	s_addc_u32 s21, s51, s21
	global_load_dword v1, v100, s[20:21]
	s_waitcnt vmcnt(0)
	v_readfirstlane_b32 s20, v1
	s_ashr_i32 s21, s20, 31
	s_lshr_b32 s21, s21, 26
	s_add_i32 s20, s20, s21
	s_ashr_i32 s20, s20, 6
	s_min_i32 s93, s93, s20
.LBB0_20:                               ;   in Loop: Header=BB0_14 Depth=1
	v_readlane_b32 s20, v159, 27
	s_mul_i32 s20, s20, s23
	s_add_i32 s20, s30, s20
	s_lshl_b32 s88, s20, 5
	s_lshl_b64 s[20:21], s[88:89], 3
	s_add_u32 s86, s52, s20
	s_addc_u32 s20, s53, s21
	v_writelane_b32 v159, s20, 57
	v_readlane_b32 s24, v159, 12
	v_readlane_b32 s25, v159, 13
	s_mul_i32 s20, s23, s25
	s_mul_hi_u32 s21, s23, s24
	s_add_i32 s20, s21, s20
	s_mul_i32 s21, s22, s24
	v_readlane_b32 s68, v159, 19
	s_add_i32 s88, s20, s21
	s_mul_i32 s20, s23, s24
	v_readlane_b32 s71, v159, 22
	s_add_u32 s24, s44, s20
	s_mul_i32 s21, s37, s71
	s_addc_u32 s25, s45, s88
	s_ashr_i32 s82, s21, 31
	s_add_u32 s94, s24, s21
	s_addc_u32 s95, s25, s82
	s_ashr_i32 s31, s30, 31
	s_lshl_b64 s[24:25], s[30:31], 2
	s_add_u32 s26, s48, s24
	s_addc_u32 s27, s49, s25
	v_readlane_b32 s24, v159, 28
	v_readlane_b32 s25, v159, 29
	;; [unrolled: 1-line block ×3, first 2 shown]
	s_and_b64 s[24:25], s[24:25], exec
	s_mov_b64 s[28:29], s[68:69]
	s_cselect_b32 s69, 0, s27
	s_cselect_b32 s68, 0, s26
	v_readlane_b32 s26, v159, 7
	v_readlane_b32 s27, v159, 8
	s_mul_i32 s24, s23, s27
	s_ashr_i32 s25, s24, 31
	s_add_u32 s24, s40, s24
	s_mul_i32 s26, s30, s26
	s_addc_u32 s25, s41, s25
	s_ashr_i32 s27, s26, 31
	s_add_u32 s78, s24, s26
	s_addc_u32 s79, s25, s27
	s_mul_i32 s24, s23, s29
	s_mul_hi_u32 s25, s23, s28
	s_add_i32 s24, s25, s24
	s_mul_i32 s22, s22, s28
	v_readlane_b32 s26, v159, 17
	s_add_i32 s22, s24, s22
	s_mul_i32 s23, s23, s28
	v_readlane_b32 s27, v159, 18
	s_add_u32 s24, s42, s23
	s_mul_i32 s73, s37, s27
	s_addc_u32 s25, s43, s22
	s_ashr_i32 s85, s73, 31
	s_add_u32 s84, s24, s73
	s_addc_u32 s81, s25, s85
	s_cmp_lg_u32 s36, 0
	v_readlane_b32 s70, v159, 21
	s_cbranch_scc0 .LBB0_39
; %bb.21:                               ;   in Loop: Header=BB0_14 Depth=1
	s_lshl_b32 s67, s83, 4
	v_add_u32_e32 v1, s67, v33
	v_cmp_le_i32_e32 vcc, s56, v1
	s_and_saveexec_b64 s[24:25], vcc
	s_xor_b64 s[24:25], exec, s[24:25]
	s_cbranch_execz .LBB0_23
; %bb.22:                               ;   in Loop: Header=BB0_14 Depth=1
	ds_write_b32 v82, v100
                                        ; implicit-def: $vgpr1
.LBB0_23:                               ;   in Loop: Header=BB0_14 Depth=1
	s_andn2_saveexec_b64 s[24:25], s[24:25]
	s_cbranch_execz .LBB0_25
; %bb.24:                               ;   in Loop: Header=BB0_14 Depth=1
	v_readlane_b32 s26, v159, 16
	v_mad_u64_u32 v[2:3], s[26:27], v1, s26, v[16:17]
	v_ashrrev_i32_e32 v3, 31, v2
	v_lshlrev_b64 v[2:3], 3, v[2:3]
	v_mov_b32_e32 v1, s79
	v_add_co_u32_e32 v2, vcc, s78, v2
	v_addc_co_u32_e32 v3, vcc, v1, v3, vcc
	global_load_dwordx2 v[2:3], v[2:3], off
	s_waitcnt vmcnt(0)
	v_cvt_f16_f32_e32 v1, v2
	v_cvt_f16_f32_e32 v2, v3
	v_pack_b32_f16 v1, v1, v2
	v_pk_mul_f16 v1, v21, v1
	ds_write_b32 v82, v1
.LBB0_25:                               ;   in Loop: Header=BB0_14 Depth=1
	s_or_b64 exec, exec, s[24:25]
	v_add_u32_e32 v1, s67, v115
	v_cmp_le_i32_e32 vcc, s56, v1
	s_and_saveexec_b64 s[24:25], vcc
	s_xor_b64 s[24:25], exec, s[24:25]
	s_cbranch_execz .LBB0_27
; %bb.26:                               ;   in Loop: Header=BB0_14 Depth=1
	ds_write_b32 v82, v100 offset:1152
                                        ; implicit-def: $vgpr1
.LBB0_27:                               ;   in Loop: Header=BB0_14 Depth=1
	s_andn2_saveexec_b64 s[24:25], s[24:25]
	s_cbranch_execz .LBB0_29
; %bb.28:                               ;   in Loop: Header=BB0_14 Depth=1
	v_readlane_b32 s26, v159, 16
	v_mad_u64_u32 v[2:3], s[26:27], v1, s26, v[16:17]
	v_ashrrev_i32_e32 v3, 31, v2
	v_lshlrev_b64 v[2:3], 3, v[2:3]
	v_mov_b32_e32 v1, s79
	v_add_co_u32_e32 v2, vcc, s78, v2
	v_addc_co_u32_e32 v3, vcc, v1, v3, vcc
	global_load_dwordx2 v[2:3], v[2:3], off
	s_waitcnt vmcnt(0)
	v_cvt_f16_f32_e32 v1, v2
	v_cvt_f16_f32_e32 v2, v3
	v_pack_b32_f16 v1, v1, v2
	v_pk_mul_f16 v1, v21, v1
	ds_write_b32 v82, v1 offset:1152
.LBB0_29:                               ;   in Loop: Header=BB0_14 Depth=1
	s_or_b64 exec, exec, s[24:25]
	s_waitcnt lgkmcnt(0)
	s_barrier
	ds_read2_b64 v[6:9], v55 offset1:4
	ds_read2_b64 v[2:5], v55 offset0:8 offset1:12
	s_add_i32 s37, s93, -1
	s_cmp_le_i32 s37, s36
	v_mov_b32_e32 v1, 0
	s_waitcnt lgkmcnt(0)
	s_barrier
	s_cbranch_scc1 .LBB0_40
; %bb.30:                               ;   in Loop: Header=BB0_14 Depth=1
	v_lshlrev_b32_e32 v1, 1, v14
	v_mov_b32_e32 v10, s65
	v_add_co_u32_e32 v121, vcc, s64, v1
	v_add_u32_e32 v1, s67, v47
	v_addc_co_u32_e32 v122, vcc, 0, v10, vcc
	v_mul_hi_u32 v10, s60, v1
	v_add_u32_e32 v10, v1, v10
	v_lshrrev_b32_e32 v10, s61, v10
	v_mul_lo_u32 v10, v10, s56
	v_readlane_b32 s24, v159, 53
	v_sub_u32_e32 v1, v1, v10
	v_readlane_b32 s25, v159, 54
	s_mov_b32 s28, s24
	v_mad_i64_i32 v[10:11], s[24:25], v1, s28, 0
	v_add_u32_e32 v1, s67, v101
	v_mul_hi_u32 v12, s60, v1
	v_add_u32_e32 v12, v1, v12
	v_lshrrev_b32_e32 v12, s61, v12
	v_mul_lo_u32 v12, v12, s56
	v_sub_u32_e32 v1, v1, v12
	v_mad_i64_i32 v[12:13], s[24:25], v1, s28, 0
	v_add_u32_e32 v1, s67, v103
	v_mul_hi_u32 v15, s60, v1
	v_add_u32_e32 v15, v1, v15
	v_lshrrev_b32_e32 v15, s61, v15
	v_mul_lo_u32 v15, v15, s56
	v_sub_u32_e32 v1, v1, v15
	;; [unrolled: 7-line block ×3, first 2 shown]
	v_mad_i64_i32 v[44:45], s[24:25], v1, s28, 0
	v_and_b32_e32 v1, 64, v120
	v_add_u32_e32 v1, 64, v1
	v_xor_b32_e32 v17, 32, v120
	v_cmp_lt_i32_e32 vcc, v17, v1
	v_cndmask_b32_e32 v17, v120, v17, vcc
	v_lshlrev_b32_e32 v123, 2, v17
	v_xor_b32_e32 v17, 16, v120
	v_cmp_lt_i32_e32 vcc, v17, v1
	s_cmp_lg_u64 s[64:65], 0
	v_cndmask_b32_e32 v1, v120, v17, vcc
	s_cselect_b64 s[26:27], -1, 0
	v_mov_b32_e32 v15, 0
	v_lshlrev_b32_e32 v124, 2, v1
	v_mov_b32_e32 v36, v34
	v_mov_b32_e32 v37, v34
	s_lshl_b32 s28, s36, 6
	v_mov_b32_e32 v125, 0
	v_mov_b32_e32 v126, 0xfeffffff
	v_lshlrev_b64 v[38:39], 1, v[10:11]
	v_lshlrev_b64 v[40:41], 1, v[12:13]
	;; [unrolled: 1-line block ×4, first 2 shown]
	v_mov_b32_e32 v46, 0
	v_mov_b32_e32 v19, 0
	;; [unrolled: 1-line block ×7, first 2 shown]
.LBB0_31:                               ;   Parent Loop BB0_14 Depth=1
                                        ; =>  This Inner Loop Header: Depth=2
	v_cndmask_b32_e64 v10, 0, 1, s[26:27]
	v_cmp_ne_u32_e64 s[24:25], 1, v10
	s_andn2_b64 vcc, exec, s[26:27]
	s_ashr_i32 s29, s28, 31
	s_cbranch_vccnz .LBB0_35
; %bb.32:                               ;   in Loop: Header=BB0_31 Depth=2
	v_mov_b32_e32 v10, 0
	v_mov_b32_e32 v11, 0
	;; [unrolled: 1-line block ×4, first 2 shown]
	s_and_saveexec_b64 s[30:31], s[4:5]
	s_cbranch_execz .LBB0_34
; %bb.33:                               ;   in Loop: Header=BB0_31 Depth=2
	s_lshl_b64 vcc, s[28:29], 1
	v_mov_b32_e32 v10, vcc_hi
	v_add_co_u32_e32 v35, vcc, vcc_lo, v121
	v_addc_co_u32_e32 v127, vcc, v122, v10, vcc
	v_add_co_u32_e32 v10, vcc, v35, v38
	v_addc_co_u32_e32 v11, vcc, v127, v39, vcc
	v_add_co_u32_e32 v12, vcc, v35, v40
	;; [unrolled: 2-line block ×4, first 2 shown]
	v_addc_co_u32_e32 v131, vcc, v127, v45, vcc
	flat_load_ushort v10, v[10:11]
	s_nop 0
	flat_load_ushort v11, v[12:13]
	s_nop 0
	flat_load_ushort v12, v[128:129]
	flat_load_ushort v13, v[130:131]
.LBB0_34:                               ;   in Loop: Header=BB0_31 Depth=2
	s_or_b64 exec, exec, s[30:31]
	s_waitcnt vmcnt(0) lgkmcnt(0)
	ds_write_b16 v56, v10 offset:9216
	ds_write_b16 v102, v11 offset:9216
	;; [unrolled: 1-line block ×4, first 2 shown]
.LBB0_35:                               ;   in Loop: Header=BB0_31 Depth=2
	s_mul_hi_i32 s31, s28, s58
	s_mul_i32 s30, s28, s58
	s_lshl_b64 s[30:31], s[30:31], 2
	s_add_u32 s29, s84, s30
	s_addc_u32 s30, s81, s31
	v_mov_b32_e32 v10, s30
	v_add_co_u32_e32 v11, vcc, s29, v28
	v_addc_co_u32_e32 v10, vcc, v10, v29, vcc
	v_lshlrev_b32_e32 v127, 2, v20
	v_add_co_u32_e32 v12, vcc, v11, v127
	v_addc_co_u32_e32 v10, vcc, 0, v10, vcc
	v_mov_b32_e32 v35, s99
	v_mov_b32_e32 v128, s98
	buffer_store_dword v100, off, s[0:3], 0
	buffer_store_dword v100, off, s[0:3], 0 offset:4
	buffer_store_dword v100, off, s[0:3], 0 offset:8
	;; [unrolled: 1-line block ×3, first 2 shown]
	v_cndmask_b32_e64 v11, v35, v10, s[6:7]
	v_cndmask_b32_e64 v10, v128, v12, s[6:7]
	flat_load_dwordx4 v[10:13], v[10:11]
	v_mov_b32_e32 v129, s30
	v_add_co_u32_e32 v130, vcc, s29, v30
	v_addc_co_u32_e32 v129, vcc, v129, v31, vcc
	v_add_co_u32_e32 v130, vcc, v130, v127
	v_addc_co_u32_e32 v129, vcc, 0, v129, vcc
	v_cndmask_b32_e64 v128, v128, v130, s[34:35]
	v_cndmask_b32_e64 v129, v35, v129, s[34:35]
	s_and_b64 vcc, exec, s[24:25]
	s_waitcnt vmcnt(0) lgkmcnt(0)
	ds_write_b128 v58, v[10:13]
	flat_load_dwordx4 v[10:13], v[128:129]
	s_waitcnt vmcnt(0) lgkmcnt(0)
	ds_write_b128 v108, v[10:13]
	s_waitcnt lgkmcnt(0)
	s_barrier
	ds_read2_b64 v[10:13], v59 offset1:4
	s_waitcnt lgkmcnt(0)
	v_mfma_f32_16x16x16f16 v[128:131], v[10:11], v[6:7], 0
	v_mfma_f32_16x16x16f16 v[10:13], v[12:13], v[8:9], v[128:131]
	s_nop 7
	s_nop 1
	ds_read2_b64 v[128:131], v59 offset0:8 offset1:12
	s_waitcnt lgkmcnt(0)
	v_mfma_f32_16x16x16f16 v[10:13], v[128:129], v[2:3], v[10:13]
	s_barrier
	v_mfma_f32_16x16x16f16 v[10:13], v[130:131], v[4:5], v[10:13]
	s_cbranch_vccnz .LBB0_37
; %bb.36:                               ;   in Loop: Header=BB0_31 Depth=2
	v_add_u32_e32 v35, 0x2400, v61
	ds_read2_b32 v[128:129], v35 offset1:1
	v_mov_b32_e32 v35, v34
	s_waitcnt lgkmcnt(0)
	v_cvt_f32_f16_e32 v130, v128
	v_cvt_f32_f16_e32 v132, v129
	v_cvt_f32_f16_sdwa v133, v129 dst_sel:DWORD dst_unused:UNUSED_PAD src0_sel:WORD_1
	v_cvt_f32_f16_sdwa v131, v128 dst_sel:DWORD dst_unused:UNUSED_PAD src0_sel:WORD_1
	s_nop 1
	v_pk_fma_f32 v[12:13], v[34:35], v[132:133], v[12:13]
	v_pk_fma_f32 v[10:11], v[36:37], v[130:131], v[10:11]
.LBB0_37:                               ;   in Loop: Header=BB0_31 Depth=2
	s_mul_hi_i32 s25, s28, s38
	s_mul_i32 s24, s28, s38
	s_lshl_b64 s[24:25], s[24:25], 2
	s_add_u32 s24, s94, s24
	s_addc_u32 s25, s95, s25
	v_mov_b32_e32 v35, s25
	v_add_co_u32_e32 v128, vcc, s24, v24
	v_addc_co_u32_e32 v35, vcc, v35, v25, vcc
	v_add_co_u32_e32 v128, vcc, v128, v127
	v_addc_co_u32_e32 v35, vcc, 0, v35, vcc
	v_mov_b32_e32 v133, s99
	v_mov_b32_e32 v134, s98
	buffer_store_dword v100, off, s[0:3], 0
	buffer_store_dword v100, off, s[0:3], 0 offset:4
	buffer_store_dword v100, off, s[0:3], 0 offset:8
	;; [unrolled: 1-line block ×3, first 2 shown]
	v_cndmask_b32_e64 v129, v133, v35, s[6:7]
	v_cndmask_b32_e64 v128, v134, v128, s[6:7]
	flat_load_dwordx4 v[128:131], v[128:129]
	v_add_f32_e32 v135, 0x40051340, v10
	v_max_f32_e32 v136, v126, v126
	v_add_f32_e32 v138, 0x40051340, v12
	v_cndmask_b32_e64 v141, v12, v12, s[12:13]
	v_max_f32_e32 v12, v136, v135
	v_cndmask_b32_e64 v12, v126, v12, s[10:11]
	v_add_f32_e32 v137, 0x40051340, v11
	v_max_f32_e32 v135, v12, v12
	v_max_f32_e32 v135, v135, v137
	v_cndmask_b32_e64 v12, v12, v135, s[12:13]
	v_max_f32_e32 v135, v12, v12
	v_max_f32_e32 v135, v135, v138
	v_cndmask_b32_e64 v12, v12, v135, s[14:15]
	v_add_f32_e32 v139, 0x40051340, v13
	v_max_f32_e32 v135, v12, v12
	v_max_f32_e32 v135, v135, v139
	v_cndmask_b32_e64 v12, v12, v135, s[16:17]
	ds_bpermute_b32 v135, v123, v12
	v_max_f32_e32 v12, v12, v12
	v_mov_b32_e32 v136, s25
	v_add_co_u32_e32 v137, vcc, s24, v26
	s_waitcnt lgkmcnt(0)
	v_max_f32_e32 v135, v135, v135
	v_max_f32_e32 v12, v12, v135
	ds_bpermute_b32 v138, v124, v12
	v_addc_co_u32_e32 v136, vcc, v136, v27, vcc
	v_add_co_u32_e32 v127, vcc, v137, v127
	v_addc_co_u32_e32 v135, vcc, 0, v136, vcc
	v_cndmask_b32_e64 v134, v134, v127, s[34:35]
	s_waitcnt lgkmcnt(0)
	v_max_f32_e32 v127, v138, v138
	v_cndmask_b32_e64 v135, v133, v135, s[34:35]
	v_max_f32_e32 v12, v12, v127
	v_sub_f32_e32 v137, v126, v12
	v_sub_f32_e32 v10, v10, v12
	;; [unrolled: 1-line block ×3, first 2 shown]
	v_mul_f32_e32 v138, 0x3fb8aa3b, v10
	v_cndmask_b32_e64 v140, v13, v13, s[12:13]
	v_sub_f32_e32 v133, v141, v12
	v_mul_f32_e32 v139, 0x3fb8aa3b, v11
	v_fma_f32 v143, v10, s97, -v138
	v_rndne_f32_e32 v144, v138
	v_sub_f32_e32 v136, v140, v12
	v_mul_f32_e32 v140, 0x3fb8aa3b, v133
	v_fma_f32 v145, v11, s97, -v139
	v_rndne_f32_e32 v146, v139
	v_fmac_f32_e32 v143, 0x32a5705f, v10
	v_mul_f32_e32 v141, 0x3fb8aa3b, v136
	v_fma_f32 v147, v133, s97, -v140
	v_rndne_f32_e32 v148, v140
	v_fmac_f32_e32 v145, 0x32a5705f, v11
	;; [unrolled: 4-line block ×3, first 2 shown]
	v_fma_f32 v151, v137, s97, -v142
	v_rndne_f32_e32 v152, v142
	v_fmac_f32_e32 v149, 0x32a5705f, v136
	v_fmac_f32_e32 v151, 0x32a5705f, v137
	v_sub_f32_e32 v142, v142, v152
	v_add_f32_e32 v142, v142, v151
	v_exp_f32_e32 v142, v142
	v_cmp_ngt_f32_e32 vcc, s33, v10
	v_mov_b32_e32 v35, s89
	v_mov_b32_e32 v132, s89
	;; [unrolled: 1-line block ×3, first 2 shown]
	s_add_i32 s36, s36, 1
	s_add_i32 s28, s28, 64
	s_cmp_lt_i32 s36, s37
	s_waitcnt vmcnt(0)
	ds_write_b128 v58, v[128:131]
	flat_load_dwordx4 v[126:129], v[134:135]
	v_sub_f32_e32 v130, v138, v144
	v_sub_f32_e32 v134, v139, v146
	v_add_f32_e32 v130, v130, v143
	v_cvt_i32_f32_e32 v131, v144
	v_sub_f32_e32 v138, v140, v148
	v_add_f32_e32 v134, v134, v145
	v_exp_f32_e32 v130, v130
	v_cvt_i32_f32_e32 v135, v146
	v_sub_f32_e32 v140, v141, v150
	v_add_f32_e32 v138, v138, v147
	v_exp_f32_e32 v134, v134
	v_cvt_i32_f32_e32 v139, v148
	v_add_f32_e32 v140, v140, v149
	v_exp_f32_e32 v138, v138
	v_cvt_i32_f32_e32 v141, v150
	v_exp_f32_e32 v140, v140
	v_cvt_i32_f32_e32 v144, v152
	v_ldexp_f32 v130, v130, v131
	v_ldexp_f32 v131, v134, v135
	v_cndmask_b32_e32 v130, 0, v130, vcc
	v_cmp_ngt_f32_e32 vcc, s33, v11
	v_ldexp_f32 v134, v138, v139
	v_cndmask_b32_e32 v131, 0, v131, vcc
	v_cmp_ngt_f32_e32 vcc, s33, v133
	;; [unrolled: 3-line block ×4, first 2 shown]
	v_cndmask_b32_e32 v138, 0, v138, vcc
	v_cmp_nlt_f32_e32 vcc, s96, v10
	v_cndmask_b32_e32 v10, v118, v130, vcc
	v_cmp_nlt_f32_e32 vcc, s96, v11
	v_cndmask_b32_e32 v11, v118, v131, vcc
	v_cmp_nlt_f32_e32 vcc, s96, v133
	v_cndmask_b32_e32 v130, v118, v134, vcc
	v_cmp_nlt_f32_e32 vcc, s96, v136
	v_cndmask_b32_e32 v131, v118, v135, vcc
	v_cmp_nlt_f32_e32 vcc, s96, v137
	v_cndmask_b32_e32 v133, v118, v138, vcc
	v_cndmask_b32_e64 v10, 0, v10, s[10:11]
	v_cmp_le_f32_e32 vcc, s91, v137
	v_cndmask_b32_e64 v35, v35, v11, s[12:13]
	v_cndmask_b32_e32 v133, 0, v133, vcc
	v_add_f32_e32 v11, v11, v10
	v_cndmask_b32_e64 v132, v132, v130, s[14:15]
	v_cndmask_b32_e64 v13, v13, v131, s[16:17]
	v_cvt_f16_f32_e32 v134, v133
	v_cvt_f16_f32_e32 v135, v10
	v_cndmask_b32_e64 v10, v10, v11, s[12:13]
	v_cvt_f16_f32_e32 v35, v35
	v_cvt_f16_f32_e32 v132, v132
	v_cvt_f16_f32_e32 v13, v13
	v_add_f32_e32 v11, v10, v130
	v_cndmask_b32_e64 v10, v10, v11, s[14:15]
	v_add_f32_e32 v11, v10, v131
	v_pk_mul_f16 v15, v134, v15 op_sel_hi:[0,1]
	v_cndmask_b32_e64 v10, v10, v11, s[16:17]
	v_pk_mul_f16 v46, v134, v46 op_sel_hi:[0,1]
	v_pk_mul_f16 v19, v134, v19 op_sel_hi:[0,1]
	;; [unrolled: 1-line block ×7, first 2 shown]
	v_pack_b32_f16 v134, v135, v35
	v_pack_b32_f16 v135, v132, v13
	v_cvt_f32_f16_e32 v130, v15
	v_fmac_f32_e32 v10, v125, v133
	v_cvt_f32_f16_sdwa v131, v15 dst_sel:DWORD dst_unused:UNUSED_PAD src0_sel:WORD_1
	v_cvt_f32_f16_e32 v132, v46
	v_cvt_f32_f16_sdwa v133, v46 dst_sel:DWORD dst_unused:UNUSED_PAD src0_sel:WORD_1
	s_waitcnt vmcnt(0) lgkmcnt(0)
	ds_write_b128 v108, v[126:129]
	s_waitcnt lgkmcnt(0)
	s_barrier
	ds_read_u16 v11, v63 offset:144
	ds_read_u16 v13, v63 offset:288
	ds_read_u16 v35, v64
	ds_read_u16 v15, v64 offset:32
	ds_read_u16 v125, v62
	v_cvt_f32_f16_e32 v126, v19
	v_cvt_f32_f16_sdwa v127, v19 dst_sel:DWORD dst_unused:UNUSED_PAD src0_sel:WORD_1
	v_cvt_f32_f16_e32 v128, v17
	s_waitcnt lgkmcnt(2)
	v_perm_b32 v137, v35, v13, s57
	s_waitcnt lgkmcnt(0)
	v_perm_b32 v136, v11, v125, s57
	ds_read_u16 v13, v62 offset:32
	ds_read_u16 v35, v62 offset:64
	;; [unrolled: 1-line block ×3, first 2 shown]
	v_mfma_f32_16x16x16f16 v[130:133], v[136:137], v[134:135], v[130:133]
	ds_read_u16 v46, v109 offset:144
	ds_read_u16 v125, v109 offset:288
	;; [unrolled: 1-line block ×6, first 2 shown]
	v_cvt_f32_f16_sdwa v129, v17 dst_sel:DWORD dst_unused:UNUSED_PAD src0_sel:WORD_1
	s_nop 3
	v_cvt_f16_f32_e32 v11, v130
	v_cvt_f16_f32_e32 v19, v131
	s_waitcnt lgkmcnt(4)
	v_perm_b32 v131, v15, v125, s57
	v_perm_b32 v130, v46, v13, s57
	ds_read_u16 v125, v64 offset:64
	ds_read_u16 v141, v64 offset:96
	v_mfma_f32_16x16x16f16 v[126:129], v[130:131], v[134:135], v[126:129]
	s_waitcnt lgkmcnt(1)
	v_perm_b32 v131, v125, v137, s57
	v_perm_b32 v130, v136, v35, s57
	v_cvt_f16_f32_e32 v13, v132
	v_cvt_f16_f32_e32 v17, v133
	v_pack_b32_f16 v15, v11, v19
	s_waitcnt lgkmcnt(0)
	v_perm_b32 v137, v141, v140, s57
	v_perm_b32 v136, v139, v138, s57
	s_nop 1
	v_cvt_f16_f32_e32 v11, v126
	v_cvt_f16_f32_e32 v19, v127
	;; [unrolled: 1-line block ×4, first 2 shown]
	v_cvt_f32_f16_e32 v126, v52
	v_cvt_f32_f16_sdwa v127, v52 dst_sel:DWORD dst_unused:UNUSED_PAD src0_sel:WORD_1
	v_cvt_f32_f16_e32 v128, v50
	v_cvt_f32_f16_sdwa v129, v50 dst_sel:DWORD dst_unused:UNUSED_PAD src0_sel:WORD_1
	v_pack_b32_f16 v46, v13, v17
	v_pack_b32_f16 v17, v132, v133
	v_mfma_f32_16x16x16f16 v[126:129], v[130:131], v[134:135], v[126:129]
	v_cvt_f32_f16_e32 v130, v48
	v_cvt_f32_f16_sdwa v131, v48 dst_sel:DWORD dst_unused:UNUSED_PAD src0_sel:WORD_1
	v_cvt_f32_f16_e32 v132, v1
	v_cvt_f32_f16_sdwa v133, v1 dst_sel:DWORD dst_unused:UNUSED_PAD src0_sel:WORD_1
	v_pack_b32_f16 v19, v11, v19
	s_barrier
	s_nop 4
	v_cvt_f16_f32_e32 v11, v126
	v_cvt_f16_f32_e32 v1, v127
	v_cvt_f16_f32_e32 v13, v128
	v_cvt_f16_f32_e32 v35, v129
	v_mfma_f32_16x16x16f16 v[126:129], v[136:137], v[134:135], v[130:133]
	v_pack_b32_f16 v52, v11, v1
	v_pack_b32_f16 v50, v13, v35
	s_nop 7
	s_nop 0
	v_cvt_f16_f32_e32 v48, v126
	v_cvt_f16_f32_e32 v125, v127
	v_cvt_f16_f32_e32 v126, v128
	v_cvt_f16_f32_e32 v127, v129
	v_pack_b32_f16 v48, v48, v125
	v_pack_b32_f16 v1, v126, v127
	s_cbranch_scc0 .LBB0_41
; %bb.38:                               ;   in Loop: Header=BB0_31 Depth=2
	v_mov_b32_e32 v125, v10
	v_mov_b32_e32 v126, v12
	s_branch .LBB0_31
.LBB0_39:                               ;   in Loop: Header=BB0_14 Depth=1
	s_cbranch_execz .LBB0_13
	s_branch .LBB0_98
.LBB0_40:                               ;   in Loop: Header=BB0_14 Depth=1
	v_mov_b32_e32 v10, 0
	v_mov_b32_e32 v12, 0xfeffffff
	;; [unrolled: 1-line block ×9, first 2 shown]
.LBB0_41:                               ;   in Loop: Header=BB0_14 Depth=1
	s_lshl_b32 s28, s36, 6
	v_readlane_b32 s24, v159, 3
	s_sub_i32 s36, s24, s28
	s_cmp_lg_u64 s[64:65], 0
	s_cselect_b64 s[30:31], -1, 0
	s_ashr_i32 s29, s28, 31
	s_cmp_eq_u64 s[64:65], 0
	v_readlane_b32 s25, v159, 4
	s_cbranch_scc1 .LBB0_47
; %bb.42:                               ;   in Loop: Header=BB0_14 Depth=1
	v_cmp_le_i32_e32 vcc, s36, v14
                                        ; implicit-def: $sgpr26
	s_and_saveexec_b64 s[24:25], vcc
	s_xor_b64 s[24:25], exec, s[24:25]
	s_cbranch_execz .LBB0_44
; %bb.43:                               ;   in Loop: Header=BB0_14 Depth=1
	ds_write_b16 v56, v100 offset:9216
	ds_write_b16 v102, v100 offset:9216
	s_mov_b32 s26, 0
.LBB0_44:                               ;   in Loop: Header=BB0_14 Depth=1
	s_or_saveexec_b64 s[24:25], s[24:25]
	v_mov_b32_e32 v11, s26
	v_mov_b32_e32 v13, s26
	s_xor_b64 exec, exec, s[24:25]
	s_cbranch_execz .LBB0_46
; %bb.45:                               ;   in Loop: Header=BB0_14 Depth=1
	v_add_u32_e32 v35, s67, v47
	s_lshl_b64 s[26:27], s[28:29], 1
	v_mul_hi_u32 v36, s60, v35
	s_add_u32 s26, s64, s26
	v_add_u32_e32 v36, v35, v36
	s_addc_u32 s27, s65, s27
	v_lshlrev_b32_e32 v11, 1, v14
	v_lshrrev_b32_e32 v36, s61, v36
	v_mov_b32_e32 v13, s27
	v_add_co_u32_e32 v11, vcc, s26, v11
	v_mul_lo_u32 v36, v36, s56
	v_readlane_b32 s26, v159, 53
	v_sub_u32_e32 v35, v35, v36
	v_readlane_b32 s27, v159, 54
	s_mov_b32 s72, s26
	v_mad_i64_i32 v[36:37], s[26:27], v35, s72, 0
	v_add_u32_e32 v35, s67, v101
	v_mul_hi_u32 v38, s60, v35
	v_add_u32_e32 v38, v35, v38
	v_lshrrev_b32_e32 v38, s61, v38
	v_mul_lo_u32 v38, v38, s56
	v_addc_co_u32_e32 v13, vcc, 0, v13, vcc
	v_lshlrev_b64 v[36:37], 1, v[36:37]
	v_sub_u32_e32 v35, v35, v38
	v_add_co_u32_e32 v36, vcc, v11, v36
	v_mad_i64_i32 v[38:39], s[26:27], v35, s72, 0
	v_addc_co_u32_e32 v37, vcc, v13, v37, vcc
	v_lshlrev_b64 v[38:39], 1, v[38:39]
	v_add_co_u32_e32 v38, vcc, v11, v38
	v_addc_co_u32_e32 v39, vcc, v13, v39, vcc
	flat_load_ushort v35, v[36:37]
	flat_load_ushort v40, v[38:39]
	v_add_u32_e32 v36, s67, v103
	v_add_u32_e32 v37, s67, v105
	v_mul_hi_u32 v38, s60, v36
	v_mul_hi_u32 v39, s60, v37
	v_add_u32_e32 v38, v36, v38
	v_add_u32_e32 v39, v37, v39
	v_lshrrev_b32_e32 v38, s61, v38
	v_lshrrev_b32_e32 v39, s61, v39
	v_mul_lo_u32 v38, v38, s56
	v_mul_lo_u32 v39, v39, s56
	v_sub_u32_e32 v36, v36, v38
	v_sub_u32_e32 v38, v37, v39
	v_mad_i64_i32 v[36:37], s[26:27], v36, s72, 0
	v_lshlrev_b64 v[36:37], 1, v[36:37]
	v_mad_i64_i32 v[38:39], s[26:27], v38, s72, 0
	v_add_co_u32_e32 v36, vcc, v11, v36
	v_lshlrev_b64 v[38:39], 1, v[38:39]
	v_addc_co_u32_e32 v37, vcc, v13, v37, vcc
	v_add_co_u32_e32 v38, vcc, v11, v38
	v_addc_co_u32_e32 v39, vcc, v13, v39, vcc
	s_waitcnt vmcnt(0) lgkmcnt(0)
	ds_write_b16 v56, v35 offset:9216
	ds_write_b16 v102, v40 offset:9216
	flat_load_ushort v11, v[36:37]
	flat_load_ushort v13, v[38:39]
.LBB0_46:                               ;   in Loop: Header=BB0_14 Depth=1
	s_or_b64 exec, exec, s[24:25]
	s_waitcnt vmcnt(0) lgkmcnt(0)
	ds_write_b16 v104, v11 offset:9216
	ds_write_b16 v106, v13 offset:9216
.LBB0_47:                               ;   in Loop: Header=BB0_14 Depth=1
	s_mul_hi_i32 s25, s28, s58
	s_mul_i32 s24, s28, s58
	s_lshl_b64 s[24:25], s[24:25], 2
	s_add_u32 s24, s84, s24
	s_addc_u32 s25, s81, s25
	v_mov_b32_e32 v11, s25
	v_add_co_u32_e32 v13, vcc, s24, v28
	v_addc_co_u32_e32 v11, vcc, v11, v29, vcc
	v_lshlrev_b32_e32 v35, 2, v20
	v_add_co_u32_e32 v13, vcc, v13, v35
	v_addc_co_u32_e32 v11, vcc, 0, v11, vcc
	v_mov_b32_e32 v41, s99
	v_cmp_gt_i32_e64 s[26:27], s36, v57
	v_cndmask_b32_e64 v37, v41, v11, s[26:27]
	v_mov_b32_e32 v11, s98
	buffer_store_dword v100, off, s[0:3], 0
	buffer_store_dword v100, off, s[0:3], 0 offset:4
	buffer_store_dword v100, off, s[0:3], 0 offset:8
	;; [unrolled: 1-line block ×3, first 2 shown]
	v_cndmask_b32_e64 v36, v11, v13, s[26:27]
	flat_load_dwordx4 v[36:39], v[36:37]
	v_mov_b32_e32 v13, s25
	v_add_co_u32_e32 v40, vcc, s24, v30
	v_addc_co_u32_e32 v13, vcc, v13, v31, vcc
	v_add_co_u32_e32 v40, vcc, v40, v35
	v_addc_co_u32_e32 v13, vcc, 0, v13, vcc
	v_cmp_gt_i32_e64 s[24:25], s36, v107
	v_cndmask_b32_e64 v40, v11, v40, s[24:25]
	v_cndmask_b32_e64 v41, v41, v13, s[24:25]
	s_andn2_b64 vcc, exec, s[30:31]
	s_mov_b32 s70, s86
	s_waitcnt vmcnt(0) lgkmcnt(0)
	ds_write_b128 v58, v[36:39]
	flat_load_dwordx4 v[36:39], v[40:41]
	s_waitcnt vmcnt(0) lgkmcnt(0)
	ds_write_b128 v108, v[36:39]
	s_waitcnt lgkmcnt(0)
	s_barrier
	ds_read2_b64 v[36:39], v59 offset1:4
	s_waitcnt lgkmcnt(0)
	v_mfma_f32_16x16x16f16 v[40:43], v[36:37], v[6:7], 0
	v_mfma_f32_16x16x16f16 v[6:9], v[38:39], v[8:9], v[40:43]
	ds_read2_b64 v[36:39], v59 offset0:8 offset1:12
	s_waitcnt lgkmcnt(0)
	s_barrier
	v_mfma_f32_16x16x16f16 v[6:9], v[36:37], v[2:3], v[6:9]
	v_mfma_f32_16x16x16f16 v[2:5], v[38:39], v[4:5], v[6:9]
	s_cbranch_vccnz .LBB0_49
; %bb.48:                               ;   in Loop: Header=BB0_14 Depth=1
	s_nop 7
	s_nop 0
	v_add_u32_e32 v6, 0x2400, v61
	ds_read2_b32 v[6:7], v6 offset1:1
	s_waitcnt lgkmcnt(0)
	v_cvt_f32_f16_e32 v8, v6
	v_cvt_f32_f16_e32 v36, v7
	v_cvt_f32_f16_sdwa v37, v7 dst_sel:DWORD dst_unused:UNUSED_PAD src0_sel:WORD_1
	v_cvt_f32_f16_sdwa v9, v6 dst_sel:DWORD dst_unused:UNUSED_PAD src0_sel:WORD_1
	v_pk_fma_f32 v[4:5], v[34:35], v[36:37], v[4:5] op_sel_hi:[0,1,1]
	v_pk_fma_f32 v[2:3], v[34:35], v[8:9], v[2:3] op_sel_hi:[0,1,1]
.LBB0_49:                               ;   in Loop: Header=BB0_14 Depth=1
	s_mul_hi_i32 s29, s28, s38
	s_mul_i32 s28, s28, s38
	s_lshl_b64 s[28:29], s[28:29], 2
	s_add_u32 s86, s94, s28
	s_addc_u32 s72, s95, s29
	s_nop 3
	v_mov_b32_e32 v6, s72
	v_add_co_u32_e32 v7, vcc, s86, v24
	v_addc_co_u32_e32 v6, vcc, v6, v25, vcc
	v_add_co_u32_e32 v8, vcc, v7, v35
	v_addc_co_u32_e32 v6, vcc, 0, v6, vcc
	v_mov_b32_e32 v9, s99
	v_mov_b32_e32 v40, s98
	buffer_store_dword v100, off, s[0:3], 0
	buffer_store_dword v100, off, s[0:3], 0 offset:4
	buffer_store_dword v100, off, s[0:3], 0 offset:8
	;; [unrolled: 1-line block ×3, first 2 shown]
	v_cndmask_b32_e64 v7, v9, v6, s[26:27]
	v_cndmask_b32_e64 v6, v40, v8, s[26:27]
	flat_load_dwordx4 v[36:39], v[6:7]
	v_add_f32_e32 v6, 0x40051340, v2
	v_max_f32_e32 v7, v12, v12
	v_and_b32_e32 v11, 64, v120
	v_xor_b32_e32 v42, 32, v120
	v_max_f32_e32 v6, v7, v6
	v_add_u32_e32 v7, 64, v11
	v_cmp_gt_u32_e64 s[30:31], s36, v60
	v_cndmask_b32_e64 v6, v12, v6, s[30:31]
	v_cmp_lt_i32_e32 vcc, v42, v7
	v_add_f32_e32 v8, 0x40051340, v3
	v_cndmask_b32_e32 v11, v120, v42, vcc
	v_max_f32_e32 v42, v6, v6
	v_max_f32_e32 v8, v42, v8
	v_cmp_gt_u32_e64 s[28:29], s36, v112
	v_cndmask_b32_e64 v6, v6, v8, s[28:29]
	v_add_f32_e32 v13, 0x40051340, v4
	v_max_f32_e32 v8, v6, v6
	v_max_f32_e32 v8, v8, v13
	v_cmp_gt_u32_e64 s[26:27], s36, v113
	v_cndmask_b32_e64 v6, v6, v8, s[26:27]
	v_add_f32_e32 v41, 0x40051340, v5
	v_max_f32_e32 v8, v6, v6
	v_max_f32_e32 v8, v8, v41
	v_cmp_gt_u32_e32 vcc, s36, v114
	v_lshlrev_b32_e32 v11, 2, v11
	v_cndmask_b32_e32 v6, v6, v8, vcc
	ds_bpermute_b32 v8, v11, v6
	v_xor_b32_e32 v43, 16, v120
	v_cmp_lt_i32_e64 s[36:37], v43, v7
	v_cndmask_b32_e64 v7, v120, v43, s[36:37]
	v_max_f32_e32 v6, v6, v6
	s_waitcnt lgkmcnt(0)
	v_max_f32_e32 v8, v8, v8
	v_lshlrev_b32_e32 v13, 2, v7
	v_max_f32_e32 v6, v6, v8
	ds_bpermute_b32 v8, v13, v6
	v_mov_b32_e32 v7, s72
	v_add_co_u32_e64 v41, s[36:37], s86, v26
	v_addc_co_u32_e64 v7, s[36:37], v7, v27, s[36:37]
	s_waitcnt lgkmcnt(0)
	v_max_f32_e32 v8, v8, v8
	v_max_f32_e32 v6, v6, v8
	v_sub_f32_e32 v8, v2, v6
	v_mul_f32_e32 v2, 0x3fb8aa3b, v8
	v_fma_f32 v43, v8, s97, -v2
	v_rndne_f32_e32 v44, v2
	v_fmac_f32_e32 v43, 0x32a5705f, v8
	v_sub_f32_e32 v2, v2, v44
	v_add_f32_e32 v2, v2, v43
	v_cvt_i32_f32_e32 v44, v44
	v_exp_f32_e32 v2, v2
	v_sub_f32_e32 v42, v3, v6
	v_mul_f32_e32 v3, 0x3fb8aa3b, v42
	v_fma_f32 v45, v42, s97, -v3
	v_rndne_f32_e32 v121, v3
	v_fmac_f32_e32 v45, 0x32a5705f, v42
	v_sub_f32_e32 v3, v3, v121
	v_ldexp_f32 v2, v2, v44
	v_cmp_ngt_f32_e64 s[36:37], s33, v8
	v_add_f32_e32 v3, v3, v45
	v_cndmask_b32_e64 v44, 0, v2, s[36:37]
	v_add_co_u32_e64 v2, s[36:37], v41, v35
	v_exp_f32_e32 v45, v3
	v_addc_co_u32_e64 v3, s[36:37], 0, v7, s[36:37]
	v_cndmask_b32_e64 v3, v9, v3, s[24:25]
	v_cndmask_b32_e64 v2, v40, v2, s[24:25]
	;; [unrolled: 1-line block ×3, first 2 shown]
	v_sub_f32_e32 v4, v4, v6
	v_cvt_i32_f32_e32 v43, v121
	v_mul_f32_e32 v9, 0x3fb8aa3b, v4
	v_fma_f32 v35, v4, s97, -v9
	v_rndne_f32_e32 v40, v9
	v_fmac_f32_e32 v35, 0x32a5705f, v4
	v_sub_f32_e32 v9, v9, v40
	v_cmp_nlt_f32_e64 s[24:25], s96, v8
	v_add_f32_e32 v9, v9, v35
	v_exp_f32_e32 v9, v9
	s_waitcnt vmcnt(0)
	ds_write_b128 v58, v[36:39]
	flat_load_dwordx4 v[36:39], v[2:3]
	v_cndmask_b32_e64 v2, v118, v44, s[24:25]
	v_ldexp_f32 v3, v45, v43
	v_cmp_ngt_f32_e64 s[24:25], s33, v42
	v_cvt_i32_f32_e32 v35, v40
	v_cndmask_b32_e64 v3, 0, v3, s[24:25]
	v_cmp_nlt_f32_e64 s[24:25], s96, v42
	v_cndmask_b32_e64 v2, 0, v2, s[30:31]
	v_cndmask_b32_e64 v7, v118, v3, s[24:25]
	v_add_f32_e32 v8, v7, v2
	v_mov_b32_e32 v3, s89
	v_cndmask_b32_e64 v5, v5, v5, s[28:29]
	v_cndmask_b32_e64 v7, v3, v7, s[28:29]
	v_cndmask_b32_e64 v3, v2, v8, s[28:29]
	v_ldexp_f32 v8, v9, v35
	v_cmp_ngt_f32_e64 s[24:25], s33, v4
	v_sub_f32_e32 v5, v5, v6
	v_cndmask_b32_e64 v8, 0, v8, s[24:25]
	v_cmp_nlt_f32_e64 s[24:25], s96, v4
	v_mul_f32_e32 v4, 0x3fb8aa3b, v5
	v_fma_f32 v35, v5, s97, -v4
	v_rndne_f32_e32 v40, v4
	v_fmac_f32_e32 v35, 0x32a5705f, v5
	v_sub_f32_e32 v4, v4, v40
	v_add_f32_e32 v4, v4, v35
	v_cndmask_b32_e64 v8, v118, v8, s[24:25]
	v_exp_f32_e32 v35, v4
	v_cvt_i32_f32_e32 v40, v40
	v_add_f32_e32 v9, v3, v8
	v_mov_b32_e32 v4, s89
	v_cndmask_b32_e64 v4, v4, v8, s[26:27]
	v_cndmask_b32_e64 v8, v3, v9, s[26:27]
	v_sub_f32_e32 v9, v12, v6
	v_mul_f32_e32 v12, 0x3fb8aa3b, v9
	v_ldexp_f32 v3, v35, v40
	v_fma_f32 v35, v9, s97, -v12
	v_rndne_f32_e32 v40, v12
	v_fmac_f32_e32 v35, 0x32a5705f, v9
	v_sub_f32_e32 v12, v12, v40
	v_add_f32_e32 v12, v12, v35
	v_exp_f32_e32 v12, v12
	v_cvt_i32_f32_e32 v35, v40
	v_cmp_ngt_f32_e64 s[24:25], s33, v5
	v_cndmask_b32_e64 v3, 0, v3, s[24:25]
	v_cmp_nlt_f32_e64 s[24:25], s96, v5
	v_cndmask_b32_e64 v5, v118, v3, s[24:25]
	v_ldexp_f32 v12, v12, v35
	v_cmp_ngt_f32_e64 s[24:25], s33, v9
	v_cndmask_b32_e64 v12, 0, v12, s[24:25]
	v_cmp_nlt_f32_e64 s[24:25], s96, v9
	v_cndmask_b32_e64 v12, v118, v12, s[24:25]
	v_cmp_le_f32_e64 s[24:25], s91, v9
	v_cndmask_b32_e64 v9, 0, v12, s[24:25]
	v_cvt_f16_f32_e32 v12, v9
	v_add_f32_e32 v40, v8, v5
	v_mov_b32_e32 v3, s89
	v_cndmask_b32_e32 v3, v3, v5, vcc
	v_cndmask_b32_e32 v35, v8, v40, vcc
	v_pk_mul_f16 v5, v12, v15 op_sel_hi:[0,1]
	v_fmac_f32_e32 v35, v10, v9
	v_cvt_f16_f32_e32 v42, v2
	v_cvt_f16_f32_e32 v45, v3
	v_cvt_f32_f16_e32 v2, v5
	v_cvt_f32_f16_sdwa v3, v5 dst_sel:DWORD dst_unused:UNUSED_PAD src0_sel:WORD_1
	v_pk_mul_f16 v10, v12, v46 op_sel_hi:[0,1]
	v_cvt_f16_f32_e32 v7, v7
	v_cvt_f16_f32_e32 v43, v4
	v_cvt_f32_f16_e32 v4, v10
	v_pk_mul_f16 v40, v12, v50 op_sel_hi:[0,1]
	v_pack_b32_f16 v44, v42, v7
	v_pack_b32_f16 v45, v43, v45
	v_pk_mul_f16 v41, v12, v48 op_sel_hi:[0,1]
	v_pk_mul_f16 v15, v12, v19 op_sel_hi:[0,1]
	;; [unrolled: 1-line block ×4, first 2 shown]
	s_cmp_eq_u64 s[68:69], 0
	s_cselect_b64 s[24:25], -1, 0
	s_xor_b64 s[26:27], s[18:19], -1
	s_or_b64 s[24:25], s[26:27], s[24:25]
	s_waitcnt vmcnt(0) lgkmcnt(0)
	ds_write_b128 v108, v[36:39]
	s_waitcnt lgkmcnt(0)
	s_barrier
	ds_read_u16 v8, v63 offset:144
	ds_read_u16 v9, v63 offset:288
	ds_read_u16 v36, v64
	ds_read_u16 v39, v64 offset:32
	ds_read_u16 v5, v62
	ds_read_u16 v46, v62 offset:32
	ds_read_u16 v48, v62 offset:64
	;; [unrolled: 1-line block ×3, first 2 shown]
	v_cvt_f32_f16_sdwa v37, v15 dst_sel:DWORD dst_unused:UNUSED_PAD src0_sel:WORD_1
	v_cvt_f32_f16_e32 v38, v17
	s_waitcnt lgkmcnt(5)
	v_perm_b32 v9, v36, v9, s57
	s_waitcnt lgkmcnt(3)
	v_perm_b32 v8, v8, v5, s57
	v_cvt_f32_f16_sdwa v5, v10 dst_sel:DWORD dst_unused:UNUSED_PAD src0_sel:WORD_1
	v_pk_mul_f16 v10, v12, v1 op_sel_hi:[0,1]
	v_cvt_f32_f16_e32 v36, v15
	v_mfma_f32_16x16x16f16 v[2:5], v[8:9], v[44:45], v[2:5]
	s_nop 7
	s_nop 2
	v_cvt_f16_f32_e32 v1, v2
	v_cvt_f16_f32_e32 v2, v3
	ds_read_u16 v3, v109 offset:144
	ds_read_u16 v7, v109 offset:288
	;; [unrolled: 1-line block ×6, first 2 shown]
	s_waitcnt lgkmcnt(4)
	v_perm_b32 v9, v39, v7, s57
	v_perm_b32 v8, v3, v46, s57
	v_cvt_f32_f16_sdwa v39, v17 dst_sel:DWORD dst_unused:UNUSED_PAD src0_sel:WORD_1
	ds_read_u16 v7, v64 offset:64
	ds_read_u16 v121, v64 offset:96
	v_mfma_f32_16x16x16f16 v[36:39], v[8:9], v[44:45], v[36:39]
	s_waitcnt lgkmcnt(1)
	v_perm_b32 v9, v7, v15, s57
	v_perm_b32 v8, v12, v48, s57
	v_cvt_f16_f32_e32 v3, v4
	v_cvt_f16_f32_e32 v4, v5
	v_pack_b32_f16 v2, v1, v2
	ds_bpermute_b32 v15, v11, v35
	s_waitcnt lgkmcnt(0)
	s_nop 2
	v_cvt_f16_f32_e32 v5, v36
	v_cvt_f16_f32_e32 v17, v37
	;; [unrolled: 1-line block ×4, first 2 shown]
	v_cvt_f32_f16_e32 v36, v19
	v_cvt_f32_f16_sdwa v37, v19 dst_sel:DWORD dst_unused:UNUSED_PAD src0_sel:WORD_1
	v_cvt_f32_f16_e32 v38, v40
	v_cvt_f32_f16_sdwa v39, v40 dst_sel:DWORD dst_unused:UNUSED_PAD src0_sel:WORD_1
	v_pack_b32_f16 v1, v3, v4
	v_pack_b32_f16 v4, v5, v17
	v_mfma_f32_16x16x16f16 v[36:39], v[8:9], v[44:45], v[36:39]
	v_pack_b32_f16 v3, v42, v46
	v_cvt_f32_f16_e32 v40, v41
	v_cvt_f32_f16_sdwa v41, v41 dst_sel:DWORD dst_unused:UNUSED_PAD src0_sel:WORD_1
	v_cvt_f32_f16_e32 v42, v10
	s_barrier
	s_nop 5
	v_cvt_f16_f32_e32 v5, v36
	v_cvt_f16_f32_e32 v7, v37
	v_perm_b32 v37, v121, v52, s57
	v_perm_b32 v36, v43, v50, s57
	v_cvt_f32_f16_sdwa v43, v10 dst_sel:DWORD dst_unused:UNUSED_PAD src0_sel:WORD_1
	v_cvt_f16_f32_e32 v9, v38
	v_cvt_f16_f32_e32 v10, v39
	v_mfma_f32_16x16x16f16 v[36:39], v[36:37], v[44:45], v[40:43]
	v_pack_b32_f16 v8, v5, v7
	v_pack_b32_f16 v5, v9, v10
	s_nop 7
	s_nop 0
	v_cvt_f16_f32_e32 v7, v36
	v_cvt_f16_f32_e32 v12, v37
	;; [unrolled: 1-line block ×4, first 2 shown]
	v_pack_b32_f16 v10, v7, v12
	v_add_f32_e32 v7, v35, v15
	ds_bpermute_b32 v12, v13, v7
	v_pack_b32_f16 v9, v9, v17
	s_waitcnt lgkmcnt(0)
	v_add_f32_e32 v7, v7, v12
	s_and_saveexec_b64 s[26:27], s[24:25]
	s_xor_b64 s[24:25], exec, s[26:27]
	s_or_saveexec_b64 s[24:25], s[24:25]
	s_mov_b32 s72, s63
	s_mov_b32 s86, s70
	s_xor_b64 exec, exec, s[24:25]
	s_cbranch_execz .LBB0_51
; %bb.50:                               ;   in Loop: Header=BB0_14 Depth=1
	global_load_dword v12, v100, s[68:69]
	v_max_f32_e32 v15, v6, v6
	s_waitcnt vmcnt(0)
	v_max_f32_e32 v17, v12, v12
	v_max_f32_e32 v36, v15, v17
	v_sub_f32_e32 v6, v6, v36
	v_sub_f32_e32 v12, v12, v36
	v_mul_f32_e32 v15, 0x3fb8aa3b, v6
	v_mul_f32_e32 v17, 0x3fb8aa3b, v12
	v_fma_f32 v19, v6, s97, -v15
	v_rndne_f32_e32 v35, v15
	v_fma_f32 v37, v12, s97, -v17
	v_rndne_f32_e32 v38, v17
	v_fmac_f32_e32 v19, 0x32a5705f, v6
	v_sub_f32_e32 v15, v15, v35
	v_fmac_f32_e32 v37, 0x32a5705f, v12
	v_sub_f32_e32 v17, v17, v38
	v_add_f32_e32 v15, v15, v19
	v_cvt_i32_f32_e32 v35, v35
	v_add_f32_e32 v17, v17, v37
	v_exp_f32_e32 v15, v15
	v_cvt_i32_f32_e32 v38, v38
	v_exp_f32_e32 v17, v17
	v_cmp_ngt_f32_e32 vcc, s33, v6
	v_ldexp_f32 v15, v15, v35
	v_cndmask_b32_e32 v15, 0, v15, vcc
	v_ldexp_f32 v17, v17, v38
	v_cmp_ngt_f32_e32 vcc, s33, v12
	v_cndmask_b32_e32 v17, 0, v17, vcc
	v_cmp_nlt_f32_e32 vcc, s96, v6
	v_cndmask_b32_e32 v15, v118, v15, vcc
	v_cmp_le_f32_e32 vcc, s91, v6
	v_cndmask_b32_e32 v6, 0, v15, vcc
	v_cvt_f16_f32_e32 v15, v6
	v_cmp_nlt_f32_e32 vcc, s96, v12
	v_cndmask_b32_e32 v37, v118, v17, vcc
	v_fmac_f32_e32 v37, v7, v6
	v_pk_mul_f16 v2, v15, v2 op_sel_hi:[0,1]
	v_pk_mul_f16 v1, v15, v1 op_sel_hi:[0,1]
	;; [unrolled: 1-line block ×8, first 2 shown]
	v_pk_mov_b32 v[6:7], v[36:37], v[36:37] op_sel:[0,1]
.LBB0_51:                               ;   in Loop: Header=BB0_14 Depth=1
	s_or_b64 exec, exec, s[24:25]
	s_mov_b64 s[24:25], exec
	v_readlane_b32 s26, v159, 51
	v_readlane_b32 s27, v159, 52
	s_and_b64 s[26:27], s[24:25], s[26:27]
	s_mov_b64 exec, s[26:27]
	s_cbranch_execz .LBB0_53
; %bb.52:                               ;   in Loop: Header=BB0_14 Depth=1
	v_add_u32_e32 v12, 0, v65
	ds_write2_b32 v12, v6, v7 offset0:32 offset1:33
.LBB0_53:                               ;   in Loop: Header=BB0_14 Depth=1
	s_or_b64 exec, exec, s[24:25]
	s_waitcnt lgkmcnt(0)
	s_barrier
	s_mov_b64 s[24:25], exec
	v_readlane_b32 s26, v159, 49
	v_readlane_b32 s27, v159, 50
	s_and_b64 s[26:27], s[24:25], s[26:27]
	s_xor_b64 s[24:25], s[26:27], s[24:25]
	s_mov_b64 exec, s[26:27]
	s_cbranch_execz .LBB0_55
; %bb.54:                               ;   in Loop: Header=BB0_14 Depth=1
	s_barrier
	s_waitcnt lgkmcnt(0)
                                        ; implicit-def: $vgpr11
                                        ; implicit-def: $vgpr13
.LBB0_55:                               ;   in Loop: Header=BB0_14 Depth=1
	s_andn2_saveexec_b64 s[24:25], s[24:25]
	s_cbranch_execz .LBB0_59
; %bb.56:                               ;   in Loop: Header=BB0_14 Depth=1
	v_add_u32_e32 v7, 0, v65
	ds_read_b64 v[36:37], v7 offset:128
	s_waitcnt lgkmcnt(0)
	s_barrier
	ds_bpermute_b32 v6, v11, v36
	v_max_f32_e32 v12, v36, v36
	s_waitcnt lgkmcnt(0)
	v_max_f32_e32 v6, v6, v6
	v_max_f32_e32 v6, v12, v6
	ds_bpermute_b32 v12, v13, v6
	s_waitcnt lgkmcnt(0)
	v_max_f32_e32 v12, v12, v12
	v_max_f32_e32 v6, v6, v12
	v_sub_f32_e32 v12, v36, v6
	v_mul_f32_e32 v15, 0x3fb8aa3b, v12
	v_fma_f32 v17, v12, s97, -v15
	v_rndne_f32_e32 v19, v15
	v_fmac_f32_e32 v17, 0x32a5705f, v12
	v_sub_f32_e32 v15, v15, v19
	v_add_f32_e32 v15, v15, v17
	v_cvt_i32_f32_e32 v19, v19
	v_exp_f32_e32 v15, v15
	v_cmp_ngt_f32_e32 vcc, s33, v12
	v_ldexp_f32 v15, v15, v19
	v_cndmask_b32_e32 v15, 0, v15, vcc
	v_cmp_nlt_f32_e32 vcc, s96, v12
	v_cndmask_b32_e32 v12, v118, v15, vcc
	v_mul_f32_e32 v15, v37, v12
	ds_bpermute_b32 v11, v11, v15
	s_waitcnt lgkmcnt(0)
	v_fmac_f32_e32 v11, v37, v12
	ds_bpermute_b32 v13, v13, v11
	s_waitcnt lgkmcnt(0)
	v_add_f32_e32 v13, v11, v13
	ds_write_b64 v7, v[12:13] offset:128
	s_mov_b64 s[26:27], exec
	v_readlane_b32 s28, v159, 51
	v_readlane_b32 s29, v159, 52
	s_and_b64 s[28:29], s[26:27], s[28:29]
	s_mov_b64 exec, s[28:29]
	s_cbranch_execz .LBB0_58
; %bb.57:                               ;   in Loop: Header=BB0_14 Depth=1
	v_mov_b32_e32 v7, v13
	global_store_dwordx2 v[22:23], v[6:7], off
.LBB0_58:                               ;   in Loop: Header=BB0_14 Depth=1
	s_or_b64 exec, exec, s[26:27]
.LBB0_59:                               ;   in Loop: Header=BB0_14 Depth=1
	s_or_b64 exec, exec, s[24:25]
	ds_write2_b32 v66, v2, v1 offset1:1
	ds_write2_b32 v66, v4, v3 offset0:8 offset1:9
	ds_write2_b32 v66, v8, v5 offset0:16 offset1:17
	;; [unrolled: 1-line block ×3, first 2 shown]
	s_waitcnt lgkmcnt(0)
	s_barrier
	s_and_saveexec_b64 s[24:25], s[18:19]
	s_cbranch_execz .LBB0_97
; %bb.60:                               ;   in Loop: Header=BB0_14 Depth=1
	v_add_u32_e32 v2, s67, v67
	v_cmp_gt_i32_e32 vcc, s56, v2
	v_mov_b32_e32 v1, 0x47
	s_and_saveexec_b64 s[26:27], vcc
	s_cbranch_execz .LBB0_62
; %bb.61:                               ;   in Loop: Header=BB0_14 Depth=1
	v_readlane_b32 s28, v159, 41
	v_mul_lo_u32 v1, s28, v2
	v_add_u32_e32 v2, 0, v68
	v_add_u32_e32 v6, 0x80, v2
	ds_read2st64_b32 v[2:3], v6 offset1:9
	ds_read2st64_b32 v[4:5], v83 offset1:9
	ds_read2st64_b32 v[6:7], v6 offset0:18 offset1:27
	ds_read2st64_b32 v[8:9], v83 offset0:18 offset1:27
	v_or_b32_e32 v10, v1, v16
	v_ashrrev_i32_e32 v11, 31, v10
	s_waitcnt lgkmcnt(2)
	v_cvt_f32_f16_sdwa v13, v4 dst_sel:DWORD dst_unused:UNUSED_PAD src0_sel:WORD_1
	v_cvt_f32_f16_e32 v12, v4
	v_cvt_f32_f16_sdwa v37, v5 dst_sel:DWORD dst_unused:UNUSED_PAD src0_sel:WORD_1
	v_cvt_f32_f16_e32 v36, v5
	s_waitcnt lgkmcnt(0)
	v_cvt_f32_f16_sdwa v5, v8 dst_sel:DWORD dst_unused:UNUSED_PAD src0_sel:WORD_1
	v_cvt_f32_f16_e32 v4, v8
	v_cvt_f32_f16_sdwa v39, v9 dst_sel:DWORD dst_unused:UNUSED_PAD src0_sel:WORD_1
	v_cvt_f32_f16_e32 v38, v9
	v_pk_fma_f32 v[12:13], v[2:3], v[12:13], 0 op_sel_hi:[0,1,0]
	v_mov_b32_e32 v2, v3
	v_lshlrev_b64 v[10:11], 3, v[10:11]
	v_readlane_b32 s28, v159, 57
	v_pk_fma_f32 v[2:3], v[2:3], v[36:37], v[12:13] op_sel_hi:[0,1,1]
	v_mov_b32_e32 v1, s28
	v_add_co_u32_e32 v10, vcc, s86, v10
	v_pk_fma_f32 v[2:3], v[6:7], v[4:5], v[2:3] op_sel_hi:[0,1,1]
	v_mov_b32_e32 v4, v7
	v_addc_co_u32_e32 v11, vcc, v1, v11, vcc
	v_pk_fma_f32 v[2:3], v[4:5], v[38:39], v[2:3] op_sel_hi:[0,1,1]
	v_mov_b32_e32 v1, 0
	global_store_dwordx2 v[10:11], v[2:3], off
.LBB0_62:                               ;   in Loop: Header=BB0_14 Depth=1
	s_or_b64 exec, exec, s[26:27]
	s_movk_i32 s26, 0x47
	v_cmp_gt_i32_e32 vcc, s26, v1
	s_mov_b64 s[26:27], -1
	s_and_saveexec_b64 s[28:29], vcc
; %bb.63:                               ;   in Loop: Header=BB0_14 Depth=1
	v_cmp_eq_u32_e32 vcc, 0, v1
	s_orn2_b64 s[26:27], vcc, exec
; %bb.64:                               ;   in Loop: Header=BB0_14 Depth=1
	s_or_b64 exec, exec, s[28:29]
	s_and_b64 exec, exec, s[26:27]
	s_cbranch_execz .LBB0_97
; %bb.65:                               ;   in Loop: Header=BB0_14 Depth=1
	v_add_u32_e32 v2, s67, v69
	v_cmp_gt_i32_e32 vcc, s56, v2
	v_mov_b32_e32 v1, 0x47
	s_and_saveexec_b64 s[26:27], vcc
	s_cbranch_execz .LBB0_67
; %bb.66:                               ;   in Loop: Header=BB0_14 Depth=1
	v_readlane_b32 s28, v159, 41
	v_mul_lo_u32 v1, s28, v2
	v_add_u32_e32 v2, 0, v70
	v_add_u32_e32 v6, 0x80, v2
	ds_read2st64_b32 v[2:3], v6 offset1:9
	ds_read2st64_b32 v[4:5], v84 offset1:9
	ds_read2st64_b32 v[6:7], v6 offset0:18 offset1:27
	ds_read2st64_b32 v[8:9], v84 offset0:18 offset1:27
	v_or_b32_e32 v10, v1, v16
	v_ashrrev_i32_e32 v11, 31, v10
	s_waitcnt lgkmcnt(2)
	v_cvt_f32_f16_sdwa v13, v4 dst_sel:DWORD dst_unused:UNUSED_PAD src0_sel:WORD_1
	v_cvt_f32_f16_e32 v12, v4
	v_cvt_f32_f16_sdwa v37, v5 dst_sel:DWORD dst_unused:UNUSED_PAD src0_sel:WORD_1
	v_cvt_f32_f16_e32 v36, v5
	s_waitcnt lgkmcnt(0)
	v_cvt_f32_f16_sdwa v5, v8 dst_sel:DWORD dst_unused:UNUSED_PAD src0_sel:WORD_1
	v_cvt_f32_f16_e32 v4, v8
	v_cvt_f32_f16_sdwa v39, v9 dst_sel:DWORD dst_unused:UNUSED_PAD src0_sel:WORD_1
	v_cvt_f32_f16_e32 v38, v9
	v_pk_fma_f32 v[12:13], v[2:3], v[12:13], 0 op_sel_hi:[0,1,0]
	v_mov_b32_e32 v2, v3
	v_lshlrev_b64 v[10:11], 3, v[10:11]
	v_readlane_b32 s28, v159, 57
	v_pk_fma_f32 v[2:3], v[2:3], v[36:37], v[12:13] op_sel_hi:[0,1,1]
	v_mov_b32_e32 v1, s28
	v_add_co_u32_e32 v10, vcc, s86, v10
	v_pk_fma_f32 v[2:3], v[6:7], v[4:5], v[2:3] op_sel_hi:[0,1,1]
	v_mov_b32_e32 v4, v7
	v_addc_co_u32_e32 v11, vcc, v1, v11, vcc
	v_pk_fma_f32 v[2:3], v[4:5], v[38:39], v[2:3] op_sel_hi:[0,1,1]
	v_mov_b32_e32 v1, 0
	global_store_dwordx2 v[10:11], v[2:3], off
.LBB0_67:                               ;   in Loop: Header=BB0_14 Depth=1
	s_or_b64 exec, exec, s[26:27]
	s_movk_i32 s26, 0x47
	v_cmp_gt_i32_e32 vcc, s26, v1
	s_mov_b64 s[26:27], -1
	s_and_saveexec_b64 s[28:29], vcc
; %bb.68:                               ;   in Loop: Header=BB0_14 Depth=1
	v_cmp_eq_u32_e32 vcc, 0, v1
	s_orn2_b64 s[26:27], vcc, exec
; %bb.69:                               ;   in Loop: Header=BB0_14 Depth=1
	s_or_b64 exec, exec, s[28:29]
	s_and_b64 exec, exec, s[26:27]
	;; [unrolled: 53-line block ×7, first 2 shown]
	s_cbranch_execz .LBB0_97
; %bb.95:                               ;   in Loop: Header=BB0_14 Depth=1
	v_add_u32_e32 v1, s67, v76
	v_cmp_gt_i32_e32 vcc, s56, v1
	s_and_b64 exec, exec, vcc
	s_cbranch_execz .LBB0_97
; %bb.96:                               ;   in Loop: Header=BB0_14 Depth=1
	v_add_u32_e32 v2, 0, v90
	v_add_u32_e32 v6, 0x80, v2
	ds_read2st64_b32 v[2:3], v6 offset1:9
	ds_read2st64_b32 v[4:5], v91 offset1:9
	ds_read2st64_b32 v[6:7], v6 offset0:18 offset1:27
	ds_read2st64_b32 v[8:9], v91 offset0:18 offset1:27
	v_readlane_b32 s26, v159, 41
	v_mul_lo_u32 v1, s26, v1
	s_waitcnt lgkmcnt(2)
	v_cvt_f32_f16_sdwa v13, v4 dst_sel:DWORD dst_unused:UNUSED_PAD src0_sel:WORD_1
	v_cvt_f32_f16_e32 v12, v4
	v_cvt_f32_f16_sdwa v37, v5 dst_sel:DWORD dst_unused:UNUSED_PAD src0_sel:WORD_1
	v_cvt_f32_f16_e32 v36, v5
	s_waitcnt lgkmcnt(0)
	v_cvt_f32_f16_sdwa v5, v8 dst_sel:DWORD dst_unused:UNUSED_PAD src0_sel:WORD_1
	v_cvt_f32_f16_e32 v4, v8
	v_or_b32_e32 v10, v1, v16
	v_cvt_f32_f16_sdwa v39, v9 dst_sel:DWORD dst_unused:UNUSED_PAD src0_sel:WORD_1
	v_cvt_f32_f16_e32 v38, v9
	v_ashrrev_i32_e32 v11, 31, v10
	v_pk_fma_f32 v[12:13], v[2:3], v[12:13], 0 op_sel_hi:[0,1,0]
	v_mov_b32_e32 v2, v3
	v_lshlrev_b64 v[10:11], 3, v[10:11]
	v_readlane_b32 s26, v159, 57
	v_pk_fma_f32 v[2:3], v[2:3], v[36:37], v[12:13] op_sel_hi:[0,1,1]
	v_mov_b32_e32 v1, s26
	v_add_co_u32_e32 v10, vcc, s86, v10
	v_pk_fma_f32 v[2:3], v[6:7], v[4:5], v[2:3] op_sel_hi:[0,1,1]
	v_mov_b32_e32 v4, v7
	v_addc_co_u32_e32 v11, vcc, v1, v11, vcc
	v_pk_fma_f32 v[2:3], v[4:5], v[38:39], v[2:3] op_sel_hi:[0,1,1]
	global_store_dwordx2 v[10:11], v[2:3], off
.LBB0_97:                               ;   in Loop: Header=BB0_14 Depth=1
	s_or_b64 exec, exec, s[24:25]
	s_barrier
	s_branch .LBB0_13
.LBB0_98:                               ;   in Loop: Header=BB0_14 Depth=1
	s_lshl_b32 s83, s83, 4
	v_add_u32_e32 v1, s83, v33
	v_cmp_le_i32_e32 vcc, s56, v1
	s_and_saveexec_b64 s[24:25], vcc
	s_xor_b64 s[24:25], exec, s[24:25]
	s_cbranch_execz .LBB0_100
; %bb.99:                               ;   in Loop: Header=BB0_14 Depth=1
	ds_write_b32 v82, v100
                                        ; implicit-def: $vgpr1
.LBB0_100:                              ;   in Loop: Header=BB0_14 Depth=1
	s_andn2_saveexec_b64 s[24:25], s[24:25]
	s_cbranch_execz .LBB0_102
; %bb.101:                              ;   in Loop: Header=BB0_14 Depth=1
	v_readlane_b32 s26, v159, 16
	v_mad_u64_u32 v[2:3], s[26:27], v1, s26, v[16:17]
	v_ashrrev_i32_e32 v3, 31, v2
	v_lshlrev_b64 v[2:3], 3, v[2:3]
	v_mov_b32_e32 v1, s79
	v_add_co_u32_e32 v2, vcc, s78, v2
	v_addc_co_u32_e32 v3, vcc, v1, v3, vcc
	global_load_dwordx2 v[2:3], v[2:3], off
	s_waitcnt vmcnt(0)
	v_cvt_f16_f32_e32 v1, v2
	v_cvt_f16_f32_e32 v2, v3
	v_pack_b32_f16 v1, v1, v2
	v_pk_mul_f16 v1, v21, v1
	ds_write_b32 v82, v1
.LBB0_102:                              ;   in Loop: Header=BB0_14 Depth=1
	s_or_b64 exec, exec, s[24:25]
	v_add_u32_e32 v1, s83, v115
	v_cmp_le_i32_e32 vcc, s56, v1
	s_and_saveexec_b64 s[24:25], vcc
	s_xor_b64 s[24:25], exec, s[24:25]
	s_cbranch_execz .LBB0_104
; %bb.103:                              ;   in Loop: Header=BB0_14 Depth=1
	ds_write_b32 v82, v100 offset:1152
                                        ; implicit-def: $vgpr1
.LBB0_104:                              ;   in Loop: Header=BB0_14 Depth=1
	s_andn2_saveexec_b64 s[24:25], s[24:25]
	s_cbranch_execz .LBB0_106
; %bb.105:                              ;   in Loop: Header=BB0_14 Depth=1
	v_readlane_b32 s26, v159, 16
	v_mad_u64_u32 v[2:3], s[26:27], v1, s26, v[16:17]
	v_ashrrev_i32_e32 v3, 31, v2
	v_lshlrev_b64 v[2:3], 3, v[2:3]
	v_mov_b32_e32 v1, s79
	v_add_co_u32_e32 v2, vcc, s78, v2
	v_addc_co_u32_e32 v3, vcc, v1, v3, vcc
	global_load_dwordx2 v[2:3], v[2:3], off
	s_waitcnt vmcnt(0)
	v_cvt_f16_f32_e32 v1, v2
	v_cvt_f16_f32_e32 v2, v3
	v_pack_b32_f16 v1, v1, v2
	v_pk_mul_f16 v1, v21, v1
	ds_write_b32 v82, v1 offset:1152
.LBB0_106:                              ;   in Loop: Header=BB0_14 Depth=1
	s_or_b64 exec, exec, s[24:25]
	s_waitcnt lgkmcnt(0)
	s_barrier
	ds_read2_b64 v[6:9], v55 offset1:4
	ds_read2_b64 v[2:5], v55 offset0:8 offset1:12
	s_mov_b32 s30, 0
	s_cmp_lt_i32 s93, 2
	v_mov_b32_e32 v121, 0
	s_waitcnt lgkmcnt(0)
	s_barrier
	s_cbranch_scc1 .LBB0_115
; %bb.107:                              ;   in Loop: Header=BB0_14 Depth=1
	v_add_u32_e32 v1, s83, v47
	v_mul_hi_u32 v10, s60, v1
	v_add_u32_e32 v10, v1, v10
	v_lshrrev_b32_e32 v10, s61, v10
	v_mul_lo_u32 v10, v10, s56
	v_sub_u32_e32 v1, v1, v10
	v_add_u32_e32 v10, s83, v101
	v_mul_hi_u32 v11, s60, v10
	v_add_u32_e32 v11, v10, v11
	v_lshrrev_b32_e32 v11, s61, v11
	v_mul_lo_u32 v11, v11, s56
	v_sub_u32_e32 v12, v10, v11
	;; [unrolled: 6-line block ×4, first 2 shown]
	v_and_b32_e32 v10, 64, v120
	v_add_u32_e32 v10, 64, v10
	v_xor_b32_e32 v11, 32, v120
	v_cmp_lt_i32_e32 vcc, v11, v10
	v_cndmask_b32_e32 v11, v120, v11, vcc
	s_add_i32 s30, s93, -1
	v_lshlrev_b32_e32 v129, 2, v11
	v_xor_b32_e32 v11, 16, v120
	s_cmp_lg_u64 s[64:65], 0
	v_cmp_lt_i32_e32 vcc, v11, v10
	s_cselect_b64 s[26:27], -1, 0
	v_cndmask_b32_e32 v10, v120, v11, vcc
	v_readlane_b32 s24, v159, 55
	s_add_u32 s20, s20, s21
	v_lshlrev_b32_e32 v130, 2, v10
	v_pk_mov_b32 v[10:11], s[64:65], s[64:65] op_sel:[0,1]
	v_readlane_b32 s25, v159, 56
	s_mov_b32 s28, s24
	s_addc_u32 s21, s88, s82
	v_mad_i64_i32 v[44:45], s[24:25], s28, v1, v[10:11]
	v_mov_b32_e32 v1, s21
	v_add_co_u32_e32 v46, vcc, s20, v92
	v_addc_co_u32_e32 v1, vcc, v93, v1, vcc
	v_mad_i64_i32 v[38:39], s[24:25], s28, v15, v[10:11]
	v_mad_i64_i32 v[40:41], s[24:25], s28, v13, v[10:11]
	;; [unrolled: 1-line block ×3, first 2 shown]
	v_mov_b32_e32 v10, s21
	v_add_co_u32_e32 v48, vcc, s20, v94
	s_add_u32 s20, s23, s73
	v_addc_co_u32_e32 v15, vcc, v95, v10, vcc
	s_addc_u32 s21, s22, s85
	v_mov_b32_e32 v10, s21
	v_add_co_u32_e32 v50, vcc, s20, v96
	v_addc_co_u32_e32 v17, vcc, v97, v10, vcc
	v_add_co_u32_e32 v52, vcc, s20, v98
	v_mov_b32_e32 v122, 0
	v_mov_b32_e32 v36, v34
	v_mov_b32_e32 v37, v34
	v_addc_co_u32_e32 v19, vcc, v99, v10, vcc
	v_mov_b32_e32 v131, 0
	v_mov_b32_e32 v132, 0xfeffffff
	s_mov_b32 s20, s30
	v_mov_b32_e32 v125, 0
	v_mov_b32_e32 v124, 0
	;; [unrolled: 1-line block ×7, first 2 shown]
	v_cndmask_b32_e64 v10, 0, 1, s[26:27]
	v_cmp_ne_u32_e64 s[24:25], 1, v10
	s_andn2_b64 vcc, exec, s[26:27]
	s_cbranch_vccnz .LBB0_111
.LBB0_108:                              ;   in Loop: Header=BB0_14 Depth=1
	v_mov_b32_e32 v10, 0
	v_mov_b32_e32 v11, 0
	;; [unrolled: 1-line block ×4, first 2 shown]
	s_and_saveexec_b64 s[28:29], s[4:5]
	s_cbranch_execz .LBB0_110
; %bb.109:                              ;   in Loop: Header=BB0_14 Depth=1
	v_add_co_u32_e32 v10, vcc, v44, v18
	v_addc_co_u32_e32 v11, vcc, 0, v45, vcc
	v_add_co_u32_e32 v12, vcc, v42, v18
	v_addc_co_u32_e32 v13, vcc, 0, v43, vcc
	flat_load_ushort v10, v[10:11]
	s_nop 0
	flat_load_ushort v11, v[12:13]
	v_add_co_u32_e32 v12, vcc, v40, v18
	v_addc_co_u32_e32 v13, vcc, 0, v41, vcc
	v_add_co_u32_e32 v134, vcc, v38, v18
	v_addc_co_u32_e32 v135, vcc, 0, v39, vcc
	flat_load_ushort v12, v[12:13]
	s_nop 0
	flat_load_ushort v13, v[134:135]
.LBB0_110:                              ;   in Loop: Header=BB0_14 Depth=1
	s_or_b64 exec, exec, s[28:29]
	s_waitcnt vmcnt(0) lgkmcnt(0)
	ds_write_b16 v56, v10 offset:9216
	ds_write_b16 v102, v11 offset:9216
	;; [unrolled: 1-line block ×4, first 2 shown]
.LBB0_111:                              ;   Parent Loop BB0_14 Depth=1
                                        ; =>  This Inner Loop Header: Depth=2
	v_add_co_u32_e32 v10, vcc, v50, v32
	v_addc_co_u32_e32 v11, vcc, 0, v17, vcc
	v_mov_b32_e32 v35, s99
	v_mov_b32_e32 v133, s98
	buffer_store_dword v100, off, s[0:3], 0
	buffer_store_dword v100, off, s[0:3], 0 offset:4
	buffer_store_dword v100, off, s[0:3], 0 offset:8
	;; [unrolled: 1-line block ×3, first 2 shown]
	v_cndmask_b32_e64 v11, v35, v11, s[6:7]
	v_cndmask_b32_e64 v10, v133, v10, s[6:7]
	flat_load_dwordx4 v[10:13], v[10:11]
	v_add_co_u32_e32 v134, vcc, v52, v32
	v_addc_co_u32_e32 v135, vcc, 0, v19, vcc
	v_cndmask_b32_e64 v134, v133, v134, s[34:35]
	v_cndmask_b32_e64 v135, v35, v135, s[34:35]
	s_and_b64 vcc, exec, s[24:25]
	s_waitcnt vmcnt(0) lgkmcnt(0)
	ds_write_b128 v58, v[10:13]
	flat_load_dwordx4 v[10:13], v[134:135]
	s_waitcnt vmcnt(0) lgkmcnt(0)
	ds_write_b128 v108, v[10:13]
	s_waitcnt lgkmcnt(0)
	s_barrier
	ds_read2_b64 v[10:13], v59 offset1:4
	s_waitcnt lgkmcnt(0)
	v_mfma_f32_16x16x16f16 v[134:137], v[10:11], v[6:7], 0
	v_mfma_f32_16x16x16f16 v[10:13], v[12:13], v[8:9], v[134:137]
	s_nop 7
	s_nop 1
	ds_read2_b64 v[134:137], v59 offset0:8 offset1:12
	s_waitcnt lgkmcnt(0)
	v_mfma_f32_16x16x16f16 v[10:13], v[134:135], v[2:3], v[10:13]
	s_barrier
	v_mfma_f32_16x16x16f16 v[10:13], v[136:137], v[4:5], v[10:13]
	s_cbranch_vccnz .LBB0_113
; %bb.112:                              ;   in Loop: Header=BB0_111 Depth=2
	v_add_u32_e32 v35, 0x2400, v61
	ds_read2_b32 v[134:135], v35 offset1:1
	v_mov_b32_e32 v35, v34
	s_waitcnt lgkmcnt(0)
	v_cvt_f32_f16_e32 v136, v134
	v_cvt_f32_f16_e32 v138, v135
	v_cvt_f32_f16_sdwa v139, v135 dst_sel:DWORD dst_unused:UNUSED_PAD src0_sel:WORD_1
	v_cvt_f32_f16_sdwa v137, v134 dst_sel:DWORD dst_unused:UNUSED_PAD src0_sel:WORD_1
	s_nop 1
	v_pk_fma_f32 v[12:13], v[34:35], v[138:139], v[12:13]
	v_pk_fma_f32 v[10:11], v[36:37], v[136:137], v[10:11]
.LBB0_113:                              ;   in Loop: Header=BB0_111 Depth=2
	v_add_co_u32_e32 v35, vcc, v46, v32
	v_addc_co_u32_e32 v133, vcc, 0, v1, vcc
	v_mov_b32_e32 v139, s99
	v_cndmask_b32_e64 v135, v139, v133, s[6:7]
	v_mov_b32_e32 v133, s98
	buffer_store_dword v100, off, s[0:3], 0
	buffer_store_dword v100, off, s[0:3], 0 offset:4
	buffer_store_dword v100, off, s[0:3], 0 offset:8
	;; [unrolled: 1-line block ×3, first 2 shown]
	v_cndmask_b32_e64 v134, v133, v35, s[6:7]
	flat_load_dwordx4 v[134:137], v[134:135]
	v_add_f32_e32 v138, 0x40051340, v10
	v_max_f32_e32 v140, v132, v132
	v_add_f32_e32 v143, 0x40051340, v13
	v_cndmask_b32_e64 v144, v13, v13, s[12:13]
	v_max_f32_e32 v13, v140, v138
	v_cndmask_b32_e64 v13, v132, v13, s[10:11]
	v_add_f32_e32 v141, 0x40051340, v11
	v_max_f32_e32 v138, v13, v13
	v_max_f32_e32 v138, v138, v141
	v_cndmask_b32_e64 v13, v13, v138, s[12:13]
	v_add_f32_e32 v142, 0x40051340, v12
	v_max_f32_e32 v138, v13, v13
	v_max_f32_e32 v138, v138, v142
	v_cndmask_b32_e64 v13, v13, v138, s[14:15]
	v_max_f32_e32 v138, v13, v13
	v_max_f32_e32 v138, v138, v143
	v_cndmask_b32_e64 v140, v13, v138, s[16:17]
	ds_bpermute_b32 v141, v129, v140
	v_cndmask_b32_e64 v142, v12, v12, s[12:13]
	v_max_f32_e32 v12, v140, v140
	v_mov_b32_e32 v35, s89
	v_mov_b32_e32 v138, s89
	s_waitcnt lgkmcnt(0)
	v_max_f32_e32 v140, v141, v141
	v_max_f32_e32 v12, v12, v140
	ds_bpermute_b32 v143, v130, v12
	v_add_co_u32_e32 v140, vcc, v48, v32
	v_cndmask_b32_e64 v140, v133, v140, s[34:35]
	v_addc_co_u32_e32 v141, vcc, 0, v15, vcc
	s_waitcnt lgkmcnt(0)
	v_max_f32_e32 v133, v143, v143
	v_max_f32_e32 v12, v12, v133
	v_sub_f32_e32 v10, v10, v12
	v_sub_f32_e32 v11, v11, v12
	v_sub_f32_e32 v143, v132, v12
	v_mul_f32_e32 v132, 0x3fb8aa3b, v10
	v_mul_f32_e32 v133, 0x3fb8aa3b, v11
	v_cndmask_b32_e64 v141, v139, v141, s[34:35]
	v_rndne_f32_e32 v148, v132
	v_rndne_f32_e32 v150, v133
	v_fma_f32 v147, v10, s97, -v132
	v_fma_f32 v149, v11, s97, -v133
	v_sub_f32_e32 v157, v132, v148
	v_sub_f32_e32 v158, v133, v150
	;; [unrolled: 1-line block ×4, first 2 shown]
	v_mul_f32_e32 v144, 0x3fb8aa3b, v139
	v_mul_f32_e32 v145, 0x3fb8aa3b, v142
	v_fma_f32 v151, v139, s97, -v144
	v_rndne_f32_e32 v152, v144
	v_fma_f32 v153, v142, s97, -v145
	v_rndne_f32_e32 v154, v145
	v_fmac_f32_e32 v147, 0x32a5705f, v10
	v_fmac_f32_e32 v149, 0x32a5705f, v11
	;; [unrolled: 1-line block ×4, first 2 shown]
	v_add_f32_e32 v147, v157, v147
	v_mul_f32_e32 v146, 0x3fb8aa3b, v143
	v_cvt_i32_f32_e32 v148, v148
	v_add_f32_e32 v149, v158, v149
	v_exp_f32_e32 v147, v147
	v_fma_f32 v155, v143, s97, -v146
	v_rndne_f32_e32 v156, v146
	v_exp_f32_e32 v149, v149
	v_fmac_f32_e32 v155, 0x32a5705f, v143
	v_ldexp_f32 v147, v147, v148
	v_cmp_ngt_f32_e32 vcc, s33, v10
	v_mov_b32_e32 v13, s89
	s_add_i32 s20, s20, -1
	s_cmp_lg_u32 s20, 0
	s_waitcnt vmcnt(0)
	ds_write_b128 v58, v[134:137]
	flat_load_dwordx4 v[132:135], v[140:141]
	v_sub_f32_e32 v137, v144, v152
	v_sub_f32_e32 v141, v145, v154
	v_add_f32_e32 v137, v137, v151
	v_add_f32_e32 v141, v141, v153
	v_cvt_i32_f32_e32 v136, v150
	v_cvt_i32_f32_e32 v140, v152
	;; [unrolled: 1-line block ×3, first 2 shown]
	v_exp_f32_e32 v137, v137
	v_exp_f32_e32 v141, v141
	v_sub_f32_e32 v145, v146, v156
	v_add_f32_e32 v145, v145, v155
	v_cvt_i32_f32_e32 v146, v156
	v_exp_f32_e32 v145, v145
	v_ldexp_f32 v136, v149, v136
	v_ldexp_f32 v137, v137, v140
	;; [unrolled: 1-line block ×3, first 2 shown]
	v_cndmask_b32_e32 v144, 0, v147, vcc
	v_cmp_ngt_f32_e32 vcc, s33, v11
	v_cndmask_b32_e32 v136, 0, v136, vcc
	v_cmp_ngt_f32_e32 vcc, s33, v139
	;; [unrolled: 2-line block ×3, first 2 shown]
	v_ldexp_f32 v141, v145, v146
	v_cndmask_b32_e32 v140, 0, v140, vcc
	v_cmp_ngt_f32_e32 vcc, s33, v143
	v_cndmask_b32_e32 v141, 0, v141, vcc
	v_cmp_nlt_f32_e32 vcc, s96, v10
	v_cndmask_b32_e32 v10, v118, v144, vcc
	v_cmp_nlt_f32_e32 vcc, s96, v11
	;; [unrolled: 2-line block ×5, first 2 shown]
	v_cndmask_b32_e32 v139, v118, v141, vcc
	v_cndmask_b32_e64 v10, 0, v10, s[10:11]
	v_cmp_le_f32_e32 vcc, s91, v143
	v_cndmask_b32_e64 v35, v35, v11, s[12:13]
	v_cndmask_b32_e64 v138, v138, v136, s[14:15]
	;; [unrolled: 1-line block ×3, first 2 shown]
	v_cndmask_b32_e32 v140, 0, v139, vcc
	v_add_f32_e32 v11, v11, v10
	v_cvt_f16_f32_e32 v139, v140
	v_cvt_f16_f32_e32 v141, v10
	;; [unrolled: 1-line block ×5, first 2 shown]
	v_cndmask_b32_e64 v10, v10, v11, s[12:13]
	v_add_f32_e32 v11, v10, v136
	v_cndmask_b32_e64 v10, v10, v11, s[14:15]
	v_add_f32_e32 v11, v10, v137
	v_pk_mul_f16 v143, v139, v127 op_sel_hi:[0,1]
	v_pk_mul_f16 v144, v139, v126 op_sel_hi:[0,1]
	v_pack_b32_f16 v126, v141, v35
	v_pack_b32_f16 v127, v138, v13
	v_cndmask_b32_e64 v10, v10, v11, s[16:17]
	v_pk_mul_f16 v136, v139, v122 op_sel_hi:[0,1]
	v_pk_mul_f16 v125, v139, v125 op_sel_hi:[0,1]
	;; [unrolled: 1-line block ×6, first 2 shown]
	v_cvt_f32_f16_e32 v122, v136
	v_cvt_f32_f16_sdwa v123, v136 dst_sel:DWORD dst_unused:UNUSED_PAD src0_sel:WORD_1
	v_cvt_f32_f16_e32 v124, v125
	v_cvt_f32_f16_sdwa v125, v125 dst_sel:DWORD dst_unused:UNUSED_PAD src0_sel:WORD_1
	v_cvt_f32_f16_e32 v136, v137
	v_cvt_f32_f16_sdwa v137, v137 dst_sel:DWORD dst_unused:UNUSED_PAD src0_sel:WORD_1
	v_cvt_f32_f16_e32 v138, v142
	v_fmac_f32_e32 v10, v131, v140
	v_add_co_u32_e32 v38, vcc, s92, v38
	v_addc_co_u32_e32 v39, vcc, 0, v39, vcc
	v_add_co_u32_e32 v40, vcc, s92, v40
	v_addc_co_u32_e32 v41, vcc, 0, v41, vcc
	s_waitcnt vmcnt(0) lgkmcnt(0)
	ds_write_b128 v108, v[132:135]
	s_waitcnt lgkmcnt(0)
	s_barrier
	ds_read_u16 v11, v63 offset:144
	ds_read_u16 v13, v63 offset:288
	ds_read_u16 v35, v64
	ds_read_u16 v134, v64 offset:32
	ds_read_u16 v132, v62
	ds_read_u16 v135, v62 offset:32
	ds_read_u16 v141, v62 offset:64
	;; [unrolled: 1-line block ×3, first 2 shown]
	s_waitcnt lgkmcnt(5)
	v_perm_b32 v133, v35, v13, s57
	s_waitcnt lgkmcnt(3)
	v_perm_b32 v132, v11, v132, s57
	ds_read_u16 v11, v110 offset:144
	ds_read_u16 v13, v110 offset:288
	;; [unrolled: 1-line block ×7, first 2 shown]
	v_mfma_f32_16x16x16f16 v[122:125], v[132:133], v[126:127], v[122:125]
	s_waitcnt lgkmcnt(1)
	v_perm_b32 v133, v134, v139, s57
	s_waitcnt lgkmcnt(0)
	v_perm_b32 v132, v148, v135, s57
	v_cvt_f32_f16_sdwa v139, v142 dst_sel:DWORD dst_unused:UNUSED_PAD src0_sel:WORD_1
	ds_read_u16 v149, v64 offset:96
	v_perm_b32 v140, v35, v145, s57
	v_add_co_u32_e32 v42, vcc, s92, v42
	v_mfma_f32_16x16x16f16 v[132:135], v[132:133], v[126:127], v[136:139]
	s_nop 1
	v_cvt_f16_f32_e32 v122, v122
	v_cvt_f16_f32_e32 v123, v123
	;; [unrolled: 1-line block ×4, first 2 shown]
	v_addc_co_u32_e32 v43, vcc, 0, v43, vcc
	v_perm_b32 v137, v147, v13, s57
	v_perm_b32 v136, v11, v141, s57
	v_pack_b32_f16 v122, v122, v123
	s_nop 0
	v_cvt_f16_f32_e32 v123, v132
	v_cvt_f16_f32_e32 v131, v133
	;; [unrolled: 1-line block ×4, first 2 shown]
	v_cvt_f32_f16_e32 v132, v128
	v_cvt_f32_f16_sdwa v133, v128 dst_sel:DWORD dst_unused:UNUSED_PAD src0_sel:WORD_1
	v_cvt_f32_f16_e32 v134, v143
	v_cvt_f32_f16_sdwa v135, v143 dst_sel:DWORD dst_unused:UNUSED_PAD src0_sel:WORD_1
	s_waitcnt lgkmcnt(0)
	v_perm_b32 v141, v149, v146, s57
	v_pack_b32_f16 v125, v124, v125
	v_mfma_f32_16x16x16f16 v[132:135], v[136:137], v[126:127], v[132:135]
	v_pack_b32_f16 v124, v123, v131
	v_pack_b32_f16 v123, v138, v139
	v_cvt_f32_f16_e32 v136, v144
	v_cvt_f32_f16_sdwa v137, v144 dst_sel:DWORD dst_unused:UNUSED_PAD src0_sel:WORD_1
	v_cvt_f32_f16_e32 v138, v121
	v_cvt_f32_f16_sdwa v139, v121 dst_sel:DWORD dst_unused:UNUSED_PAD src0_sel:WORD_1
	v_add_co_u32_e32 v44, vcc, s92, v44
	s_nop 3
	v_cvt_f16_f32_e32 v11, v132
	v_cvt_f16_f32_e32 v13, v133
	;; [unrolled: 1-line block ×4, first 2 shown]
	v_mfma_f32_16x16x16f16 v[132:135], v[140:141], v[126:127], v[136:139]
	v_addc_co_u32_e32 v45, vcc, 0, v45, vcc
	v_pack_b32_f16 v128, v11, v13
	v_mov_b32_e32 v11, s77
	v_add_co_u32_e32 v46, vcc, s76, v46
	v_addc_co_u32_e32 v1, vcc, v1, v11, vcc
	v_add_co_u32_e32 v48, vcc, s76, v48
	s_nop 4
	v_cvt_f16_f32_e32 v126, v132
	v_cvt_f16_f32_e32 v131, v133
	;; [unrolled: 1-line block ×4, first 2 shown]
	v_addc_co_u32_e32 v15, vcc, v15, v11, vcc
	v_mov_b32_e32 v11, s9
	v_add_co_u32_e32 v50, vcc, s8, v50
	v_addc_co_u32_e32 v17, vcc, v17, v11, vcc
	v_add_co_u32_e32 v52, vcc, s8, v52
	v_pack_b32_f16 v127, v35, v121
	v_pack_b32_f16 v126, v126, v131
	;; [unrolled: 1-line block ×3, first 2 shown]
	v_addc_co_u32_e32 v19, vcc, v19, v11, vcc
	s_barrier
	s_cbranch_scc0 .LBB0_116
; %bb.114:                              ;   in Loop: Header=BB0_111 Depth=2
	v_mov_b32_e32 v131, v10
	v_mov_b32_e32 v132, v12
	v_cndmask_b32_e64 v10, 0, 1, s[26:27]
	v_cmp_ne_u32_e64 s[24:25], 1, v10
	s_andn2_b64 vcc, exec, s[26:27]
	s_cbranch_vccz .LBB0_108
	s_branch .LBB0_111
.LBB0_115:                              ;   in Loop: Header=BB0_14 Depth=1
	v_mov_b32_e32 v10, 0
	v_mov_b32_e32 v12, 0xfeffffff
	;; [unrolled: 1-line block ×9, first 2 shown]
.LBB0_116:                              ;   in Loop: Header=BB0_14 Depth=1
	s_lshl_b32 s88, s30, 6
	v_readlane_b32 s20, v159, 3
	s_sub_i32 s20, s20, s88
	s_cmp_lg_u64 s[64:65], 0
	s_cselect_b64 s[28:29], -1, 0
	s_cmp_eq_u64 s[64:65], 0
	v_readlane_b32 s21, v159, 4
	s_cbranch_scc1 .LBB0_122
; %bb.117:                              ;   in Loop: Header=BB0_14 Depth=1
	v_cmp_le_i32_e32 vcc, s20, v14
                                        ; implicit-def: $sgpr21
	s_and_saveexec_b64 s[22:23], vcc
	s_xor_b64 s[24:25], exec, s[22:23]
	s_cbranch_execz .LBB0_119
; %bb.118:                              ;   in Loop: Header=BB0_14 Depth=1
	ds_write_b16 v56, v100 offset:9216
	ds_write_b16 v102, v100 offset:9216
	s_mov_b32 s21, 0
.LBB0_119:                              ;   in Loop: Header=BB0_14 Depth=1
	s_or_saveexec_b64 s[24:25], s[24:25]
	v_mov_b32_e32 v1, s21
	v_mov_b32_e32 v11, s21
	s_xor_b64 exec, exec, s[24:25]
	s_cbranch_execz .LBB0_121
; %bb.120:                              ;   in Loop: Header=BB0_14 Depth=1
	v_add_u32_e32 v13, s83, v47
	s_lshl_b64 s[22:23], s[88:89], 1
	v_mul_hi_u32 v15, s60, v13
	s_add_u32 s21, s64, s22
	v_add_u32_e32 v15, v13, v15
	s_addc_u32 s22, s65, s23
	v_lshrrev_b32_e32 v15, s61, v15
	v_mov_b32_e32 v11, s22
	v_mul_lo_u32 v15, v15, s56
	v_readlane_b32 s22, v159, 53
	v_sub_u32_e32 v13, v13, v15
	v_readlane_b32 s23, v159, 54
	s_mov_b32 s26, s22
	v_mad_i64_i32 v[36:37], s[22:23], v13, s26, 0
	v_add_u32_e32 v13, s83, v101
	v_mul_hi_u32 v15, s60, v13
	v_add_u32_e32 v15, v13, v15
	v_lshlrev_b32_e32 v1, 1, v14
	v_lshrrev_b32_e32 v15, s61, v15
	v_add_co_u32_e32 v1, vcc, s21, v1
	v_mul_lo_u32 v15, v15, s56
	v_addc_co_u32_e32 v11, vcc, 0, v11, vcc
	v_lshlrev_b64 v[36:37], 1, v[36:37]
	v_sub_u32_e32 v13, v13, v15
	v_add_co_u32_e32 v36, vcc, v1, v36
	v_mad_i64_i32 v[38:39], s[22:23], v13, s26, 0
	v_addc_co_u32_e32 v37, vcc, v11, v37, vcc
	v_lshlrev_b64 v[38:39], 1, v[38:39]
	v_add_co_u32_e32 v38, vcc, v1, v38
	v_addc_co_u32_e32 v39, vcc, v11, v39, vcc
	flat_load_ushort v13, v[36:37]
	flat_load_ushort v15, v[38:39]
	v_add_u32_e32 v17, s83, v103
	v_add_u32_e32 v19, s83, v105
	v_mul_hi_u32 v35, s60, v17
	v_mul_hi_u32 v36, s60, v19
	v_add_u32_e32 v35, v17, v35
	v_add_u32_e32 v36, v19, v36
	v_lshrrev_b32_e32 v35, s61, v35
	v_lshrrev_b32_e32 v36, s61, v36
	v_mul_lo_u32 v35, v35, s56
	v_mul_lo_u32 v36, v36, s56
	v_sub_u32_e32 v17, v17, v35
	v_sub_u32_e32 v19, v19, v36
	v_mad_i64_i32 v[36:37], s[22:23], v17, s26, 0
	v_lshlrev_b64 v[36:37], 1, v[36:37]
	v_mad_i64_i32 v[38:39], s[22:23], v19, s26, 0
	v_add_co_u32_e32 v36, vcc, v1, v36
	v_lshlrev_b64 v[38:39], 1, v[38:39]
	v_addc_co_u32_e32 v37, vcc, v11, v37, vcc
	v_add_co_u32_e32 v38, vcc, v1, v38
	v_addc_co_u32_e32 v39, vcc, v11, v39, vcc
	s_waitcnt vmcnt(0) lgkmcnt(0)
	ds_write_b16 v56, v13 offset:9216
	ds_write_b16 v102, v15 offset:9216
	flat_load_ushort v1, v[36:37]
	flat_load_ushort v11, v[38:39]
.LBB0_121:                              ;   in Loop: Header=BB0_14 Depth=1
	s_or_b64 exec, exec, s[24:25]
	s_waitcnt vmcnt(0) lgkmcnt(0)
	ds_write_b16 v104, v1 offset:9216
	ds_write_b16 v106, v11 offset:9216
.LBB0_122:                              ;   in Loop: Header=BB0_14 Depth=1
	s_mul_i32 s21, s88, s59
	s_mul_hi_u32 s22, s88, s58
	s_add_i32 s23, s22, s21
	s_mul_i32 s22, s88, s58
	s_lshl_b64 s[22:23], s[22:23], 2
	s_add_u32 s21, s84, s22
	s_addc_u32 s22, s81, s23
	v_mov_b32_e32 v1, s22
	v_add_co_u32_e32 v11, vcc, s21, v28
	v_addc_co_u32_e32 v13, vcc, v1, v29, vcc
	v_lshlrev_b32_e32 v1, 2, v20
	v_add_co_u32_e32 v11, vcc, v11, v1
	v_addc_co_u32_e32 v13, vcc, 0, v13, vcc
	v_mov_b32_e32 v15, s99
	v_cmp_gt_i32_e64 s[26:27], s20, v57
	v_cndmask_b32_e64 v37, v15, v13, s[26:27]
	v_mov_b32_e32 v13, s98
	buffer_store_dword v100, off, s[0:3], 0
	buffer_store_dword v100, off, s[0:3], 0 offset:4
	buffer_store_dword v100, off, s[0:3], 0 offset:8
	;; [unrolled: 1-line block ×3, first 2 shown]
	v_cndmask_b32_e64 v36, v13, v11, s[26:27]
	flat_load_dwordx4 v[36:39], v[36:37]
	v_mov_b32_e32 v11, s22
	v_add_co_u32_e32 v17, vcc, s21, v30
	v_addc_co_u32_e32 v11, vcc, v11, v31, vcc
	v_add_co_u32_e32 v17, vcc, v17, v1
	v_addc_co_u32_e32 v11, vcc, 0, v11, vcc
	v_cmp_gt_i32_e64 s[24:25], s20, v107
	v_cndmask_b32_e64 v40, v13, v17, s[24:25]
	v_cndmask_b32_e64 v41, v15, v11, s[24:25]
	s_andn2_b64 vcc, exec, s[28:29]
	s_waitcnt vmcnt(0) lgkmcnt(0)
	ds_write_b128 v58, v[36:39]
	flat_load_dwordx4 v[36:39], v[40:41]
	s_waitcnt vmcnt(0) lgkmcnt(0)
	ds_write_b128 v108, v[36:39]
	s_waitcnt lgkmcnt(0)
	s_barrier
	ds_read2_b64 v[36:39], v59 offset1:4
	s_waitcnt lgkmcnt(0)
	v_mfma_f32_16x16x16f16 v[40:43], v[36:37], v[6:7], 0
	v_mfma_f32_16x16x16f16 v[6:9], v[38:39], v[8:9], v[40:43]
	ds_read2_b64 v[36:39], v59 offset0:8 offset1:12
	s_waitcnt lgkmcnt(0)
	s_barrier
	v_mfma_f32_16x16x16f16 v[6:9], v[36:37], v[2:3], v[6:9]
	v_mfma_f32_16x16x16f16 v[2:5], v[38:39], v[4:5], v[6:9]
	s_cbranch_vccnz .LBB0_124
; %bb.123:                              ;   in Loop: Header=BB0_14 Depth=1
	s_nop 7
	s_nop 0
	v_add_u32_e32 v6, 0x2400, v61
	ds_read2_b32 v[6:7], v6 offset1:1
	s_waitcnt lgkmcnt(0)
	v_cvt_f32_f16_e32 v8, v6
	v_cvt_f32_f16_e32 v36, v7
	v_cvt_f32_f16_sdwa v37, v7 dst_sel:DWORD dst_unused:UNUSED_PAD src0_sel:WORD_1
	v_cvt_f32_f16_sdwa v9, v6 dst_sel:DWORD dst_unused:UNUSED_PAD src0_sel:WORD_1
	v_pk_fma_f32 v[4:5], v[34:35], v[36:37], v[4:5] op_sel_hi:[0,1,1]
	v_pk_fma_f32 v[2:3], v[34:35], v[8:9], v[2:3] op_sel_hi:[0,1,1]
.LBB0_124:                              ;   in Loop: Header=BB0_14 Depth=1
	s_mul_i32 s21, s88, s39
	s_mul_hi_u32 s22, s88, s38
	s_add_i32 s23, s22, s21
	s_mul_i32 s22, s88, s38
	s_lshl_b64 s[22:23], s[22:23], 2
	s_add_u32 s21, s94, s22
	s_addc_u32 s22, s95, s23
	s_nop 1
	v_mov_b32_e32 v6, s22
	v_add_co_u32_e32 v7, vcc, s21, v24
	v_addc_co_u32_e32 v6, vcc, v6, v25, vcc
	v_add_co_u32_e32 v8, vcc, v7, v1
	v_addc_co_u32_e32 v6, vcc, 0, v6, vcc
	v_mov_b32_e32 v9, s99
	v_mov_b32_e32 v15, s98
	buffer_store_dword v100, off, s[0:3], 0
	buffer_store_dword v100, off, s[0:3], 0 offset:4
	buffer_store_dword v100, off, s[0:3], 0 offset:8
	;; [unrolled: 1-line block ×3, first 2 shown]
	v_cndmask_b32_e64 v7, v9, v6, s[26:27]
	v_cndmask_b32_e64 v6, v15, v8, s[26:27]
	flat_load_dwordx4 v[34:37], v[6:7]
	v_add_f32_e32 v6, 0x40051340, v2
	v_max_f32_e32 v7, v12, v12
	v_and_b32_e32 v11, 64, v120
	v_xor_b32_e32 v19, 32, v120
	v_max_f32_e32 v6, v7, v6
	v_add_u32_e32 v7, 64, v11
	v_cmp_gt_u32_e64 s[30:31], s20, v60
	v_cndmask_b32_e64 v6, v12, v6, s[30:31]
	v_cmp_lt_i32_e32 vcc, v19, v7
	v_add_f32_e32 v8, 0x40051340, v3
	v_cndmask_b32_e32 v11, v120, v19, vcc
	v_max_f32_e32 v19, v6, v6
	v_max_f32_e32 v8, v19, v8
	v_cmp_gt_u32_e64 s[28:29], s20, v112
	v_cndmask_b32_e64 v6, v6, v8, s[28:29]
	v_add_f32_e32 v13, 0x40051340, v4
	v_max_f32_e32 v8, v6, v6
	v_max_f32_e32 v8, v8, v13
	v_cmp_gt_u32_e64 s[26:27], s20, v113
	v_cndmask_b32_e64 v6, v6, v8, s[26:27]
	v_add_f32_e32 v17, 0x40051340, v5
	v_max_f32_e32 v8, v6, v6
	v_max_f32_e32 v8, v8, v17
	v_cmp_gt_u32_e32 vcc, s20, v114
	v_lshlrev_b32_e32 v11, 2, v11
	v_cndmask_b32_e32 v6, v6, v8, vcc
	ds_bpermute_b32 v8, v11, v6
	v_xor_b32_e32 v38, 16, v120
	v_cmp_lt_i32_e64 s[36:37], v38, v7
	v_cndmask_b32_e64 v7, v120, v38, s[36:37]
	v_max_f32_e32 v6, v6, v6
	s_waitcnt lgkmcnt(0)
	v_max_f32_e32 v8, v8, v8
	v_lshlrev_b32_e32 v13, 2, v7
	v_max_f32_e32 v6, v6, v8
	ds_bpermute_b32 v8, v13, v6
	v_mov_b32_e32 v7, s22
	v_add_co_u32_e64 v17, s[36:37], s21, v26
	v_addc_co_u32_e64 v7, s[36:37], v7, v27, s[36:37]
	s_waitcnt lgkmcnt(0)
	v_max_f32_e32 v8, v8, v8
	v_max_f32_e32 v6, v6, v8
	v_sub_f32_e32 v8, v2, v6
	v_mul_f32_e32 v2, 0x3fb8aa3b, v8
	v_fma_f32 v38, v8, s97, -v2
	v_rndne_f32_e32 v39, v2
	v_fmac_f32_e32 v38, 0x32a5705f, v8
	v_sub_f32_e32 v2, v2, v39
	v_add_f32_e32 v2, v2, v38
	v_cvt_i32_f32_e32 v39, v39
	v_exp_f32_e32 v2, v2
	v_sub_f32_e32 v19, v3, v6
	v_mul_f32_e32 v3, 0x3fb8aa3b, v19
	v_fma_f32 v40, v19, s97, -v3
	v_rndne_f32_e32 v41, v3
	v_ldexp_f32 v2, v2, v39
	v_cmp_ngt_f32_e64 s[36:37], s33, v8
	v_fmac_f32_e32 v40, 0x32a5705f, v19
	v_sub_f32_e32 v3, v3, v41
	v_cndmask_b32_e64 v39, 0, v2, s[36:37]
	v_add_co_u32_e64 v1, s[36:37], v17, v1
	v_add_f32_e32 v3, v3, v40
	v_addc_co_u32_e64 v2, s[36:37], 0, v7, s[36:37]
	v_exp_f32_e32 v40, v3
	v_cndmask_b32_e64 v3, v9, v2, s[24:25]
	v_cndmask_b32_e64 v2, v15, v1, s[24:25]
	;; [unrolled: 1-line block ×3, first 2 shown]
	v_sub_f32_e32 v4, v4, v6
	v_cvt_i32_f32_e32 v38, v41
	v_cmp_nlt_f32_e64 s[24:25], s96, v8
	v_mul_f32_e32 v8, 0x3fb8aa3b, v4
	v_fma_f32 v9, v4, s97, -v8
	v_rndne_f32_e32 v15, v8
	v_fmac_f32_e32 v9, 0x32a5705f, v4
	v_sub_f32_e32 v8, v8, v15
	v_cndmask_b32_e64 v1, v118, v39, s[24:25]
	v_add_f32_e32 v8, v8, v9
	s_waitcnt vmcnt(0)
	ds_write_b128 v58, v[34:37]
	flat_load_dwordx4 v[34:37], v[2:3]
	v_cndmask_b32_e64 v2, 0, v1, s[30:31]
	v_ldexp_f32 v1, v40, v38
	v_cmp_ngt_f32_e64 s[24:25], s33, v19
	v_exp_f32_e32 v8, v8
	v_cvt_i32_f32_e32 v9, v15
	v_cndmask_b32_e64 v1, 0, v1, s[24:25]
	v_cmp_nlt_f32_e64 s[24:25], s96, v19
	v_cndmask_b32_e64 v3, v118, v1, s[24:25]
	v_add_f32_e32 v7, v3, v2
	v_mov_b32_e32 v1, s89
	v_cndmask_b32_e64 v5, v5, v5, s[28:29]
	v_cndmask_b32_e64 v1, v1, v3, s[28:29]
	;; [unrolled: 1-line block ×3, first 2 shown]
	v_ldexp_f32 v7, v8, v9
	v_cmp_ngt_f32_e64 s[24:25], s33, v4
	v_sub_f32_e32 v5, v5, v6
	v_cndmask_b32_e64 v7, 0, v7, s[24:25]
	v_cmp_nlt_f32_e64 s[24:25], s96, v4
	v_mul_f32_e32 v4, 0x3fb8aa3b, v5
	v_fma_f32 v9, v5, s97, -v4
	v_rndne_f32_e32 v15, v4
	v_fmac_f32_e32 v9, 0x32a5705f, v5
	v_sub_f32_e32 v4, v4, v15
	v_add_f32_e32 v4, v4, v9
	v_exp_f32_e32 v9, v4
	v_cvt_i32_f32_e32 v15, v15
	v_cndmask_b32_e64 v7, v118, v7, s[24:25]
	v_add_f32_e32 v8, v3, v7
	v_mov_b32_e32 v4, s89
	v_cndmask_b32_e64 v4, v4, v7, s[26:27]
	v_cndmask_b32_e64 v7, v3, v8, s[26:27]
	v_sub_f32_e32 v8, v12, v6
	v_ldexp_f32 v3, v9, v15
	v_mul_f32_e32 v9, 0x3fb8aa3b, v8
	v_fma_f32 v12, v8, s97, -v9
	v_rndne_f32_e32 v15, v9
	v_fmac_f32_e32 v12, 0x32a5705f, v8
	v_sub_f32_e32 v9, v9, v15
	v_add_f32_e32 v9, v9, v12
	v_exp_f32_e32 v9, v9
	v_cvt_i32_f32_e32 v12, v15
	v_cmp_ngt_f32_e64 s[24:25], s33, v5
	v_cndmask_b32_e64 v3, 0, v3, s[24:25]
	v_cmp_nlt_f32_e64 s[24:25], s96, v5
	v_cndmask_b32_e64 v5, v118, v3, s[24:25]
	v_ldexp_f32 v9, v9, v12
	v_cmp_ngt_f32_e64 s[24:25], s33, v8
	v_cndmask_b32_e64 v9, 0, v9, s[24:25]
	v_cmp_nlt_f32_e64 s[24:25], s96, v8
	v_cndmask_b32_e64 v9, v118, v9, s[24:25]
	v_cmp_le_f32_e64 s[24:25], s91, v8
	v_cndmask_b32_e64 v8, 0, v9, s[24:25]
	v_cvt_f16_f32_e32 v12, v8
	v_add_f32_e32 v15, v7, v5
	v_mov_b32_e32 v3, s89
	v_cndmask_b32_e32 v3, v3, v5, vcc
	v_cndmask_b32_e32 v7, v7, v15, vcc
	v_pk_mul_f16 v5, v12, v122 op_sel_hi:[0,1]
	v_fmac_f32_e32 v7, v10, v8
	v_cvt_f16_f32_e32 v40, v2
	v_cvt_f16_f32_e32 v43, v3
	v_cvt_f32_f16_e32 v2, v5
	v_cvt_f32_f16_sdwa v3, v5 dst_sel:DWORD dst_unused:UNUSED_PAD src0_sel:WORD_1
	v_pk_mul_f16 v10, v12, v125 op_sel_hi:[0,1]
	v_cvt_f16_f32_e32 v1, v1
	v_cvt_f16_f32_e32 v41, v4
	v_cvt_f32_f16_e32 v4, v10
	v_pk_mul_f16 v15, v12, v124 op_sel_hi:[0,1]
	v_pack_b32_f16 v42, v40, v1
	v_pack_b32_f16 v43, v41, v43
	v_pk_mul_f16 v17, v12, v123 op_sel_hi:[0,1]
	v_pk_mul_f16 v19, v12, v128 op_sel_hi:[0,1]
	;; [unrolled: 1-line block ×4, first 2 shown]
	s_cmp_eq_u64 s[68:69], 0
	s_cselect_b64 s[20:21], -1, 0
	s_xor_b64 s[22:23], s[18:19], -1
	s_or_b64 s[20:21], s[22:23], s[20:21]
	s_waitcnt vmcnt(0) lgkmcnt(0)
	ds_write_b128 v108, v[34:37]
	s_waitcnt lgkmcnt(0)
	s_barrier
	ds_read_u16 v8, v63 offset:144
	ds_read_u16 v9, v63 offset:288
	ds_read_u16 v34, v64
	ds_read_u16 v37, v64 offset:32
	ds_read_u16 v5, v62
	ds_read_u16 v44, v62 offset:32
	ds_read_u16 v45, v62 offset:64
	;; [unrolled: 1-line block ×3, first 2 shown]
	v_cvt_f32_f16_sdwa v35, v15 dst_sel:DWORD dst_unused:UNUSED_PAD src0_sel:WORD_1
	v_cvt_f32_f16_e32 v36, v17
	s_waitcnt lgkmcnt(5)
	v_perm_b32 v9, v34, v9, s57
	s_waitcnt lgkmcnt(3)
	v_perm_b32 v8, v8, v5, s57
	v_cvt_f32_f16_sdwa v5, v10 dst_sel:DWORD dst_unused:UNUSED_PAD src0_sel:WORD_1
	v_pk_mul_f16 v10, v12, v121 op_sel_hi:[0,1]
	v_cvt_f32_f16_e32 v34, v15
	v_mfma_f32_16x16x16f16 v[2:5], v[8:9], v[42:43], v[2:5]
	s_nop 7
	s_nop 2
	v_cvt_f16_f32_e32 v1, v2
	v_cvt_f16_f32_e32 v2, v3
	ds_read_u16 v3, v109 offset:144
	ds_read_u16 v8, v109 offset:288
	;; [unrolled: 1-line block ×6, first 2 shown]
	s_waitcnt lgkmcnt(4)
	v_perm_b32 v9, v37, v8, s57
	v_perm_b32 v8, v3, v44, s57
	v_cvt_f32_f16_sdwa v37, v17 dst_sel:DWORD dst_unused:UNUSED_PAD src0_sel:WORD_1
	ds_read_u16 v40, v64 offset:64
	ds_read_u16 v50, v64 offset:96
	v_mfma_f32_16x16x16f16 v[34:37], v[8:9], v[42:43], v[34:37]
	s_waitcnt lgkmcnt(1)
	v_perm_b32 v9, v40, v15, s57
	v_perm_b32 v8, v12, v45, s57
	v_cvt_f16_f32_e32 v3, v4
	v_cvt_f16_f32_e32 v4, v5
	v_pack_b32_f16 v2, v1, v2
	v_cvt_f32_f16_e32 v40, v10
	s_waitcnt lgkmcnt(0)
	s_nop 2
	v_cvt_f16_f32_e32 v5, v34
	v_cvt_f16_f32_e32 v17, v35
	;; [unrolled: 1-line block ×4, first 2 shown]
	v_cvt_f32_f16_e32 v34, v19
	v_cvt_f32_f16_sdwa v35, v19 dst_sel:DWORD dst_unused:UNUSED_PAD src0_sel:WORD_1
	v_cvt_f32_f16_e32 v36, v38
	v_cvt_f32_f16_sdwa v37, v38 dst_sel:DWORD dst_unused:UNUSED_PAD src0_sel:WORD_1
	v_pack_b32_f16 v1, v3, v4
	v_pack_b32_f16 v4, v5, v17
	v_mfma_f32_16x16x16f16 v[34:37], v[8:9], v[42:43], v[34:37]
	v_cvt_f32_f16_e32 v38, v39
	v_cvt_f32_f16_sdwa v39, v39 dst_sel:DWORD dst_unused:UNUSED_PAD src0_sel:WORD_1
	ds_bpermute_b32 v17, v11, v7
	v_pack_b32_f16 v3, v44, v52
	s_barrier
	s_waitcnt lgkmcnt(0)
	s_nop 4
	v_cvt_f16_f32_e32 v5, v34
	v_cvt_f16_f32_e32 v8, v35
	v_perm_b32 v35, v50, v48, s57
	v_perm_b32 v34, v41, v46, s57
	v_cvt_f32_f16_sdwa v41, v10 dst_sel:DWORD dst_unused:UNUSED_PAD src0_sel:WORD_1
	v_cvt_f16_f32_e32 v9, v36
	v_cvt_f16_f32_e32 v10, v37
	v_mfma_f32_16x16x16f16 v[34:37], v[34:35], v[42:43], v[38:41]
	v_add_f32_e32 v7, v7, v17
	v_pack_b32_f16 v8, v5, v8
	v_pack_b32_f16 v5, v9, v10
	s_nop 7
	v_cvt_f16_f32_e32 v12, v34
	v_cvt_f16_f32_e32 v15, v35
	;; [unrolled: 1-line block ×4, first 2 shown]
	v_pack_b32_f16 v10, v12, v15
	ds_bpermute_b32 v12, v13, v7
	v_pack_b32_f16 v9, v9, v19
	s_waitcnt lgkmcnt(0)
	v_add_f32_e32 v7, v7, v12
	s_and_saveexec_b64 s[22:23], s[20:21]
	s_xor_b64 s[24:25], exec, s[22:23]
	s_andn2_saveexec_b64 s[24:25], s[24:25]
	s_cbranch_execz .LBB0_126
; %bb.125:                              ;   in Loop: Header=BB0_14 Depth=1
	global_load_dword v12, v100, s[68:69]
	v_max_f32_e32 v15, v6, v6
	s_waitcnt vmcnt(0)
	v_max_f32_e32 v17, v12, v12
	v_max_f32_e32 v34, v15, v17
	v_sub_f32_e32 v6, v6, v34
	v_sub_f32_e32 v12, v12, v34
	v_mul_f32_e32 v15, 0x3fb8aa3b, v6
	v_mul_f32_e32 v17, 0x3fb8aa3b, v12
	v_fma_f32 v19, v6, s97, -v15
	v_rndne_f32_e32 v35, v15
	v_fma_f32 v36, v12, s97, -v17
	v_rndne_f32_e32 v37, v17
	v_fmac_f32_e32 v19, 0x32a5705f, v6
	v_sub_f32_e32 v15, v15, v35
	v_fmac_f32_e32 v36, 0x32a5705f, v12
	v_sub_f32_e32 v17, v17, v37
	v_add_f32_e32 v15, v15, v19
	v_cvt_i32_f32_e32 v35, v35
	v_add_f32_e32 v17, v17, v36
	v_exp_f32_e32 v15, v15
	v_cvt_i32_f32_e32 v37, v37
	v_exp_f32_e32 v17, v17
	v_cmp_ngt_f32_e32 vcc, s33, v6
	v_ldexp_f32 v15, v15, v35
	v_cndmask_b32_e32 v15, 0, v15, vcc
	v_ldexp_f32 v17, v17, v37
	v_cmp_ngt_f32_e32 vcc, s33, v12
	v_cndmask_b32_e32 v17, 0, v17, vcc
	v_cmp_nlt_f32_e32 vcc, s96, v6
	v_cndmask_b32_e32 v15, v118, v15, vcc
	v_cmp_le_f32_e32 vcc, s91, v6
	v_cndmask_b32_e32 v6, 0, v15, vcc
	v_cvt_f16_f32_e32 v15, v6
	v_cmp_nlt_f32_e32 vcc, s96, v12
	v_cndmask_b32_e32 v35, v118, v17, vcc
	v_fmac_f32_e32 v35, v7, v6
	v_pk_mul_f16 v2, v15, v2 op_sel_hi:[0,1]
	v_pk_mul_f16 v1, v15, v1 op_sel_hi:[0,1]
	;; [unrolled: 1-line block ×8, first 2 shown]
	v_pk_mov_b32 v[6:7], v[34:35], v[34:35] op_sel:[0,1]
.LBB0_126:                              ;   in Loop: Header=BB0_14 Depth=1
	s_or_b64 exec, exec, s[24:25]
	s_mov_b64 s[24:25], exec
	v_readlane_b32 s20, v159, 51
	v_readlane_b32 s21, v159, 52
	s_and_b64 s[20:21], s[24:25], s[20:21]
	s_mov_b64 exec, s[20:21]
	s_cbranch_execz .LBB0_128
; %bb.127:                              ;   in Loop: Header=BB0_14 Depth=1
	v_add_u32_e32 v12, 0, v65
	ds_write2_b32 v12, v6, v7 offset0:32 offset1:33
.LBB0_128:                              ;   in Loop: Header=BB0_14 Depth=1
	s_or_b64 exec, exec, s[24:25]
	s_waitcnt lgkmcnt(0)
	s_barrier
	s_mov_b64 s[20:21], exec
	v_readlane_b32 s22, v159, 49
	v_readlane_b32 s23, v159, 50
	s_and_b64 s[22:23], s[20:21], s[22:23]
	s_xor_b64 s[24:25], s[22:23], s[20:21]
	s_mov_b64 exec, s[22:23]
	s_cbranch_execz .LBB0_130
; %bb.129:                              ;   in Loop: Header=BB0_14 Depth=1
	s_barrier
	s_waitcnt lgkmcnt(0)
                                        ; implicit-def: $vgpr11
                                        ; implicit-def: $vgpr13
.LBB0_130:                              ;   in Loop: Header=BB0_14 Depth=1
	s_andn2_saveexec_b64 s[24:25], s[24:25]
	s_cbranch_execz .LBB0_132
; %bb.131:                              ;   in Loop: Header=BB0_14 Depth=1
	v_add_u32_e32 v12, 0, v65
	ds_read_b64 v[6:7], v12 offset:128
	s_waitcnt lgkmcnt(0)
	s_barrier
	ds_bpermute_b32 v15, v11, v6
	v_max_f32_e32 v17, v6, v6
	s_waitcnt lgkmcnt(0)
	v_max_f32_e32 v15, v15, v15
	v_max_f32_e32 v15, v17, v15
	ds_bpermute_b32 v17, v13, v15
	s_waitcnt lgkmcnt(0)
	v_max_f32_e32 v17, v17, v17
	v_max_f32_e32 v15, v15, v17
	v_sub_f32_e32 v6, v6, v15
	v_mul_f32_e32 v15, 0x3fb8aa3b, v6
	v_fma_f32 v17, v6, s97, -v15
	v_rndne_f32_e32 v19, v15
	v_fmac_f32_e32 v17, 0x32a5705f, v6
	v_sub_f32_e32 v15, v15, v19
	v_add_f32_e32 v15, v15, v17
	v_cvt_i32_f32_e32 v19, v19
	v_exp_f32_e32 v15, v15
	v_cmp_ngt_f32_e32 vcc, s33, v6
	v_ldexp_f32 v15, v15, v19
	v_cndmask_b32_e32 v15, 0, v15, vcc
	v_cmp_nlt_f32_e32 vcc, s96, v6
	v_cndmask_b32_e32 v6, v118, v15, vcc
	v_mul_f32_e32 v15, v7, v6
	ds_bpermute_b32 v11, v11, v15
	s_waitcnt lgkmcnt(0)
	v_fmac_f32_e32 v11, v7, v6
	ds_bpermute_b32 v7, v13, v11
	s_waitcnt lgkmcnt(0)
	v_add_f32_e32 v7, v11, v7
	ds_write_b64 v12, v[6:7] offset:128
.LBB0_132:                              ;   in Loop: Header=BB0_14 Depth=1
	s_or_b64 exec, exec, s[24:25]
	ds_write2_b32 v66, v2, v1 offset1:1
	ds_write2_b32 v66, v4, v3 offset0:8 offset1:9
	ds_write2_b32 v66, v8, v5 offset0:16 offset1:17
	;; [unrolled: 1-line block ×3, first 2 shown]
	s_waitcnt lgkmcnt(0)
	s_barrier
	s_and_saveexec_b64 s[24:25], s[18:19]
	s_cbranch_execz .LBB0_12
; %bb.133:                              ;   in Loop: Header=BB0_14 Depth=1
	v_add_u32_e32 v2, s83, v67
	v_cmp_gt_i32_e32 vcc, s56, v2
	v_mov_b32_e32 v1, 0x47
	s_and_saveexec_b64 s[26:27], vcc
	s_cbranch_execz .LBB0_135
; %bb.134:                              ;   in Loop: Header=BB0_14 Depth=1
	v_readlane_b32 s20, v159, 41
	v_mul_lo_u32 v1, s20, v2
	ds_read2st64_b32 v[2:3], v83 offset1:9
	v_add_u32_e32 v10, 0, v68
	v_add_u32_e32 v4, 0x80, v10
	ds_read2st64_b32 v[4:5], v4 offset0:9 offset1:18
	ds_read2st64_b32 v[6:7], v83 offset0:18 offset1:27
	ds_read2_b32 v[8:9], v10 offset0:32 offset1:33
	ds_read_b32 v10, v10 offset:7040
	v_readlane_b32 s20, v159, 57
	s_waitcnt lgkmcnt(4)
	v_cvt_f32_f16_sdwa v35, v2 dst_sel:DWORD dst_unused:UNUSED_PAD src0_sel:WORD_1
	v_cvt_f32_f16_e32 v34, v2
	v_cvt_f32_f16_sdwa v37, v3 dst_sel:DWORD dst_unused:UNUSED_PAD src0_sel:WORD_1
	v_cvt_f32_f16_e32 v36, v3
	s_waitcnt lgkmcnt(2)
	v_cvt_f32_f16_sdwa v3, v6 dst_sel:DWORD dst_unused:UNUSED_PAD src0_sel:WORD_1
	v_cvt_f32_f16_e32 v2, v6
	v_cvt_f32_f16_sdwa v39, v7 dst_sel:DWORD dst_unused:UNUSED_PAD src0_sel:WORD_1
	v_cvt_f32_f16_e32 v38, v7
	s_waitcnt lgkmcnt(1)
	v_pk_fma_f32 v[34:35], v[8:9], v[34:35], 0 op_sel_hi:[0,1,0]
	v_pk_fma_f32 v[6:7], v[4:5], v[36:37], v[34:35] op_sel_hi:[0,1,1]
	v_mov_b32_e32 v4, v5
	v_pk_fma_f32 v[2:3], v[4:5], v[2:3], v[6:7] op_sel_hi:[0,1,1]
	s_waitcnt lgkmcnt(0)
	v_pk_fma_f32 v[2:3], v[10:11], v[38:39], v[2:3] op_sel_hi:[0,1,1]
	v_or_b32_e32 v12, v1, v16
	v_mov_b32_e32 v1, s20
	v_div_scale_f32 v6, s[20:21], v9, v9, v3
	v_rcp_f32_e32 v7, v6
	v_ashrrev_i32_e32 v13, 31, v12
	v_lshlrev_b64 v[12:13], 3, v[12:13]
	v_add_co_u32_e32 v4, vcc, s86, v12
	v_addc_co_u32_e32 v5, vcc, v1, v13, vcc
	v_fma_f32 v1, -v6, v7, 1.0
	v_fmac_f32_e32 v7, v1, v7
	v_div_scale_f32 v1, vcc, v3, v9, v3
	v_mul_f32_e32 v8, v1, v7
	v_fma_f32 v10, -v6, v8, v1
	v_fmac_f32_e32 v8, v10, v7
	v_fma_f32 v1, -v6, v8, v1
	v_div_scale_f32 v6, s[20:21], v9, v9, v2
	v_rcp_f32_e32 v10, v6
	v_div_fmas_f32 v1, v1, v7, v8
	v_div_fixup_f32 v3, v1, v9, v3
	v_fma_f32 v1, -v6, v10, 1.0
	v_fmac_f32_e32 v10, v1, v10
	v_div_scale_f32 v1, vcc, v2, v9, v2
	v_mul_f32_e32 v7, v1, v10
	v_fma_f32 v8, -v6, v7, v1
	v_fmac_f32_e32 v7, v8, v10
	v_fma_f32 v1, -v6, v7, v1
	v_div_fmas_f32 v1, v1, v10, v7
	v_div_fixup_f32 v2, v1, v9, v2
	v_mov_b32_e32 v1, 0
	global_store_dwordx2 v[4:5], v[2:3], off
.LBB0_135:                              ;   in Loop: Header=BB0_14 Depth=1
	s_or_b64 exec, exec, s[26:27]
	s_movk_i32 s20, 0x47
	v_cmp_gt_i32_e32 vcc, s20, v1
	s_mov_b64 s[26:27], -1
	s_and_saveexec_b64 s[28:29], vcc
; %bb.136:                              ;   in Loop: Header=BB0_14 Depth=1
	v_cmp_eq_u32_e32 vcc, 0, v1
	s_orn2_b64 s[26:27], vcc, exec
; %bb.137:                              ;   in Loop: Header=BB0_14 Depth=1
	s_or_b64 exec, exec, s[28:29]
	s_and_b64 exec, exec, s[26:27]
	s_cbranch_execz .LBB0_12
; %bb.138:                              ;   in Loop: Header=BB0_14 Depth=1
	v_add_u32_e32 v2, s83, v69
	v_cmp_gt_i32_e32 vcc, s56, v2
	v_mov_b32_e32 v1, 0x47
	s_and_saveexec_b64 s[26:27], vcc
	s_cbranch_execz .LBB0_140
; %bb.139:                              ;   in Loop: Header=BB0_14 Depth=1
	v_readlane_b32 s20, v159, 41
	v_mul_lo_u32 v1, s20, v2
	ds_read2st64_b32 v[2:3], v84 offset1:9
	v_add_u32_e32 v10, 0, v70
	v_add_u32_e32 v4, 0x80, v10
	ds_read2st64_b32 v[4:5], v4 offset0:9 offset1:18
	ds_read2st64_b32 v[6:7], v84 offset0:18 offset1:27
	ds_read2_b32 v[8:9], v10 offset0:32 offset1:33
	ds_read_b32 v10, v10 offset:7040
	v_readlane_b32 s20, v159, 57
	s_waitcnt lgkmcnt(4)
	v_cvt_f32_f16_sdwa v35, v2 dst_sel:DWORD dst_unused:UNUSED_PAD src0_sel:WORD_1
	v_cvt_f32_f16_e32 v34, v2
	v_cvt_f32_f16_sdwa v37, v3 dst_sel:DWORD dst_unused:UNUSED_PAD src0_sel:WORD_1
	v_cvt_f32_f16_e32 v36, v3
	s_waitcnt lgkmcnt(2)
	v_cvt_f32_f16_sdwa v3, v6 dst_sel:DWORD dst_unused:UNUSED_PAD src0_sel:WORD_1
	v_cvt_f32_f16_e32 v2, v6
	v_cvt_f32_f16_sdwa v39, v7 dst_sel:DWORD dst_unused:UNUSED_PAD src0_sel:WORD_1
	v_cvt_f32_f16_e32 v38, v7
	s_waitcnt lgkmcnt(1)
	v_pk_fma_f32 v[34:35], v[8:9], v[34:35], 0 op_sel_hi:[0,1,0]
	v_pk_fma_f32 v[6:7], v[4:5], v[36:37], v[34:35] op_sel_hi:[0,1,1]
	v_mov_b32_e32 v4, v5
	v_pk_fma_f32 v[2:3], v[4:5], v[2:3], v[6:7] op_sel_hi:[0,1,1]
	s_waitcnt lgkmcnt(0)
	v_pk_fma_f32 v[2:3], v[10:11], v[38:39], v[2:3] op_sel_hi:[0,1,1]
	v_or_b32_e32 v12, v1, v16
	v_mov_b32_e32 v1, s20
	v_div_scale_f32 v6, s[20:21], v9, v9, v3
	v_rcp_f32_e32 v7, v6
	v_ashrrev_i32_e32 v13, 31, v12
	v_lshlrev_b64 v[12:13], 3, v[12:13]
	v_add_co_u32_e32 v4, vcc, s86, v12
	v_addc_co_u32_e32 v5, vcc, v1, v13, vcc
	v_fma_f32 v1, -v6, v7, 1.0
	v_fmac_f32_e32 v7, v1, v7
	v_div_scale_f32 v1, vcc, v3, v9, v3
	v_mul_f32_e32 v8, v1, v7
	v_fma_f32 v10, -v6, v8, v1
	v_fmac_f32_e32 v8, v10, v7
	v_fma_f32 v1, -v6, v8, v1
	v_div_scale_f32 v6, s[20:21], v9, v9, v2
	v_rcp_f32_e32 v10, v6
	v_div_fmas_f32 v1, v1, v7, v8
	v_div_fixup_f32 v3, v1, v9, v3
	v_fma_f32 v1, -v6, v10, 1.0
	v_fmac_f32_e32 v10, v1, v10
	v_div_scale_f32 v1, vcc, v2, v9, v2
	v_mul_f32_e32 v7, v1, v10
	v_fma_f32 v8, -v6, v7, v1
	v_fmac_f32_e32 v7, v8, v10
	v_fma_f32 v1, -v6, v7, v1
	v_div_fmas_f32 v1, v1, v10, v7
	v_div_fixup_f32 v2, v1, v9, v2
	v_mov_b32_e32 v1, 0
	global_store_dwordx2 v[4:5], v[2:3], off
.LBB0_140:                              ;   in Loop: Header=BB0_14 Depth=1
	s_or_b64 exec, exec, s[26:27]
	s_movk_i32 s20, 0x47
	v_cmp_gt_i32_e32 vcc, s20, v1
	s_mov_b64 s[26:27], -1
	s_and_saveexec_b64 s[28:29], vcc
; %bb.141:                              ;   in Loop: Header=BB0_14 Depth=1
	v_cmp_eq_u32_e32 vcc, 0, v1
	s_orn2_b64 s[26:27], vcc, exec
; %bb.142:                              ;   in Loop: Header=BB0_14 Depth=1
	s_or_b64 exec, exec, s[28:29]
	s_and_b64 exec, exec, s[26:27]
	s_cbranch_execz .LBB0_12
; %bb.143:                              ;   in Loop: Header=BB0_14 Depth=1
	v_add_u32_e32 v2, s83, v71
	v_cmp_gt_i32_e32 vcc, s56, v2
	v_mov_b32_e32 v1, 0x47
	s_and_saveexec_b64 s[26:27], vcc
	s_cbranch_execz .LBB0_145
; %bb.144:                              ;   in Loop: Header=BB0_14 Depth=1
	v_readlane_b32 s20, v159, 41
	v_mul_lo_u32 v1, s20, v2
	ds_read2st64_b32 v[2:3], v85 offset1:9
	v_add_u32_e32 v10, 0, v77
	v_add_u32_e32 v4, 0x80, v10
	ds_read2st64_b32 v[4:5], v4 offset0:9 offset1:18
	ds_read2st64_b32 v[6:7], v85 offset0:18 offset1:27
	ds_read2_b32 v[8:9], v10 offset0:32 offset1:33
	ds_read_b32 v10, v10 offset:7040
	v_readlane_b32 s20, v159, 57
	s_waitcnt lgkmcnt(4)
	v_cvt_f32_f16_sdwa v35, v2 dst_sel:DWORD dst_unused:UNUSED_PAD src0_sel:WORD_1
	v_cvt_f32_f16_e32 v34, v2
	v_cvt_f32_f16_sdwa v37, v3 dst_sel:DWORD dst_unused:UNUSED_PAD src0_sel:WORD_1
	v_cvt_f32_f16_e32 v36, v3
	s_waitcnt lgkmcnt(2)
	v_cvt_f32_f16_sdwa v3, v6 dst_sel:DWORD dst_unused:UNUSED_PAD src0_sel:WORD_1
	v_cvt_f32_f16_e32 v2, v6
	v_cvt_f32_f16_sdwa v39, v7 dst_sel:DWORD dst_unused:UNUSED_PAD src0_sel:WORD_1
	v_cvt_f32_f16_e32 v38, v7
	s_waitcnt lgkmcnt(1)
	v_pk_fma_f32 v[34:35], v[8:9], v[34:35], 0 op_sel_hi:[0,1,0]
	v_pk_fma_f32 v[6:7], v[4:5], v[36:37], v[34:35] op_sel_hi:[0,1,1]
	v_mov_b32_e32 v4, v5
	v_pk_fma_f32 v[2:3], v[4:5], v[2:3], v[6:7] op_sel_hi:[0,1,1]
	s_waitcnt lgkmcnt(0)
	v_pk_fma_f32 v[2:3], v[10:11], v[38:39], v[2:3] op_sel_hi:[0,1,1]
	v_or_b32_e32 v12, v1, v16
	v_mov_b32_e32 v1, s20
	v_div_scale_f32 v6, s[20:21], v9, v9, v3
	v_rcp_f32_e32 v7, v6
	v_ashrrev_i32_e32 v13, 31, v12
	v_lshlrev_b64 v[12:13], 3, v[12:13]
	v_add_co_u32_e32 v4, vcc, s86, v12
	v_addc_co_u32_e32 v5, vcc, v1, v13, vcc
	v_fma_f32 v1, -v6, v7, 1.0
	v_fmac_f32_e32 v7, v1, v7
	v_div_scale_f32 v1, vcc, v3, v9, v3
	v_mul_f32_e32 v8, v1, v7
	v_fma_f32 v10, -v6, v8, v1
	v_fmac_f32_e32 v8, v10, v7
	v_fma_f32 v1, -v6, v8, v1
	v_div_scale_f32 v6, s[20:21], v9, v9, v2
	v_rcp_f32_e32 v10, v6
	v_div_fmas_f32 v1, v1, v7, v8
	v_div_fixup_f32 v3, v1, v9, v3
	v_fma_f32 v1, -v6, v10, 1.0
	v_fmac_f32_e32 v10, v1, v10
	v_div_scale_f32 v1, vcc, v2, v9, v2
	v_mul_f32_e32 v7, v1, v10
	v_fma_f32 v8, -v6, v7, v1
	v_fmac_f32_e32 v7, v8, v10
	v_fma_f32 v1, -v6, v7, v1
	v_div_fmas_f32 v1, v1, v10, v7
	v_div_fixup_f32 v2, v1, v9, v2
	v_mov_b32_e32 v1, 0
	global_store_dwordx2 v[4:5], v[2:3], off
.LBB0_145:                              ;   in Loop: Header=BB0_14 Depth=1
	s_or_b64 exec, exec, s[26:27]
	s_movk_i32 s20, 0x47
	v_cmp_gt_i32_e32 vcc, s20, v1
	s_mov_b64 s[26:27], -1
	s_and_saveexec_b64 s[28:29], vcc
; %bb.146:                              ;   in Loop: Header=BB0_14 Depth=1
	v_cmp_eq_u32_e32 vcc, 0, v1
	s_orn2_b64 s[26:27], vcc, exec
; %bb.147:                              ;   in Loop: Header=BB0_14 Depth=1
	s_or_b64 exec, exec, s[28:29]
	s_and_b64 exec, exec, s[26:27]
	s_cbranch_execz .LBB0_12
; %bb.148:                              ;   in Loop: Header=BB0_14 Depth=1
	v_add_u32_e32 v2, s83, v72
	v_cmp_gt_i32_e32 vcc, s56, v2
	v_mov_b32_e32 v1, 0x47
	s_and_saveexec_b64 s[26:27], vcc
	s_cbranch_execz .LBB0_150
; %bb.149:                              ;   in Loop: Header=BB0_14 Depth=1
	v_readlane_b32 s20, v159, 41
	v_mul_lo_u32 v1, s20, v2
	ds_read2st64_b32 v[2:3], v86 offset1:9
	v_add_u32_e32 v10, 0, v78
	v_add_u32_e32 v4, 0x80, v10
	ds_read2st64_b32 v[4:5], v4 offset0:9 offset1:18
	ds_read2st64_b32 v[6:7], v86 offset0:18 offset1:27
	ds_read2_b32 v[8:9], v10 offset0:32 offset1:33
	ds_read_b32 v10, v10 offset:7040
	v_readlane_b32 s20, v159, 57
	s_waitcnt lgkmcnt(4)
	v_cvt_f32_f16_sdwa v35, v2 dst_sel:DWORD dst_unused:UNUSED_PAD src0_sel:WORD_1
	v_cvt_f32_f16_e32 v34, v2
	v_cvt_f32_f16_sdwa v37, v3 dst_sel:DWORD dst_unused:UNUSED_PAD src0_sel:WORD_1
	v_cvt_f32_f16_e32 v36, v3
	s_waitcnt lgkmcnt(2)
	v_cvt_f32_f16_sdwa v3, v6 dst_sel:DWORD dst_unused:UNUSED_PAD src0_sel:WORD_1
	v_cvt_f32_f16_e32 v2, v6
	v_cvt_f32_f16_sdwa v39, v7 dst_sel:DWORD dst_unused:UNUSED_PAD src0_sel:WORD_1
	v_cvt_f32_f16_e32 v38, v7
	s_waitcnt lgkmcnt(1)
	v_pk_fma_f32 v[34:35], v[8:9], v[34:35], 0 op_sel_hi:[0,1,0]
	v_pk_fma_f32 v[6:7], v[4:5], v[36:37], v[34:35] op_sel_hi:[0,1,1]
	v_mov_b32_e32 v4, v5
	v_pk_fma_f32 v[2:3], v[4:5], v[2:3], v[6:7] op_sel_hi:[0,1,1]
	s_waitcnt lgkmcnt(0)
	v_pk_fma_f32 v[2:3], v[10:11], v[38:39], v[2:3] op_sel_hi:[0,1,1]
	v_or_b32_e32 v12, v1, v16
	v_mov_b32_e32 v1, s20
	v_div_scale_f32 v6, s[20:21], v9, v9, v3
	v_rcp_f32_e32 v7, v6
	v_ashrrev_i32_e32 v13, 31, v12
	v_lshlrev_b64 v[12:13], 3, v[12:13]
	v_add_co_u32_e32 v4, vcc, s86, v12
	v_addc_co_u32_e32 v5, vcc, v1, v13, vcc
	v_fma_f32 v1, -v6, v7, 1.0
	v_fmac_f32_e32 v7, v1, v7
	v_div_scale_f32 v1, vcc, v3, v9, v3
	v_mul_f32_e32 v8, v1, v7
	v_fma_f32 v10, -v6, v8, v1
	v_fmac_f32_e32 v8, v10, v7
	v_fma_f32 v1, -v6, v8, v1
	v_div_scale_f32 v6, s[20:21], v9, v9, v2
	v_rcp_f32_e32 v10, v6
	v_div_fmas_f32 v1, v1, v7, v8
	v_div_fixup_f32 v3, v1, v9, v3
	v_fma_f32 v1, -v6, v10, 1.0
	v_fmac_f32_e32 v10, v1, v10
	v_div_scale_f32 v1, vcc, v2, v9, v2
	v_mul_f32_e32 v7, v1, v10
	v_fma_f32 v8, -v6, v7, v1
	v_fmac_f32_e32 v7, v8, v10
	v_fma_f32 v1, -v6, v7, v1
	v_div_fmas_f32 v1, v1, v10, v7
	v_div_fixup_f32 v2, v1, v9, v2
	v_mov_b32_e32 v1, 0
	global_store_dwordx2 v[4:5], v[2:3], off
.LBB0_150:                              ;   in Loop: Header=BB0_14 Depth=1
	s_or_b64 exec, exec, s[26:27]
	s_movk_i32 s20, 0x47
	v_cmp_gt_i32_e32 vcc, s20, v1
	s_mov_b64 s[26:27], -1
	s_and_saveexec_b64 s[28:29], vcc
; %bb.151:                              ;   in Loop: Header=BB0_14 Depth=1
	v_cmp_eq_u32_e32 vcc, 0, v1
	s_orn2_b64 s[26:27], vcc, exec
; %bb.152:                              ;   in Loop: Header=BB0_14 Depth=1
	s_or_b64 exec, exec, s[28:29]
	s_and_b64 exec, exec, s[26:27]
	s_cbranch_execz .LBB0_12
; %bb.153:                              ;   in Loop: Header=BB0_14 Depth=1
	v_add_u32_e32 v2, s83, v73
	v_cmp_gt_i32_e32 vcc, s56, v2
	v_mov_b32_e32 v1, 0x47
	s_and_saveexec_b64 s[26:27], vcc
	s_cbranch_execz .LBB0_155
; %bb.154:                              ;   in Loop: Header=BB0_14 Depth=1
	v_readlane_b32 s20, v159, 41
	v_mul_lo_u32 v1, s20, v2
	ds_read2st64_b32 v[2:3], v87 offset1:9
	v_add_u32_e32 v10, 0, v79
	v_add_u32_e32 v4, 0x80, v10
	ds_read2st64_b32 v[4:5], v4 offset0:9 offset1:18
	ds_read2st64_b32 v[6:7], v87 offset0:18 offset1:27
	ds_read2_b32 v[8:9], v10 offset0:32 offset1:33
	ds_read_b32 v10, v10 offset:7040
	v_readlane_b32 s20, v159, 57
	s_waitcnt lgkmcnt(4)
	v_cvt_f32_f16_sdwa v35, v2 dst_sel:DWORD dst_unused:UNUSED_PAD src0_sel:WORD_1
	v_cvt_f32_f16_e32 v34, v2
	v_cvt_f32_f16_sdwa v37, v3 dst_sel:DWORD dst_unused:UNUSED_PAD src0_sel:WORD_1
	v_cvt_f32_f16_e32 v36, v3
	s_waitcnt lgkmcnt(2)
	v_cvt_f32_f16_sdwa v3, v6 dst_sel:DWORD dst_unused:UNUSED_PAD src0_sel:WORD_1
	v_cvt_f32_f16_e32 v2, v6
	v_cvt_f32_f16_sdwa v39, v7 dst_sel:DWORD dst_unused:UNUSED_PAD src0_sel:WORD_1
	v_cvt_f32_f16_e32 v38, v7
	s_waitcnt lgkmcnt(1)
	v_pk_fma_f32 v[34:35], v[8:9], v[34:35], 0 op_sel_hi:[0,1,0]
	v_pk_fma_f32 v[6:7], v[4:5], v[36:37], v[34:35] op_sel_hi:[0,1,1]
	v_mov_b32_e32 v4, v5
	v_pk_fma_f32 v[2:3], v[4:5], v[2:3], v[6:7] op_sel_hi:[0,1,1]
	s_waitcnt lgkmcnt(0)
	v_pk_fma_f32 v[2:3], v[10:11], v[38:39], v[2:3] op_sel_hi:[0,1,1]
	v_or_b32_e32 v12, v1, v16
	v_mov_b32_e32 v1, s20
	v_div_scale_f32 v6, s[20:21], v9, v9, v3
	v_rcp_f32_e32 v7, v6
	v_ashrrev_i32_e32 v13, 31, v12
	v_lshlrev_b64 v[12:13], 3, v[12:13]
	v_add_co_u32_e32 v4, vcc, s86, v12
	v_addc_co_u32_e32 v5, vcc, v1, v13, vcc
	v_fma_f32 v1, -v6, v7, 1.0
	v_fmac_f32_e32 v7, v1, v7
	v_div_scale_f32 v1, vcc, v3, v9, v3
	v_mul_f32_e32 v8, v1, v7
	v_fma_f32 v10, -v6, v8, v1
	v_fmac_f32_e32 v8, v10, v7
	v_fma_f32 v1, -v6, v8, v1
	v_div_scale_f32 v6, s[20:21], v9, v9, v2
	v_rcp_f32_e32 v10, v6
	v_div_fmas_f32 v1, v1, v7, v8
	v_div_fixup_f32 v3, v1, v9, v3
	v_fma_f32 v1, -v6, v10, 1.0
	v_fmac_f32_e32 v10, v1, v10
	v_div_scale_f32 v1, vcc, v2, v9, v2
	v_mul_f32_e32 v7, v1, v10
	v_fma_f32 v8, -v6, v7, v1
	v_fmac_f32_e32 v7, v8, v10
	v_fma_f32 v1, -v6, v7, v1
	v_div_fmas_f32 v1, v1, v10, v7
	v_div_fixup_f32 v2, v1, v9, v2
	v_mov_b32_e32 v1, 0
	global_store_dwordx2 v[4:5], v[2:3], off
.LBB0_155:                              ;   in Loop: Header=BB0_14 Depth=1
	s_or_b64 exec, exec, s[26:27]
	s_movk_i32 s20, 0x47
	v_cmp_gt_i32_e32 vcc, s20, v1
	s_mov_b64 s[26:27], -1
	s_and_saveexec_b64 s[28:29], vcc
; %bb.156:                              ;   in Loop: Header=BB0_14 Depth=1
	v_cmp_eq_u32_e32 vcc, 0, v1
	s_orn2_b64 s[26:27], vcc, exec
; %bb.157:                              ;   in Loop: Header=BB0_14 Depth=1
	s_or_b64 exec, exec, s[28:29]
	s_and_b64 exec, exec, s[26:27]
	s_cbranch_execz .LBB0_12
; %bb.158:                              ;   in Loop: Header=BB0_14 Depth=1
	v_add_u32_e32 v2, s83, v74
	v_cmp_gt_i32_e32 vcc, s56, v2
	v_mov_b32_e32 v1, 0x47
	s_and_saveexec_b64 s[26:27], vcc
	s_cbranch_execz .LBB0_160
; %bb.159:                              ;   in Loop: Header=BB0_14 Depth=1
	v_readlane_b32 s20, v159, 41
	v_mul_lo_u32 v1, s20, v2
	ds_read2st64_b32 v[2:3], v88 offset1:9
	v_add_u32_e32 v10, 0, v80
	v_add_u32_e32 v4, 0x80, v10
	ds_read2st64_b32 v[4:5], v4 offset0:9 offset1:18
	ds_read2st64_b32 v[6:7], v88 offset0:18 offset1:27
	ds_read2_b32 v[8:9], v10 offset0:32 offset1:33
	ds_read_b32 v10, v10 offset:7040
	v_readlane_b32 s20, v159, 57
	s_waitcnt lgkmcnt(4)
	v_cvt_f32_f16_sdwa v35, v2 dst_sel:DWORD dst_unused:UNUSED_PAD src0_sel:WORD_1
	v_cvt_f32_f16_e32 v34, v2
	v_cvt_f32_f16_sdwa v37, v3 dst_sel:DWORD dst_unused:UNUSED_PAD src0_sel:WORD_1
	v_cvt_f32_f16_e32 v36, v3
	s_waitcnt lgkmcnt(2)
	v_cvt_f32_f16_sdwa v3, v6 dst_sel:DWORD dst_unused:UNUSED_PAD src0_sel:WORD_1
	v_cvt_f32_f16_e32 v2, v6
	v_cvt_f32_f16_sdwa v39, v7 dst_sel:DWORD dst_unused:UNUSED_PAD src0_sel:WORD_1
	v_cvt_f32_f16_e32 v38, v7
	s_waitcnt lgkmcnt(1)
	v_pk_fma_f32 v[34:35], v[8:9], v[34:35], 0 op_sel_hi:[0,1,0]
	v_pk_fma_f32 v[6:7], v[4:5], v[36:37], v[34:35] op_sel_hi:[0,1,1]
	v_mov_b32_e32 v4, v5
	v_pk_fma_f32 v[2:3], v[4:5], v[2:3], v[6:7] op_sel_hi:[0,1,1]
	s_waitcnt lgkmcnt(0)
	v_pk_fma_f32 v[2:3], v[10:11], v[38:39], v[2:3] op_sel_hi:[0,1,1]
	v_or_b32_e32 v12, v1, v16
	v_mov_b32_e32 v1, s20
	v_div_scale_f32 v6, s[20:21], v9, v9, v3
	v_rcp_f32_e32 v7, v6
	v_ashrrev_i32_e32 v13, 31, v12
	v_lshlrev_b64 v[12:13], 3, v[12:13]
	v_add_co_u32_e32 v4, vcc, s86, v12
	v_addc_co_u32_e32 v5, vcc, v1, v13, vcc
	v_fma_f32 v1, -v6, v7, 1.0
	v_fmac_f32_e32 v7, v1, v7
	v_div_scale_f32 v1, vcc, v3, v9, v3
	v_mul_f32_e32 v8, v1, v7
	v_fma_f32 v10, -v6, v8, v1
	v_fmac_f32_e32 v8, v10, v7
	v_fma_f32 v1, -v6, v8, v1
	v_div_scale_f32 v6, s[20:21], v9, v9, v2
	v_rcp_f32_e32 v10, v6
	v_div_fmas_f32 v1, v1, v7, v8
	v_div_fixup_f32 v3, v1, v9, v3
	v_fma_f32 v1, -v6, v10, 1.0
	v_fmac_f32_e32 v10, v1, v10
	v_div_scale_f32 v1, vcc, v2, v9, v2
	v_mul_f32_e32 v7, v1, v10
	v_fma_f32 v8, -v6, v7, v1
	v_fmac_f32_e32 v7, v8, v10
	v_fma_f32 v1, -v6, v7, v1
	v_div_fmas_f32 v1, v1, v10, v7
	v_div_fixup_f32 v2, v1, v9, v2
	v_mov_b32_e32 v1, 0
	global_store_dwordx2 v[4:5], v[2:3], off
.LBB0_160:                              ;   in Loop: Header=BB0_14 Depth=1
	s_or_b64 exec, exec, s[26:27]
	s_movk_i32 s20, 0x47
	v_cmp_gt_i32_e32 vcc, s20, v1
	s_mov_b64 s[26:27], -1
	s_and_saveexec_b64 s[28:29], vcc
; %bb.161:                              ;   in Loop: Header=BB0_14 Depth=1
	v_cmp_eq_u32_e32 vcc, 0, v1
	s_orn2_b64 s[26:27], vcc, exec
; %bb.162:                              ;   in Loop: Header=BB0_14 Depth=1
	s_or_b64 exec, exec, s[28:29]
	s_and_b64 exec, exec, s[26:27]
	s_cbranch_execz .LBB0_12
; %bb.163:                              ;   in Loop: Header=BB0_14 Depth=1
	v_add_u32_e32 v2, s83, v75
	v_cmp_gt_i32_e32 vcc, s56, v2
	v_mov_b32_e32 v1, 0x47
	s_and_saveexec_b64 s[26:27], vcc
	s_cbranch_execz .LBB0_165
; %bb.164:                              ;   in Loop: Header=BB0_14 Depth=1
	v_readlane_b32 s20, v159, 41
	v_mul_lo_u32 v1, s20, v2
	ds_read2st64_b32 v[2:3], v89 offset1:9
	v_add_u32_e32 v10, 0, v81
	v_add_u32_e32 v4, 0x80, v10
	ds_read2st64_b32 v[4:5], v4 offset0:9 offset1:18
	ds_read2st64_b32 v[6:7], v89 offset0:18 offset1:27
	ds_read2_b32 v[8:9], v10 offset0:32 offset1:33
	ds_read_b32 v10, v10 offset:7040
	v_readlane_b32 s20, v159, 57
	s_waitcnt lgkmcnt(4)
	v_cvt_f32_f16_sdwa v35, v2 dst_sel:DWORD dst_unused:UNUSED_PAD src0_sel:WORD_1
	v_cvt_f32_f16_e32 v34, v2
	v_cvt_f32_f16_sdwa v37, v3 dst_sel:DWORD dst_unused:UNUSED_PAD src0_sel:WORD_1
	v_cvt_f32_f16_e32 v36, v3
	s_waitcnt lgkmcnt(2)
	v_cvt_f32_f16_sdwa v3, v6 dst_sel:DWORD dst_unused:UNUSED_PAD src0_sel:WORD_1
	v_cvt_f32_f16_e32 v2, v6
	v_cvt_f32_f16_sdwa v39, v7 dst_sel:DWORD dst_unused:UNUSED_PAD src0_sel:WORD_1
	v_cvt_f32_f16_e32 v38, v7
	s_waitcnt lgkmcnt(1)
	v_pk_fma_f32 v[34:35], v[8:9], v[34:35], 0 op_sel_hi:[0,1,0]
	v_pk_fma_f32 v[6:7], v[4:5], v[36:37], v[34:35] op_sel_hi:[0,1,1]
	v_mov_b32_e32 v4, v5
	v_pk_fma_f32 v[2:3], v[4:5], v[2:3], v[6:7] op_sel_hi:[0,1,1]
	s_waitcnt lgkmcnt(0)
	v_pk_fma_f32 v[2:3], v[10:11], v[38:39], v[2:3] op_sel_hi:[0,1,1]
	v_or_b32_e32 v12, v1, v16
	v_mov_b32_e32 v1, s20
	v_div_scale_f32 v6, s[20:21], v9, v9, v3
	v_rcp_f32_e32 v7, v6
	v_ashrrev_i32_e32 v13, 31, v12
	v_lshlrev_b64 v[12:13], 3, v[12:13]
	v_add_co_u32_e32 v4, vcc, s86, v12
	v_addc_co_u32_e32 v5, vcc, v1, v13, vcc
	v_fma_f32 v1, -v6, v7, 1.0
	v_fmac_f32_e32 v7, v1, v7
	v_div_scale_f32 v1, vcc, v3, v9, v3
	v_mul_f32_e32 v8, v1, v7
	v_fma_f32 v10, -v6, v8, v1
	v_fmac_f32_e32 v8, v10, v7
	v_fma_f32 v1, -v6, v8, v1
	v_div_scale_f32 v6, s[20:21], v9, v9, v2
	v_rcp_f32_e32 v10, v6
	v_div_fmas_f32 v1, v1, v7, v8
	v_div_fixup_f32 v3, v1, v9, v3
	v_fma_f32 v1, -v6, v10, 1.0
	v_fmac_f32_e32 v10, v1, v10
	v_div_scale_f32 v1, vcc, v2, v9, v2
	v_mul_f32_e32 v7, v1, v10
	v_fma_f32 v8, -v6, v7, v1
	v_fmac_f32_e32 v7, v8, v10
	v_fma_f32 v1, -v6, v7, v1
	v_div_fmas_f32 v1, v1, v10, v7
	v_div_fixup_f32 v2, v1, v9, v2
	v_mov_b32_e32 v1, 0
	global_store_dwordx2 v[4:5], v[2:3], off
.LBB0_165:                              ;   in Loop: Header=BB0_14 Depth=1
	s_or_b64 exec, exec, s[26:27]
	s_movk_i32 s20, 0x47
	v_cmp_gt_i32_e32 vcc, s20, v1
	s_mov_b64 s[26:27], -1
	s_and_saveexec_b64 s[28:29], vcc
; %bb.166:                              ;   in Loop: Header=BB0_14 Depth=1
	v_cmp_eq_u32_e32 vcc, 0, v1
	s_orn2_b64 s[26:27], vcc, exec
; %bb.167:                              ;   in Loop: Header=BB0_14 Depth=1
	s_or_b64 exec, exec, s[28:29]
	s_and_b64 exec, exec, s[26:27]
	s_cbranch_execz .LBB0_12
; %bb.168:                              ;   in Loop: Header=BB0_14 Depth=1
	v_add_u32_e32 v1, s83, v76
	v_cmp_gt_i32_e32 vcc, s56, v1
	s_and_b64 exec, exec, vcc
	s_cbranch_execz .LBB0_12
; %bb.169:                              ;   in Loop: Header=BB0_14 Depth=1
	ds_read2st64_b32 v[2:3], v91 offset1:9
	v_add_u32_e32 v10, 0, v90
	v_add_u32_e32 v4, 0x80, v10
	ds_read2st64_b32 v[4:5], v4 offset0:9 offset1:18
	ds_read2st64_b32 v[6:7], v91 offset0:18 offset1:27
	ds_read2_b32 v[8:9], v10 offset0:32 offset1:33
	ds_read_b32 v10, v10 offset:7040
	v_readlane_b32 s20, v159, 41
	s_waitcnt lgkmcnt(4)
	v_cvt_f32_f16_sdwa v35, v2 dst_sel:DWORD dst_unused:UNUSED_PAD src0_sel:WORD_1
	v_cvt_f32_f16_e32 v34, v2
	v_cvt_f32_f16_sdwa v37, v3 dst_sel:DWORD dst_unused:UNUSED_PAD src0_sel:WORD_1
	v_cvt_f32_f16_e32 v36, v3
	s_waitcnt lgkmcnt(2)
	v_cvt_f32_f16_sdwa v3, v6 dst_sel:DWORD dst_unused:UNUSED_PAD src0_sel:WORD_1
	v_cvt_f32_f16_e32 v2, v6
	v_cvt_f32_f16_sdwa v39, v7 dst_sel:DWORD dst_unused:UNUSED_PAD src0_sel:WORD_1
	v_cvt_f32_f16_e32 v38, v7
	s_waitcnt lgkmcnt(1)
	v_pk_fma_f32 v[34:35], v[8:9], v[34:35], 0 op_sel_hi:[0,1,0]
	v_pk_fma_f32 v[6:7], v[4:5], v[36:37], v[34:35] op_sel_hi:[0,1,1]
	v_mov_b32_e32 v4, v5
	v_pk_fma_f32 v[2:3], v[4:5], v[2:3], v[6:7] op_sel_hi:[0,1,1]
	v_mul_lo_u32 v1, s20, v1
	v_readlane_b32 s20, v159, 57
	s_waitcnt lgkmcnt(0)
	v_pk_fma_f32 v[2:3], v[10:11], v[38:39], v[2:3] op_sel_hi:[0,1,1]
	v_or_b32_e32 v12, v1, v16
	v_mov_b32_e32 v1, s20
	v_div_scale_f32 v6, s[20:21], v9, v9, v3
	v_rcp_f32_e32 v7, v6
	v_ashrrev_i32_e32 v13, 31, v12
	v_lshlrev_b64 v[12:13], 3, v[12:13]
	v_add_co_u32_e32 v4, vcc, s86, v12
	v_addc_co_u32_e32 v5, vcc, v1, v13, vcc
	v_fma_f32 v1, -v6, v7, 1.0
	v_fmac_f32_e32 v7, v1, v7
	v_div_scale_f32 v1, vcc, v3, v9, v3
	v_mul_f32_e32 v8, v1, v7
	v_fma_f32 v10, -v6, v8, v1
	v_fmac_f32_e32 v8, v10, v7
	v_fma_f32 v1, -v6, v8, v1
	v_div_scale_f32 v6, s[20:21], v9, v9, v2
	v_rcp_f32_e32 v10, v6
	v_div_fmas_f32 v1, v1, v7, v8
	v_div_fixup_f32 v3, v1, v9, v3
	v_fma_f32 v1, -v6, v10, 1.0
	v_fmac_f32_e32 v10, v1, v10
	v_div_scale_f32 v1, vcc, v2, v9, v2
	v_mul_f32_e32 v7, v1, v10
	v_fma_f32 v8, -v6, v7, v1
	v_fmac_f32_e32 v7, v8, v10
	v_fma_f32 v1, -v6, v7, v1
	v_div_fmas_f32 v1, v1, v10, v7
	v_div_fixup_f32 v2, v1, v9, v2
	global_store_dwordx2 v[4:5], v[2:3], off
	s_branch .LBB0_12
.LBB0_170:
	v_readlane_b32 s20, v159, 30
	v_readlane_b32 s64, v159, 38
	;; [unrolled: 1-line block ×10, first 2 shown]
	s_andn2_b64 vcc, exec, s[24:25]
	s_cbranch_vccnz .LBB0_10
.LBB0_171:
	v_readlane_b32 s10, v159, 6
	s_abs_i32 s4, s10
	v_cvt_f32_u32_e32 v1, s4
	s_sub_i32 s7, 0, s4
	s_abs_i32 s6, s80
	s_xor_b32 s5, s80, s10
	v_rcp_iflag_f32_e32 v1, v1
	s_ashr_i32 s5, s5, 31
	v_readlane_b32 s14, v159, 5
	v_readlane_b32 s11, v159, 2
	v_mul_f32_e32 v1, 0x4f7ffffe, v1
	v_cvt_u32_f32_e32 v1, v1
	v_readfirstlane_b32 s8, v1
	s_mul_i32 s7, s7, s8
	s_mul_hi_u32 s7, s8, s7
	s_add_i32 s8, s8, s7
	s_mul_hi_u32 s7, s6, s8
	s_mul_i32 s8, s7, s4
	s_sub_i32 s6, s6, s8
	s_add_i32 s9, s7, 1
	s_sub_i32 s8, s6, s4
	s_cmp_ge_u32 s6, s4
	s_cselect_b32 s7, s9, s7
	s_cselect_b32 s6, s8, s6
	s_add_i32 s8, s7, 1
	s_cmp_ge_u32 s6, s4
	s_cselect_b32 s4, s8, s7
	s_abs_i32 s6, s14
	v_cvt_f32_u32_e32 v1, s6
	s_xor_b32 s4, s4, s5
	s_sub_i32 s7, 0, s6
	s_sub_i32 s12, s4, s5
	v_rcp_iflag_f32_e32 v1, v1
	s_mul_i32 s4, s12, s10
	s_sub_i32 s4, s80, s4
	s_abs_i32 s8, s4
	v_mul_f32_e32 v1, 0x4f7ffffe, v1
	v_cvt_u32_f32_e32 v1, v1
	s_xor_b32 s5, s4, s14
	s_ashr_i32 s5, s5, 31
	v_readfirstlane_b32 s9, v1
	s_mul_i32 s7, s7, s9
	s_mul_hi_u32 s7, s9, s7
	s_add_i32 s9, s9, s7
	s_mul_hi_u32 s7, s8, s9
	s_mul_i32 s9, s7, s6
	s_sub_i32 s8, s8, s9
	s_add_i32 s10, s7, 1
	s_sub_i32 s9, s8, s6
	s_cmp_ge_u32 s8, s6
	s_cselect_b32 s7, s10, s7
	s_cselect_b32 s8, s9, s8
	s_add_i32 s9, s7, 1
	s_cmp_ge_u32 s8, s6
	s_cselect_b32 s6, s9, s7
	s_abs_i32 s7, s11
	v_cvt_f32_u32_e32 v1, s7
	s_xor_b32 s6, s6, s5
	s_sub_i32 s8, 0, s7
	s_sub_i32 s13, s6, s5
	v_rcp_iflag_f32_e32 v1, v1
	s_mul_i32 s5, s13, s14
	s_sub_i32 s5, s4, s5
	s_abs_i32 s6, s5
	v_mul_f32_e32 v1, 0x4f7ffffe, v1
	v_cvt_u32_f32_e32 v1, v1
	s_xor_b32 s4, s5, s11
	s_ashr_i32 s4, s4, 31
	v_readfirstlane_b32 s9, v1
	s_mul_i32 s8, s8, s9
	s_mul_hi_u32 s8, s9, s8
	s_add_i32 s9, s9, s8
	s_mul_hi_u32 s8, s6, s9
	s_mul_i32 s9, s8, s7
	s_sub_i32 s6, s6, s9
	s_add_i32 s10, s8, 1
	s_sub_i32 s9, s6, s7
	s_cmp_ge_u32 s6, s7
	s_cselect_b32 s8, s10, s8
	s_cselect_b32 s6, s9, s6
	s_add_i32 s9, s8, 1
	s_cmp_ge_u32 s6, s7
	s_cselect_b32 s6, s9, s8
	s_xor_b32 s6, s6, s4
	s_sub_i32 s4, s6, s4
	s_mul_i32 s6, s4, s11
	s_sub_i32 s5, s5, s6
	s_abs_i32 s16, s5
	s_ashr_i32 s14, s12, 31
	s_mul_hi_u32 s15, s16, s72
	s_cmp_eq_u64 s[46:47], 0
	s_mov_b64 s[8:9], 0
	s_cbranch_scc1 .LBB0_173
; %bb.172:
	s_abs_i32 s6, s26
	v_cvt_f32_u32_e32 v1, s6
	s_sub_i32 s8, 0, s6
	s_abs_i32 s7, s12
	v_readlane_b32 s10, v159, 14
	v_rcp_iflag_f32_e32 v1, v1
	v_readlane_b32 s11, v159, 15
	v_mul_f32_e32 v1, 0x4f7ffffe, v1
	v_cvt_u32_f32_e32 v1, v1
	v_readfirstlane_b32 s9, v1
	s_mul_i32 s8, s8, s9
	s_mul_hi_u32 s8, s9, s8
	s_add_i32 s9, s9, s8
	s_mul_hi_u32 s8, s7, s9
	s_mul_i32 s8, s8, s6
	s_sub_i32 s7, s7, s8
	s_sub_i32 s8, s7, s6
	s_cmp_ge_u32 s7, s6
	s_cselect_b32 s7, s8, s7
	s_sub_i32 s8, s7, s6
	s_cmp_ge_u32 s7, s6
	s_cselect_b32 s6, s8, s7
	s_xor_b32 s6, s6, s14
	s_sub_i32 s6, s6, s14
	s_ashr_i32 s7, s6, 31
	s_mul_i32 s8, s6, s11
	s_mul_hi_u32 s9, s6, s10
	s_add_i32 s8, s9, s8
	s_mul_i32 s7, s7, s10
	s_add_i32 s7, s8, s7
	s_mul_i32 s6, s6, s10
	s_add_u32 s8, s46, s6
	s_addc_u32 s9, s47, s7
.LBB0_173:
	s_ashr_i32 s18, s5, 31
	v_readlane_b32 s5, v159, 1
	s_mul_i32 s17, s13, s5
	s_add_i32 s17, s17, s4
	v_cmp_le_f32_e64 s[4:5], s21, 0
	s_and_b64 vcc, exec, s[4:5]
	v_mov_b32_e32 v12, 1.0
	s_cbranch_vccnz .LBB0_175
; %bb.174:
	v_readlane_b32 s5, v159, 11
	s_sub_i32 s4, s17, s5
	s_lshl_b32 s4, s4, 1
	s_add_i32 s6, s17, 1
	s_or_b32 s7, s4, 1
	s_cmp_lt_u32 s17, s5
	s_cselect_b64 vcc, -1, 0
	s_and_b64 s[4:5], vcc, exec
	v_mov_b32_e32 v1, s23
	v_mov_b32_e32 v2, s22
	s_cselect_b32 s4, s6, s7
	v_cndmask_b32_e32 v18, v1, v2, vcc
	v_cvt_f32_i32_e32 v1, s4
	v_cmp_neq_f32_e32 vcc, 1.0, v18
	s_mov_b32 s4, 0x3f2aaaab
	s_movk_i32 s6, 0x204
	v_cndmask_b32_e32 v19, 1.0, v1, vcc
	v_cmp_eq_f32_e32 vcc, 0, v19
	v_cndmask_b32_e64 v20, |v18|, 1.0, vcc
	v_frexp_mant_f32_e32 v1, v20
	v_cmp_gt_f32_e64 s[4:5], s4, v1
	v_cndmask_b32_e64 v2, 1.0, 2.0, s[4:5]
	v_mul_f32_e32 v1, v1, v2
	v_add_f32_e32 v2, 1.0, v1
	v_rcp_f32_e32 v10, v2
	v_add_f32_e32 v3, -1.0, v2
	v_sub_f32_e32 v5, v1, v3
	v_add_f32_e32 v3, -1.0, v1
	v_mul_f32_e32 v1, v3, v10
	v_mul_f32_e32 v4, v2, v1
	v_fma_f32 v6, v1, v2, -v4
	v_fmac_f32_e32 v6, v1, v5
	v_add_f32_e32 v2, v4, v6
	v_sub_f32_e32 v5, v3, v2
	v_pk_add_f32 v[8:9], v[2:3], v[4:5] neg_lo:[0,1] neg_hi:[0,1]
	v_mov_b32_e32 v7, v2
	v_pk_add_f32 v[2:3], v[8:9], v[6:7] neg_lo:[0,1] neg_hi:[0,1]
	v_add_f32_e32 v2, v2, v3
	v_add_f32_e32 v2, v5, v2
	v_mul_f32_e32 v3, v10, v2
	v_add_f32_e32 v2, v1, v3
	v_sub_f32_e32 v1, v2, v1
	v_sub_f32_e32 v1, v3, v1
	v_mul_f32_e32 v3, v2, v2
	v_fma_f32 v5, v2, v2, -v3
	v_add_f32_e32 v4, v1, v1
	v_fmac_f32_e32 v5, v2, v4
	v_add_f32_e32 v4, v3, v5
	v_mov_b32_e32 v6, 0x3e91f4c4
	v_fmac_f32_e32 v6, 0x3e76c4e1, v4
	v_mov_b32_e32 v7, 0x3ecccdef
	v_fmac_f32_e32 v7, v4, v6
	v_sub_f32_e32 v3, v4, v3
	v_sub_f32_e32 v12, v5, v3
	v_mul_f32_e32 v3, v4, v7
	v_fma_f32 v5, v4, v7, -v3
	v_fmac_f32_e32 v5, v12, v7
	v_add_f32_e32 v6, v3, v5
	v_add_f32_e32 v7, 0x3f2aaaaa, v6
	v_sub_f32_e32 v3, v6, v3
	v_sub_f32_e32 v3, v5, v3
	v_add_f32_e32 v5, 0xbf2aaaaa, v7
	v_add_f32_e32 v3, 0x31739010, v3
	v_sub_f32_e32 v5, v6, v5
	v_pk_mul_f32 v[8:9], v[2:3], v[4:5]
	v_fma_f32 v6, v4, v2, -v8
	v_pk_add_f32 v[10:11], v[2:3], v[4:5]
	v_fmac_f32_e32 v6, v4, v1
	v_mov_b32_e32 v9, v11
	v_fmac_f32_e32 v6, v12, v2
	v_pk_add_f32 v[4:5], v[8:9], v[6:7]
	v_sub_f32_e32 v3, v4, v8
	v_sub_f32_e32 v3, v6, v3
	;; [unrolled: 1-line block ×3, first 2 shown]
	v_add_f32_e32 v9, v11, v6
	v_mov_b32_e32 v6, v5
	v_pk_mul_f32 v[6:7], v[4:5], v[6:7]
	v_cvt_f64_f32_e32 v[10:11], v20
	v_frexp_exp_i32_f64_e32 v7, v[10:11]
	v_subbrev_co_u32_e64 v7, s[4:5], 0, v7, s[4:5]
	v_cvt_f32_i32_e32 v7, v7
	v_fma_f32 v8, v4, v5, -v6
	v_fmac_f32_e32 v8, v4, v9
	s_mov_b32 s4, 0x3f317218
	v_mul_f32_e32 v4, 0x3f317218, v7
	v_fmac_f32_e32 v8, v3, v5
	v_fma_f32 v10, v7, s4, -v4
	v_fmac_f32_e32 v10, 0xb102e308, v7
	v_ldexp_f32 v11, v2, 1
	v_add_f32_e32 v5, v6, v8
	v_pk_add_f32 v[2:3], v[4:5], v[10:11]
	v_mov_b32_e32 v12, v5
	v_mov_b32_e32 v13, v3
	;; [unrolled: 1-line block ×3, first 2 shown]
	v_pk_add_f32 v[6:7], v[12:13], v[6:7] neg_lo:[0,1] neg_hi:[0,1]
	v_mov_b32_e32 v9, v5
	v_ldexp_f32 v1, v1, 1
	v_pk_add_f32 v[6:7], v[8:9], v[6:7] neg_lo:[0,1] neg_hi:[0,1]
	v_add_f32_e32 v1, v1, v6
	v_add_f32_e32 v5, v1, v7
	v_pk_add_f32 v[6:7], v[2:3], v[4:5] neg_lo:[0,1] neg_hi:[0,1]
	v_pk_add_f32 v[8:9], v[2:3], v[4:5]
	v_mov_b32_e32 v12, v6
	v_mov_b32_e32 v13, v9
	;; [unrolled: 1-line block ×3, first 2 shown]
	v_pk_add_f32 v[12:13], v[10:11], v[12:13]
	v_mov_b32_e32 v4, v13
	v_pk_add_f32 v[14:15], v[4:5], v[2:3] neg_lo:[0,1] neg_hi:[0,1]
	v_mov_b32_e32 v1, v14
	v_mov_b32_e32 v12, v9
	;; [unrolled: 1-line block ×4, first 2 shown]
	v_pk_add_f32 v[6:7], v[10:11], v[6:7] neg_lo:[0,1] neg_hi:[0,1]
	v_pk_add_f32 v[16:17], v[8:9], v[0:1] neg_lo:[0,1] neg_hi:[0,1]
	;; [unrolled: 1-line block ×3, first 2 shown]
	v_mov_b32_e32 v10, v5
	v_pk_add_f32 v[2:3], v[10:11], v[2:3] neg_lo:[0,1] neg_hi:[0,1]
	v_mov_b32_e32 v16, v6
	v_pk_add_f32 v[8:9], v[16:17], v[2:3]
	v_mov_b32_e32 v10, v9
	v_pk_add_f32 v[10:11], v[8:9], v[10:11]
	v_pk_add_f32 v[4:5], v[4:5], v[10:11]
	v_mov_b32_e32 v7, v13
	v_mov_b32_e32 v9, v4
	v_pk_add_f32 v[12:13], v[8:9], v[6:7] neg_lo:[0,1] neg_hi:[0,1]
	v_mov_b32_e32 v3, v10
	v_sub_f32_e32 v1, v8, v12
	v_pk_add_f32 v[2:3], v[2:3], v[12:13] neg_lo:[0,1] neg_hi:[0,1]
	v_sub_f32_e32 v1, v6, v1
	v_add_f32_e32 v1, v2, v1
	v_add_f32_e32 v1, v1, v3
	;; [unrolled: 1-line block ×3, first 2 shown]
	v_sub_f32_e32 v3, v2, v4
	v_sub_f32_e32 v1, v1, v3
	v_mul_f32_e32 v3, v19, v2
	v_fma_f32 v2, v19, v2, -v3
	v_fmac_f32_e32 v2, v19, v1
	v_add_f32_e32 v1, v3, v2
	v_cmp_class_f32_e64 s[4:5], v3, s6
	v_sub_f32_e32 v4, v1, v3
	v_cndmask_b32_e64 v1, v1, v3, s[4:5]
	s_mov_b32 s10, 0x42b17218
	v_mov_b32_e32 v3, 0x37000000
	v_cmp_eq_f32_e64 s[4:5], s10, v1
	v_cndmask_b32_e64 v3, 0, v3, s[4:5]
	v_sub_f32_e32 v2, v2, v4
	v_sub_f32_e32 v4, v1, v3
	s_mov_b32 s4, 0x3fb8aa3b
	v_mul_f32_e32 v5, 0x3fb8aa3b, v4
	v_fma_f32 v6, v4, s4, -v5
	v_rndne_f32_e32 v7, v5
	v_fmac_f32_e32 v6, 0x32a5705f, v4
	v_sub_f32_e32 v5, v5, v7
	v_add_f32_e32 v5, v5, v6
	v_exp_f32_e32 v5, v5
	v_cvt_i32_f32_e32 v6, v7
	s_mov_b32 s7, 0x7f800000
	v_cmp_neq_f32_e64 s[4:5], |v1|, s7
	v_cndmask_b32_e64 v1, 0, v2, s[4:5]
	s_mov_b32 s4, 0xc2ce8ed0
	v_ldexp_f32 v2, v5, v6
	v_cmp_ngt_f32_e64 s[4:5], s4, v4
	v_add_f32_e32 v1, v3, v1
	v_cndmask_b32_e64 v2, 0, v2, s[4:5]
	v_mov_b32_e32 v3, 0x7f800000
	v_cmp_nlt_f32_e64 s[4:5], s10, v4
	v_cndmask_b32_e64 v2, v3, v2, s[4:5]
	v_fma_f32 v1, v2, v1, v2
	v_cmp_class_f32_e64 s[4:5], v2, s6
	v_trunc_f32_e32 v4, v19
	v_cndmask_b32_e64 v1, v1, v2, s[4:5]
	v_cndmask_b32_e64 v2, v18, 1.0, vcc
	v_cmp_eq_f32_e32 vcc, v4, v19
	v_mul_f32_e32 v4, 0.5, v19
	v_trunc_f32_e32 v6, v4
	v_cmp_neq_f32_e64 s[4:5], v6, v4
	s_and_b64 s[4:5], vcc, s[4:5]
	v_cndmask_b32_e64 v4, 1.0, v2, s[4:5]
	s_brev_b32 s19, -2
	v_mov_b32_e32 v5, 0x7fc00000
	v_bfi_b32 v1, s19, v1, v4
	v_cndmask_b32_e32 v4, v5, v1, vcc
	v_cmp_gt_f32_e32 vcc, 0, v2
	v_cndmask_b32_e32 v1, v1, v4, vcc
	v_cmp_eq_f32_e32 vcc, s7, v20
	v_cmp_eq_f32_e64 s[6:7], 0, v2
	v_cmp_gt_f32_e64 s[10:11], 0, v19
	s_xor_b64 s[10:11], s[10:11], s[6:7]
	v_cndmask_b32_e64 v3, v3, 0, s[10:11]
	v_cndmask_b32_e64 v4, 0, v2, s[4:5]
	v_bfi_b32 v3, s19, v3, v4
	s_or_b64 vcc, vcc, s[6:7]
	v_cndmask_b32_e32 v1, v1, v3, vcc
	v_cmp_o_f32_e32 vcc, v2, v2
	v_cndmask_b32_e32 v12, v5, v1, vcc
.LBB0_175:
	s_mul_i32 s5, s15, s87
	v_readlane_b32 s4, v159, 23
	s_sub_i32 s5, s16, s5
	s_xor_b32 s4, s18, s4
	s_add_i32 s6, s15, 1
	s_sub_i32 s7, s5, s87
	s_cmp_ge_u32 s5, s87
	s_cselect_b32 s6, s6, s15
	s_cselect_b32 s5, s7, s5
	s_add_i32 s7, s6, 1
	s_cmp_ge_u32 s5, s87
	s_cselect_b32 s5, s7, s6
	s_xor_b32 s5, s5, s4
	s_sub_i32 s4, s5, s4
	s_cmp_eq_u64 s[50:51], 0
	v_mov_b32_e32 v8, s93
	s_cbranch_scc1 .LBB0_177
; %bb.176:
	v_readlane_b32 s5, v159, 0
	s_mul_i32 s5, s12, s5
	s_add_i32 s6, s4, s5
	s_ashr_i32 s7, s6, 31
	s_lshl_b64 s[6:7], s[6:7], 2
	s_add_u32 s6, s50, s6
	s_addc_u32 s7, s51, s7
	v_mov_b32_e32 v1, 0
	global_load_dword v1, v1, s[6:7]
	s_waitcnt vmcnt(0)
	v_ashrrev_i32_e32 v2, 31, v1
	v_lshrrev_b32_e32 v2, 26, v2
	v_add_u32_e32 v1, v1, v2
	v_ashrrev_i32_e32 v1, 6, v1
	v_min_i32_e32 v8, s93, v1
.LBB0_177:
	v_readlane_b32 s10, v159, 7
	v_readlane_b32 s11, v159, 8
	s_mul_i32 s5, s12, s11
	s_ashr_i32 s6, s5, 31
	s_add_u32 s5, s40, s5
	s_mul_i32 s17, s17, s10
	s_addc_u32 s7, s41, s6
	s_ashr_i32 s10, s17, 31
	v_and_b32_e32 v34, 0x3ff, v0
	s_add_u32 s6, s5, s17
	v_lshrrev_b32_e32 v17, 5, v34
	s_addc_u32 s7, s7, s10
	s_lshl_b32 s33, s4, 4
	v_lshl_add_u32 v0, v47, 1, v17
	v_add_u32_e32 v1, s33, v0
	v_and_b32_e32 v16, 31, v34
	v_cmp_le_i32_e32 vcc, s56, v1
	s_and_saveexec_b64 s[4:5], vcc
	s_xor_b64 s[4:5], exec, s[4:5]
	s_cbranch_execz .LBB0_179
; %bb.178:
	v_mad_u32_u24 v1, v0, 36, v16
	v_lshl_add_u32 v1, v1, 2, 0
	v_mov_b32_e32 v2, 0
	ds_write_b32 v1, v2
                                        ; implicit-def: $vgpr1
.LBB0_179:
	s_andn2_saveexec_b64 s[4:5], s[4:5]
	s_cbranch_execz .LBB0_181
; %bb.180:
	v_readlane_b32 s10, v159, 16
	v_mad_u64_u32 v[2:3], s[10:11], v1, s10, v[16:17]
	v_ashrrev_i32_e32 v3, 31, v2
	v_lshlrev_b64 v[2:3], 3, v[2:3]
	v_mov_b32_e32 v1, s7
	v_add_co_u32_e32 v2, vcc, s6, v2
	v_addc_co_u32_e32 v3, vcc, v1, v3, vcc
	global_load_dwordx2 v[2:3], v[2:3], off
	s_waitcnt vmcnt(0)
	v_cvt_f16_f32_e32 v1, v2
	v_cvt_f16_f32_e32 v2, v3
	v_mad_u32_u24 v3, v0, 36, v16
	v_pack_b32_f16 v1, v1, v2
	v_pk_mul_f16 v1, v21, v1
	v_lshl_add_u32 v2, v3, 2, 0
	ds_write_b32 v2, v1
.LBB0_181:
	s_or_b64 exec, exec, s[4:5]
	v_add_u32_e32 v0, 8, v0
	v_add_u32_e32 v1, s33, v0
	v_cmp_le_i32_e32 vcc, s56, v1
	s_and_saveexec_b64 s[4:5], vcc
	s_xor_b64 s[4:5], exec, s[4:5]
	s_cbranch_execz .LBB0_183
; %bb.182:
	v_mad_u32_u24 v0, v0, 36, v16
	v_lshl_add_u32 v0, v0, 2, 0
	v_mov_b32_e32 v1, 0
	ds_write_b32 v0, v1
                                        ; implicit-def: $vgpr1
                                        ; implicit-def: $vgpr21
                                        ; implicit-def: $vgpr0
.LBB0_183:
	s_andn2_saveexec_b64 s[4:5], s[4:5]
	s_cbranch_execz .LBB0_185
; %bb.184:
	v_readlane_b32 s10, v159, 16
	v_mad_u64_u32 v[2:3], s[10:11], v1, s10, v[16:17]
	v_ashrrev_i32_e32 v3, 31, v2
	v_lshlrev_b64 v[2:3], 3, v[2:3]
	v_mov_b32_e32 v1, s7
	v_add_co_u32_e32 v2, vcc, s6, v2
	v_addc_co_u32_e32 v3, vcc, v1, v3, vcc
	global_load_dwordx2 v[2:3], v[2:3], off
	v_mad_u32_u24 v0, v0, 36, v16
	v_lshl_add_u32 v0, v0, 2, 0
	s_waitcnt vmcnt(0)
	v_cvt_f16_f32_e32 v1, v2
	v_cvt_f16_f32_e32 v2, v3
	v_pack_b32_f16 v1, v1, v2
	v_pk_mul_f16 v1, v21, v1
	ds_write_b32 v0, v1
.LBB0_185:
	s_or_b64 exec, exec, s[4:5]
	v_readlane_b32 s6, v159, 12
	v_readlane_b32 s7, v159, 13
	s_mul_i32 s4, s12, s7
	s_mul_hi_u32 s5, s12, s6
	s_add_i32 s4, s5, s4
	s_mul_i32 s5, s14, s6
	v_readlane_b32 s16, v159, 19
	s_add_i32 s4, s4, s5
	s_mul_i32 s5, s12, s6
	v_readlane_b32 s19, v159, 22
	s_add_u32 s5, s44, s5
	s_mul_i32 s6, s13, s19
	s_addc_u32 s4, s45, s4
	s_ashr_i32 s7, s6, 31
	v_lshrrev_b32_e32 v10, 3, v34
	v_readlane_b32 s17, v159, 20
	s_add_u32 s30, s5, s6
	v_and_b32_e32 v9, 0xff0, v51
	s_movk_i32 s10, 0x90
	v_and_b32_e32 v35, 15, v34
	v_and_b32_e32 v36, 0x7e, v10
	s_addc_u32 s31, s4, s7
	s_mul_i32 s4, s12, s17
	s_mul_hi_u32 s5, s12, s16
	v_mad_u32_u24 v0, v9, s10, 0
	v_mul_u32_u24_e32 v52, 0x90, v35
	v_lshlrev_b32_e32 v55, 2, v36
	s_add_i32 s4, s5, s4
	s_mul_i32 s14, s14, s16
	v_readlane_b32 s6, v159, 17
	v_add3_u32 v0, v0, v52, v55
	s_add_i32 s4, s4, s14
	s_mul_i32 s12, s12, s16
	v_readlane_b32 s7, v159, 18
	s_waitcnt lgkmcnt(0)
	s_barrier
	ds_read2_b64 v[4:7], v0 offset1:4
	ds_read2_b64 v[0:3], v0 offset0:8 offset1:12
	s_add_u32 s5, s42, s12
	s_mul_i32 s13, s13, s7
	s_addc_u32 s4, s43, s4
	s_ashr_i32 s6, s13, 31
	v_add_u32_e32 v58, -1, v8
	s_add_u32 s34, s5, s13
	v_cmp_ge_i32_e32 vcc, s36, v58
	s_addc_u32 s35, s4, s6
	s_mov_b32 s37, 0
	s_and_b64 vcc, exec, vcc
	v_mov_b32_e32 v40, 0
	v_or_b32_e32 v50, v9, v35
	v_lshlrev_b32_e32 v57, 1, v34
	v_lshl_add_u32 v39, v47, 3, v10
	v_lshlrev_b32_e32 v56, 2, v34
	v_lshrrev_b32_e32 v38, 2, v34
	v_lshlrev_b32_e32 v37, 1, v35
	v_readlane_b32 s18, v159, 21
	s_waitcnt lgkmcnt(0)
	s_barrier
	s_cbranch_vccnz .LBB0_196
; %bb.186:
	v_add_u32_e32 v13, s33, v47
	v_mov_b32_e32 v8, s9
	v_add_co_u32_e32 v60, vcc, s8, v57
	v_add_u32_e32 v14, 8, v13
	v_addc_co_u32_e32 v61, vcc, 0, v8, vcc
	v_mul_hi_u32 v8, s60, v13
	v_mul_hi_u32 v15, s60, v14
	v_add_u32_e32 v8, v13, v8
	v_add_u32_e32 v15, v14, v15
	v_lshrrev_b32_e32 v8, s61, v8
	v_lshrrev_b32_e32 v15, s61, v15
	v_mul_lo_u32 v8, v8, s56
	v_mul_u32_u24_e32 v10, 0x90, v47
	v_mul_lo_u32 v15, v15, s56
	v_sub_u32_e32 v8, v13, v8
	v_add3_u32 v62, 0, v10, v57
	v_add_u32_e32 v10, 4, v13
	v_sub_u32_e32 v14, v14, v15
	v_add_u32_e32 v13, 12, v13
	v_mad_i64_i32 v[22:23], s[6:7], v14, s68, 0
	v_mul_hi_u32 v14, s60, v13
	v_add_u32_e32 v14, v13, v14
	v_lshrrev_b32_e32 v14, s61, v14
	v_mul_lo_u32 v14, v14, s56
	v_sub_u32_e32 v13, v13, v14
	v_mad_i64_i32 v[24:25], s[6:7], v13, s68, 0
	v_mbcnt_hi_u32_b32 v13, -1, v54
	v_and_b32_e32 v14, 64, v13
	v_add_u32_e32 v14, 64, v14
	v_xor_b32_e32 v15, 32, v13
	v_cmp_lt_i32_e32 vcc, v15, v14
	v_cndmask_b32_e32 v15, v13, v15, vcc
	v_lshlrev_b32_e32 v66, 2, v15
	v_xor_b32_e32 v15, 16, v13
	v_cmp_lt_i32_e32 vcc, v15, v14
	v_cndmask_b32_e32 v13, v13, v15, vcc
	v_and_b32_e32 v28, 28, v56
	v_lshlrev_b32_e32 v67, 2, v13
	v_mul_u32_u24_e32 v13, 0x90, v39
	v_lshlrev_b32_e32 v14, 2, v28
	v_mul_hi_u32 v11, s60, v10
	v_add3_u32 v68, 0, v13, v14
	v_and_b32_e32 v13, 48, v49
	v_and_b32_e32 v15, 0xfc, v38
	v_add_u32_e32 v11, v10, v11
	v_mad_u32_u24 v14, v13, s10, 0
	v_add_u32_e32 v18, v13, v15
	v_add_u16_e32 v13, v13, v15
	v_lshrrev_b32_e32 v11, s61, v11
	v_lshrrev_b16_e32 v13, 1, v13
	v_mul_lo_u32 v11, v11, s56
	v_mul_lo_u32 v26, s58, v39
	v_mul_u32_u24_e32 v19, 0x90, v50
	v_lshlrev_b32_e32 v13, 2, v13
	v_mul_lo_u32 v32, s38, v39
	v_sub_u32_e32 v10, v10, v11
	v_lshl_add_u32 v30, s58, 5, v26
	v_add3_u32 v13, 0, v19, v13
	v_cmp_gt_u32_e64 s[10:11], 64, v18
	v_cmp_gt_u32_e64 s[12:13], 63, v18
	;; [unrolled: 1-line block ×4, first 2 shown]
	v_lshl_add_u32 v40, s38, 5, v32
	v_mul_u32_u24_e32 v18, 0x48, v15
	v_mul_u32_u24_e32 v15, 0x90, v15
	v_or_b32_e32 v19, 3, v38
	s_cmp_lg_u64 s[8:9], 0
	v_mad_i64_i32 v[8:9], s[6:7], v8, s68, 0
	v_mad_i64_i32 v[10:11], s[6:7], v10, s68, 0
	s_mov_b64 s[24:25], src_private_base
	v_ashrrev_i32_e32 v27, 31, v26
	v_ashrrev_i32_e32 v31, 31, v30
	;; [unrolled: 1-line block ×4, first 2 shown]
	v_or_b32_e32 v18, v18, v35
	v_mul_u32_u24_e32 v19, 0x90, v19
	v_add3_u32 v72, v14, v15, v37
	s_cselect_b64 s[22:23], -1, 0
	v_cmp_gt_u32_e64 s[4:5], 64, v34
	v_mov_b32_e32 v59, 0
	v_add_u32_e32 v63, 0x240, v62
	v_add_u32_e32 v64, 0x480, v62
	;; [unrolled: 1-line block ×3, first 2 shown]
	s_mov_b32 s24, 0
	v_cmp_gt_u32_e64 s[6:7], 64, v39
	v_add_u32_e32 v69, 0x1200, v68
	v_cmp_gt_u32_e64 s[20:21], 32, v39
	v_add3_u32 v70, v14, v52, v55
	v_lshl_add_u32 v71, v18, 1, v14
	v_add3_u32 v73, v14, v19, v37
	v_add_u32_e32 v74, 32, v72
	v_add_u32_e32 v75, 64, v72
	;; [unrolled: 1-line block ×3, first 2 shown]
	v_mov_b32_e32 v14, v12
	v_mov_b32_e32 v15, v12
	s_lshl_b32 s26, s36, 6
	v_mov_b32_e32 v81, 0xfeffffff
	v_lshlrev_b64 v[18:19], 1, v[8:9]
	v_lshlrev_b64 v[20:21], 1, v[10:11]
	v_lshlrev_b64 v[22:23], 1, v[22:23]
	v_lshlrev_b64 v[24:25], 1, v[24:25]
	v_lshlrev_b64 v[26:27], 2, v[26:27]
	v_lshlrev_b32_e32 v77, 2, v28
	v_lshlrev_b64 v[28:29], 2, v[30:31]
	v_add_u32_e32 v78, 0x2400, v13
	s_mov_b32 s39, 0x3fb8aa3b
	s_mov_b32 s40, 0xc2ce8ed0
	;; [unrolled: 1-line block ×4, first 2 shown]
	v_lshlrev_b64 v[30:31], 2, v[32:33]
	v_lshlrev_b64 v[32:33], 2, v[40:41]
	s_mov_b32 s43, 0x5040100
	v_mov_b32_e32 v79, 0x7f800000
	v_mov_b32_e32 v80, 0
	;; [unrolled: 1-line block ×10, first 2 shown]
.LBB0_187:                              ; =>This Inner Loop Header: Depth=1
	v_cndmask_b32_e64 v8, 0, 1, s[22:23]
	v_cmp_ne_u32_e64 s[18:19], 1, v8
	s_andn2_b64 vcc, exec, s[22:23]
	s_ashr_i32 s27, s26, 31
	s_cbranch_vccnz .LBB0_191
; %bb.188:                              ;   in Loop: Header=BB0_187 Depth=1
	v_mov_b32_e32 v8, 0
	v_mov_b32_e32 v9, 0
	;; [unrolled: 1-line block ×4, first 2 shown]
	s_and_saveexec_b64 s[28:29], s[4:5]
	s_cbranch_execz .LBB0_190
; %bb.189:                              ;   in Loop: Header=BB0_187 Depth=1
	s_lshl_b64 s[44:45], s[26:27], 1
	v_mov_b32_e32 v8, s45
	v_add_co_u32_e32 v13, vcc, s44, v60
	v_addc_co_u32_e32 v85, vcc, v61, v8, vcc
	v_add_co_u32_e32 v8, vcc, v13, v18
	v_addc_co_u32_e32 v9, vcc, v85, v19, vcc
	;; [unrolled: 2-line block ×5, first 2 shown]
	flat_load_ushort v8, v[8:9]
	s_nop 0
	flat_load_ushort v9, v[10:11]
	s_nop 0
	flat_load_ushort v10, v[82:83]
	flat_load_ushort v11, v[84:85]
.LBB0_190:                              ;   in Loop: Header=BB0_187 Depth=1
	s_or_b64 exec, exec, s[28:29]
	s_waitcnt vmcnt(0) lgkmcnt(0)
	ds_write_b16 v62, v8 offset:9216
	ds_write_b16 v63, v9 offset:9216
	;; [unrolled: 1-line block ×4, first 2 shown]
.LBB0_191:                              ;   in Loop: Header=BB0_187 Depth=1
	s_mul_hi_i32 s29, s26, s58
	s_mul_i32 s28, s26, s58
	s_lshl_b64 s[28:29], s[28:29], 2
	s_add_u32 s27, s34, s28
	s_addc_u32 s28, s35, s29
	v_mov_b32_e32 v8, s28
	v_add_co_u32_e32 v9, vcc, s27, v26
	v_addc_co_u32_e32 v8, vcc, v8, v27, vcc
	v_add_co_u32_e32 v10, vcc, v9, v77
	v_addc_co_u32_e32 v8, vcc, 0, v8, vcc
	v_mov_b32_e32 v13, s25
	v_mov_b32_e32 v82, s24
	buffer_store_dword v59, off, s[0:3], 0
	buffer_store_dword v59, off, s[0:3], 0 offset:4
	buffer_store_dword v59, off, s[0:3], 0 offset:8
	;; [unrolled: 1-line block ×3, first 2 shown]
	v_cndmask_b32_e64 v9, v13, v8, s[6:7]
	v_cndmask_b32_e64 v8, v82, v10, s[6:7]
	flat_load_dwordx4 v[8:11], v[8:9]
	v_mov_b32_e32 v83, s28
	v_add_co_u32_e32 v84, vcc, s27, v28
	v_addc_co_u32_e32 v83, vcc, v83, v29, vcc
	v_add_co_u32_e32 v84, vcc, v84, v77
	v_addc_co_u32_e32 v83, vcc, 0, v83, vcc
	v_cndmask_b32_e64 v82, v82, v84, s[20:21]
	v_cndmask_b32_e64 v83, v13, v83, s[20:21]
	s_and_b64 vcc, exec, s[18:19]
	s_waitcnt vmcnt(0) lgkmcnt(0)
	ds_write_b128 v68, v[8:11]
	flat_load_dwordx4 v[8:11], v[82:83]
	s_waitcnt vmcnt(0) lgkmcnt(0)
	ds_write_b128 v69, v[8:11]
	s_waitcnt lgkmcnt(0)
	s_barrier
	ds_read2_b64 v[8:11], v70 offset1:4
	s_waitcnt lgkmcnt(0)
	v_mfma_f32_16x16x16f16 v[82:85], v[8:9], v[4:5], 0
	v_mfma_f32_16x16x16f16 v[8:11], v[10:11], v[6:7], v[82:85]
	s_nop 7
	s_nop 1
	ds_read2_b64 v[82:85], v70 offset0:8 offset1:12
	s_waitcnt lgkmcnt(0)
	v_mfma_f32_16x16x16f16 v[8:11], v[82:83], v[0:1], v[8:11]
	s_barrier
	v_mfma_f32_16x16x16f16 v[8:11], v[84:85], v[2:3], v[8:11]
	s_cbranch_vccnz .LBB0_193
; %bb.192:                              ;   in Loop: Header=BB0_187 Depth=1
	ds_read2_b32 v[82:83], v78 offset1:1
	v_mov_b32_e32 v13, v12
	s_waitcnt lgkmcnt(0)
	v_cvt_f32_f16_e32 v84, v82
	v_cvt_f32_f16_e32 v86, v83
	v_cvt_f32_f16_sdwa v87, v83 dst_sel:DWORD dst_unused:UNUSED_PAD src0_sel:WORD_1
	v_cvt_f32_f16_sdwa v85, v82 dst_sel:DWORD dst_unused:UNUSED_PAD src0_sel:WORD_1
	s_nop 2
	v_pk_fma_f32 v[10:11], v[12:13], v[86:87], v[10:11]
	v_pk_fma_f32 v[8:9], v[14:15], v[84:85], v[8:9]
.LBB0_193:                              ;   in Loop: Header=BB0_187 Depth=1
	s_mul_hi_i32 s19, s26, s38
	s_mul_i32 s18, s26, s38
	s_lshl_b64 s[18:19], s[18:19], 2
	s_add_u32 s18, s30, s18
	s_addc_u32 s19, s31, s19
	v_mov_b32_e32 v13, s19
	v_add_co_u32_e32 v82, vcc, s18, v30
	v_addc_co_u32_e32 v13, vcc, v13, v31, vcc
	v_add_co_u32_e32 v82, vcc, v82, v77
	v_addc_co_u32_e32 v13, vcc, 0, v13, vcc
	v_mov_b32_e32 v87, s25
	v_mov_b32_e32 v88, s24
	buffer_store_dword v59, off, s[0:3], 0
	buffer_store_dword v59, off, s[0:3], 0 offset:4
	buffer_store_dword v59, off, s[0:3], 0 offset:8
	;; [unrolled: 1-line block ×3, first 2 shown]
	v_cndmask_b32_e64 v83, v87, v13, s[6:7]
	v_cndmask_b32_e64 v82, v88, v82, s[6:7]
	flat_load_dwordx4 v[82:85], v[82:83]
	v_add_f32_e32 v89, 0x40051340, v8
	v_max_f32_e32 v90, v81, v81
	v_add_f32_e32 v92, 0x40051340, v10
	v_cndmask_b32_e64 v95, v10, v10, s[12:13]
	v_max_f32_e32 v10, v90, v89
	v_cndmask_b32_e64 v10, v81, v10, s[10:11]
	v_add_f32_e32 v91, 0x40051340, v9
	v_max_f32_e32 v89, v10, v10
	v_max_f32_e32 v89, v89, v91
	v_cndmask_b32_e64 v10, v10, v89, s[12:13]
	v_max_f32_e32 v89, v10, v10
	v_max_f32_e32 v89, v89, v92
	v_cndmask_b32_e64 v10, v10, v89, s[14:15]
	v_add_f32_e32 v93, 0x40051340, v11
	v_max_f32_e32 v89, v10, v10
	v_max_f32_e32 v89, v89, v93
	v_cndmask_b32_e64 v10, v10, v89, s[16:17]
	ds_bpermute_b32 v89, v66, v10
	v_mov_b32_e32 v90, s19
	v_add_co_u32_e32 v91, vcc, s18, v32
	v_addc_co_u32_e32 v90, vcc, v90, v33, vcc
	v_max_f32_e32 v10, v10, v10
	s_waitcnt lgkmcnt(0)
	v_max_f32_e32 v89, v89, v89
	v_max_f32_e32 v10, v10, v89
	v_add_co_u32_e32 v89, vcc, v91, v77
	v_addc_co_u32_e32 v90, vcc, 0, v90, vcc
	v_cndmask_b32_e64 v88, v88, v89, s[20:21]
	v_cndmask_b32_e64 v89, v87, v90, s[20:21]
	ds_bpermute_b32 v92, v67, v10
	v_cndmask_b32_e64 v94, v11, v11, s[12:13]
	v_mov_b32_e32 v13, s37
	v_mov_b32_e32 v86, s37
	;; [unrolled: 1-line block ×3, first 2 shown]
	s_waitcnt lgkmcnt(0)
	v_max_f32_e32 v87, v92, v92
	v_max_f32_e32 v10, v10, v87
	v_sub_f32_e32 v8, v8, v10
	v_sub_f32_e32 v9, v9, v10
	v_mul_f32_e32 v91, 0x3fb8aa3b, v8
	v_sub_f32_e32 v87, v95, v10
	v_mul_f32_e32 v92, 0x3fb8aa3b, v9
	v_fma_f32 v96, v8, s39, -v91
	v_rndne_f32_e32 v97, v91
	v_sub_f32_e32 v90, v94, v10
	v_mul_f32_e32 v93, 0x3fb8aa3b, v87
	v_fma_f32 v98, v9, s39, -v92
	v_rndne_f32_e32 v99, v92
	v_fmac_f32_e32 v96, 0x32a5705f, v8
	v_sub_f32_e32 v81, v81, v10
	v_mul_f32_e32 v94, 0x3fb8aa3b, v90
	v_fma_f32 v100, v87, s39, -v93
	v_rndne_f32_e32 v101, v93
	v_fmac_f32_e32 v98, 0x32a5705f, v9
	v_mul_f32_e32 v95, 0x3fb8aa3b, v81
	v_fma_f32 v102, v90, s39, -v94
	v_rndne_f32_e32 v103, v94
	v_fmac_f32_e32 v100, 0x32a5705f, v87
	v_sub_f32_e32 v93, v93, v101
	v_fma_f32 v104, v81, s39, -v95
	v_rndne_f32_e32 v105, v95
	v_fmac_f32_e32 v102, 0x32a5705f, v90
	v_sub_f32_e32 v94, v94, v103
	v_add_f32_e32 v93, v93, v100
	v_fmac_f32_e32 v104, 0x32a5705f, v81
	v_sub_f32_e32 v95, v95, v105
	v_add_f32_e32 v94, v94, v102
	v_exp_f32_e32 v93, v93
	v_add_f32_e32 v95, v95, v104
	v_exp_f32_e32 v94, v94
	v_exp_f32_e32 v95, v95
	v_cmp_ngt_f32_e32 vcc, s40, v8
	s_add_i32 s36, s36, 1
	s_add_i32 s26, s26, 64
	s_waitcnt vmcnt(0)
	ds_write_b128 v68, v[82:85]
	flat_load_dwordx4 v[82:85], v[88:89]
	v_sub_f32_e32 v88, v91, v97
	v_sub_f32_e32 v91, v92, v99
	v_add_f32_e32 v88, v88, v96
	v_cvt_i32_f32_e32 v89, v97
	v_add_f32_e32 v91, v91, v98
	v_exp_f32_e32 v88, v88
	v_cvt_i32_f32_e32 v92, v99
	v_exp_f32_e32 v91, v91
	v_cvt_i32_f32_e32 v97, v101
	v_cvt_i32_f32_e32 v99, v103
	;; [unrolled: 1-line block ×3, first 2 shown]
	v_ldexp_f32 v88, v88, v89
	v_ldexp_f32 v89, v91, v92
	v_cndmask_b32_e32 v88, 0, v88, vcc
	v_cmp_ngt_f32_e32 vcc, s40, v9
	v_ldexp_f32 v91, v93, v97
	v_cndmask_b32_e32 v89, 0, v89, vcc
	v_cmp_ngt_f32_e32 vcc, s40, v87
	;; [unrolled: 3-line block ×4, first 2 shown]
	v_cndmask_b32_e32 v93, 0, v93, vcc
	v_cmp_nlt_f32_e32 vcc, s41, v8
	v_cndmask_b32_e32 v8, v79, v88, vcc
	v_cmp_nlt_f32_e32 vcc, s41, v9
	;; [unrolled: 2-line block ×5, first 2 shown]
	v_cndmask_b32_e32 v89, v79, v93, vcc
	v_cndmask_b32_e64 v8, 0, v8, s[10:11]
	v_cmp_le_f32_e32 vcc, s42, v81
	v_cndmask_b32_e64 v13, v13, v9, s[12:13]
	v_cndmask_b32_e64 v86, v86, v87, s[14:15]
	;; [unrolled: 1-line block ×3, first 2 shown]
	v_cndmask_b32_e32 v81, 0, v89, vcc
	v_add_f32_e32 v9, v9, v8
	v_cvt_f16_f32_e32 v89, v81
	v_cvt_f16_f32_e32 v90, v8
	;; [unrolled: 1-line block ×5, first 2 shown]
	v_cndmask_b32_e64 v8, v8, v9, s[12:13]
	v_add_f32_e32 v9, v8, v87
	v_cndmask_b32_e64 v8, v8, v9, s[14:15]
	v_add_f32_e32 v9, v8, v88
	v_pk_mul_f16 v45, v89, v45 op_sel_hi:[0,1]
	v_pk_mul_f16 v48, v89, v48 op_sel_hi:[0,1]
	;; [unrolled: 1-line block ×8, first 2 shown]
	v_pack_b32_f16 v88, v90, v13
	v_pack_b32_f16 v89, v86, v11
	v_cndmask_b32_e64 v8, v8, v9, s[16:17]
	v_cvt_f32_f16_e32 v40, v45
	v_cvt_f32_f16_sdwa v41, v45 dst_sel:DWORD dst_unused:UNUSED_PAD src0_sel:WORD_1
	v_cvt_f32_f16_e32 v42, v48
	v_fmac_f32_e32 v8, v80, v81
	v_cvt_f32_f16_e32 v80, v46
	v_cvt_f32_f16_sdwa v81, v46 dst_sel:DWORD dst_unused:UNUSED_PAD src0_sel:WORD_1
	v_cvt_f32_f16_e32 v86, v94
	v_cmp_lt_i32_e32 vcc, s36, v58
	s_and_b64 vcc, exec, vcc
	s_waitcnt vmcnt(0) lgkmcnt(0)
	ds_write_b128 v69, v[82:85]
	s_waitcnt lgkmcnt(0)
	s_barrier
	ds_read_u16 v9, v72 offset:144
	ds_read_u16 v11, v72 offset:288
	ds_read_u16 v13, v73
	ds_read_u16 v83, v73 offset:32
	ds_read_u16 v43, v71
	v_cvt_f32_f16_e32 v82, v87
	s_waitcnt lgkmcnt(2)
	v_perm_b32 v45, v13, v11, s43
	s_waitcnt lgkmcnt(0)
	v_perm_b32 v44, v9, v43, s43
	v_cvt_f32_f16_sdwa v43, v48 dst_sel:DWORD dst_unused:UNUSED_PAD src0_sel:WORD_1
	ds_read_u16 v11, v71 offset:32
	ds_read_u16 v13, v71 offset:64
	;; [unrolled: 1-line block ×3, first 2 shown]
	v_mfma_f32_16x16x16f16 v[40:43], v[44:45], v[88:89], v[40:43]
	s_nop 7
	s_nop 2
	v_cvt_f16_f32_e32 v9, v40
	v_cvt_f16_f32_e32 v44, v41
	ds_read_u16 v40, v74 offset:144
	ds_read_u16 v41, v74 offset:288
	;; [unrolled: 1-line block ×6, first 2 shown]
	s_waitcnt lgkmcnt(4)
	v_perm_b32 v41, v83, v41, s43
	v_perm_b32 v40, v40, v11, s43
	v_cvt_f32_f16_sdwa v83, v87 dst_sel:DWORD dst_unused:UNUSED_PAD src0_sel:WORD_1
	v_cvt_f16_f32_e32 v11, v42
	v_cvt_f16_f32_e32 v85, v43
	v_mfma_f32_16x16x16f16 v[40:43], v[40:41], v[88:89], v[80:83]
	ds_read_u16 v84, v73 offset:64
	ds_read_u16 v97, v73 offset:96
	v_pack_b32_f16 v45, v9, v44
	v_cvt_f32_f16_sdwa v87, v94 dst_sel:DWORD dst_unused:UNUSED_PAD src0_sel:WORD_1
	s_nop 2
	v_cvt_f32_f16_e32 v80, v91
	v_cvt_f32_f16_sdwa v81, v91 dst_sel:DWORD dst_unused:UNUSED_PAD src0_sel:WORD_1
	v_cvt_f32_f16_e32 v82, v92
	v_cvt_f32_f16_sdwa v83, v92 dst_sel:DWORD dst_unused:UNUSED_PAD src0_sel:WORD_1
	v_cvt_f16_f32_e32 v9, v40
	v_cvt_f16_f32_e32 v40, v41
	;; [unrolled: 1-line block ×4, first 2 shown]
	s_waitcnt lgkmcnt(1)
	v_perm_b32 v43, v84, v48, s43
	v_perm_b32 v42, v46, v13, s43
	v_pack_b32_f16 v48, v11, v85
	v_cvt_f32_f16_e32 v84, v93
	v_mfma_f32_16x16x16f16 v[80:83], v[42:43], v[88:89], v[80:83]
	s_waitcnt lgkmcnt(0)
	v_perm_b32 v43, v97, v96, s43
	v_perm_b32 v42, v95, v90, s43
	v_cvt_f32_f16_sdwa v85, v93 dst_sel:DWORD dst_unused:UNUSED_PAD src0_sel:WORD_1
	v_pack_b32_f16 v46, v9, v40
	v_pack_b32_f16 v41, v41, v44
	s_barrier
	s_nop 3
	v_cvt_f16_f32_e32 v9, v80
	v_cvt_f16_f32_e32 v11, v81
	;; [unrolled: 1-line block ×4, first 2 shown]
	v_mfma_f32_16x16x16f16 v[80:83], v[42:43], v[88:89], v[84:87]
	v_pack_b32_f16 v44, v9, v11
	v_pack_b32_f16 v43, v13, v40
	s_nop 7
	s_nop 0
	v_cvt_f16_f32_e32 v42, v80
	v_cvt_f16_f32_e32 v80, v81
	;; [unrolled: 1-line block ×4, first 2 shown]
	v_pack_b32_f16 v42, v42, v80
	v_pack_b32_f16 v40, v81, v82
	s_cbranch_vccz .LBB0_197
; %bb.194:                              ;   in Loop: Header=BB0_187 Depth=1
	v_mov_b32_e32 v80, v8
	v_mov_b32_e32 v81, v10
	s_branch .LBB0_187
.LBB0_195:
                                        ; implicit-def: $sgpr10_sgpr11
                                        ; kill: killed $sgpr10_sgpr11
	s_load_dwordx2 s[60:61], s[4:5], 0x5c
	s_branch .LBB0_7
.LBB0_196:
	v_mov_b32_e32 v8, 0
	v_mov_b32_e32 v10, 0xfeffffff
	;; [unrolled: 1-line block ×9, first 2 shown]
.LBB0_197:
	s_lshl_b32 s10, s36, 6
	v_readlane_b32 s4, v159, 3
	s_sub_i32 s14, s4, s10
	s_cmp_lg_u64 s[8:9], 0
	s_cselect_b64 s[12:13], -1, 0
	s_ashr_i32 s11, s10, 31
	s_cmp_eq_u64 s[8:9], 0
	v_readlane_b32 s5, v159, 4
	s_cbranch_scc1 .LBB0_207
; %bb.198:
	s_lshl_b64 s[4:5], s[10:11], 1
	s_add_u32 s4, s8, s4
	s_addc_u32 s5, s9, s5
	v_mov_b32_e32 v11, s5
	v_add_co_u32_e64 v9, s[4:5], s4, v57
	v_cmp_gt_i32_e32 vcc, s14, v34
	v_mov_b32_e32 v13, 0
	v_addc_co_u32_e64 v11, s[4:5], 0, v11, s[4:5]
	v_mov_b32_e32 v15, 0
	s_and_saveexec_b64 s[6:7], vcc
	s_cbranch_execz .LBB0_200
; %bb.199:
	v_add_u32_e32 v14, s33, v47
	v_mul_hi_u32 v15, s60, v14
	v_add_u32_e32 v15, v14, v15
	v_lshrrev_b32_e32 v15, s61, v15
	v_mul_lo_u32 v15, v15, s56
	v_sub_u32_e32 v14, v14, v15
	v_mad_i64_i32 v[14:15], s[4:5], v14, s68, 0
	v_lshlrev_b64 v[14:15], 1, v[14:15]
	v_add_co_u32_e64 v14, s[4:5], v9, v14
	v_addc_co_u32_e64 v15, s[4:5], v11, v15, s[4:5]
	flat_load_ushort v15, v[14:15]
.LBB0_200:
	s_or_b64 exec, exec, s[6:7]
	s_movk_i32 s4, 0x90
	v_mad_u32_u24 v14, v47, s4, 0
	v_lshl_add_u32 v18, v34, 1, v14
	s_waitcnt vmcnt(0) lgkmcnt(0)
	ds_write_b16 v18, v15 offset:9216
	s_and_saveexec_b64 s[6:7], vcc
	s_cbranch_execz .LBB0_202
; %bb.201:
	v_add3_u32 v13, v47, s33, 4
	v_mul_hi_u32 v15, s60, v13
	v_add_u32_e32 v15, v13, v15
	v_lshrrev_b32_e32 v15, s61, v15
	v_mul_lo_u32 v15, v15, s56
	v_sub_u32_e32 v13, v13, v15
	v_mad_i64_i32 v[18:19], s[4:5], v13, s68, 0
	v_lshlrev_b64 v[18:19], 1, v[18:19]
	v_add_co_u32_e64 v18, s[4:5], v9, v18
	v_addc_co_u32_e64 v19, s[4:5], v11, v19, s[4:5]
	flat_load_ushort v13, v[18:19]
.LBB0_202:
	s_or_b64 exec, exec, s[6:7]
	v_add_u32_e32 v14, 0x240, v14
	v_lshl_add_u32 v15, v34, 1, v14
	s_waitcnt vmcnt(0) lgkmcnt(0)
	ds_write_b16 v15, v13 offset:9216
	v_mov_b32_e32 v13, 0
	v_mov_b32_e32 v15, 0
	s_and_saveexec_b64 s[6:7], vcc
	s_cbranch_execz .LBB0_204
; %bb.203:
	v_add3_u32 v15, v47, s33, 8
	v_mul_hi_u32 v18, s60, v15
	v_add_u32_e32 v18, v15, v18
	v_lshrrev_b32_e32 v18, s61, v18
	v_mul_lo_u32 v18, v18, s56
	v_sub_u32_e32 v15, v15, v18
	v_mad_i64_i32 v[18:19], s[4:5], v15, s68, 0
	v_lshlrev_b64 v[18:19], 1, v[18:19]
	v_add_co_u32_e64 v18, s[4:5], v9, v18
	v_addc_co_u32_e64 v19, s[4:5], v11, v19, s[4:5]
	flat_load_ushort v15, v[18:19]
.LBB0_204:
	s_or_b64 exec, exec, s[6:7]
	v_add_u32_e32 v14, 0x240, v14
	v_lshl_add_u32 v14, v34, 1, v14
	s_waitcnt vmcnt(0) lgkmcnt(0)
	ds_write_b16 v14, v15 offset:9216
	s_and_saveexec_b64 s[4:5], vcc
	s_cbranch_execz .LBB0_206
; %bb.205:
	v_add3_u32 v13, v47, s33, 12
	v_mul_hi_u32 v15, s60, v13
	v_add_u32_e32 v15, v13, v15
	v_lshrrev_b32_e32 v15, s61, v15
	v_mul_lo_u32 v15, v15, s56
	v_sub_u32_e32 v13, v13, v15
	v_mad_i64_i32 v[18:19], s[6:7], v13, s68, 0
	v_lshlrev_b64 v[18:19], 1, v[18:19]
	v_add_co_u32_e32 v18, vcc, v9, v18
	v_addc_co_u32_e32 v19, vcc, v11, v19, vcc
	flat_load_ushort v13, v[18:19]
.LBB0_206:
	s_or_b64 exec, exec, s[4:5]
	s_waitcnt vmcnt(0) lgkmcnt(0)
	ds_write_b16 v14, v13 offset:9792
.LBB0_207:
	s_mul_hi_i32 s5, s10, s58
	s_mul_i32 s4, s10, s58
	s_lshl_b64 s[4:5], s[4:5], 2
	v_mul_lo_u32 v22, s58, v39
	s_add_u32 s8, s34, s4
	v_ashrrev_i32_e32 v23, 31, v22
	s_addc_u32 s9, s35, s5
	v_and_b32_e32 v9, 28, v56
	v_lshlrev_b64 v[18:19], 2, v[22:23]
	v_lshlrev_b32_e32 v11, 2, v9
	v_mov_b32_e32 v9, s9
	v_add_co_u32_e32 v13, vcc, s8, v18
	v_addc_co_u32_e32 v9, vcc, v9, v19, vcc
	s_mov_b64 s[4:5], src_private_base
	v_add_co_u32_e32 v14, vcc, v13, v11
	v_mov_b32_e32 v15, 0
	v_addc_co_u32_e32 v9, vcc, 0, v9, vcc
	v_mov_b32_e32 v24, s5
	v_cmp_gt_i32_e64 s[6:7], s14, v39
	v_mov_b32_e32 v13, 0
	buffer_store_dword v15, off, s[0:3], 0
	buffer_store_dword v15, off, s[0:3], 0 offset:4
	buffer_store_dword v15, off, s[0:3], 0 offset:8
	buffer_store_dword v15, off, s[0:3], 0 offset:12
	v_cndmask_b32_e64 v19, v24, v9, s[6:7]
	v_cndmask_b32_e64 v18, v13, v14, s[6:7]
	flat_load_dwordx4 v[18:21], v[18:19]
	v_lshl_add_u32 v22, s58, 5, v22
	v_ashrrev_i32_e32 v23, 31, v22
	v_mul_u32_u24_e32 v9, 0x90, v39
	v_lshlrev_b64 v[22:23], 2, v[22:23]
	v_add3_u32 v14, 0, v9, v11
	v_mov_b32_e32 v9, s9
	v_add_co_u32_e32 v22, vcc, s8, v22
	v_addc_co_u32_e32 v9, vcc, v9, v23, vcc
	v_add_u32_e32 v25, 32, v39
	v_add_co_u32_e32 v22, vcc, v22, v11
	v_addc_co_u32_e32 v9, vcc, 0, v9, vcc
	v_cmp_gt_i32_e64 s[4:5], s14, v25
	v_cndmask_b32_e64 v23, v24, v9, s[4:5]
	v_cndmask_b32_e64 v22, v13, v22, s[4:5]
	s_movk_i32 s8, 0x90
	v_and_b32_e32 v26, 48, v49
	v_mad_u32_u24 v9, v26, s8, 0
	v_add3_u32 v27, v9, v52, v55
	s_andn2_b64 vcc, exec, s[12:13]
	s_waitcnt vmcnt(0) lgkmcnt(0)
	ds_write_b128 v14, v[18:21]
	flat_load_dwordx4 v[18:21], v[22:23]
	s_waitcnt vmcnt(0) lgkmcnt(0)
	ds_write_b128 v14, v[18:21] offset:4608
	s_waitcnt lgkmcnt(0)
	s_barrier
	ds_read2_b64 v[18:21], v27 offset1:4
	s_waitcnt lgkmcnt(0)
	v_mfma_f32_16x16x16f16 v[22:25], v[18:19], v[4:5], 0
	v_mfma_f32_16x16x16f16 v[4:7], v[20:21], v[6:7], v[22:25]
	ds_read2_b64 v[18:21], v27 offset0:8 offset1:12
	s_waitcnt lgkmcnt(0)
	s_barrier
	v_mfma_f32_16x16x16f16 v[22:25], v[18:19], v[0:1], v[4:7]
	s_nop 6
	v_and_b32_e32 v4, 0xfc, v38
	v_add_u32_e32 v5, 0x1200, v14
	v_mfma_f32_16x16x16f16 v[0:3], v[20:21], v[2:3], v[22:25]
	v_add_u32_e32 v6, v26, v4
	s_cbranch_vccnz .LBB0_209
; %bb.208:
	v_mad_u32_u24 v7, v50, s8, 0
	v_lshlrev_b32_e32 v18, 1, v6
	s_movk_i32 s8, 0x2400
	v_add3_u32 v7, v7, v18, s8
	ds_read2_b32 v[18:19], v7 offset1:1
	s_waitcnt lgkmcnt(0)
	v_cvt_f32_f16_e32 v20, v18
	v_cvt_f32_f16_e32 v22, v19
	v_cvt_f32_f16_sdwa v23, v19 dst_sel:DWORD dst_unused:UNUSED_PAD src0_sel:WORD_1
	v_cvt_f32_f16_sdwa v21, v18 dst_sel:DWORD dst_unused:UNUSED_PAD src0_sel:WORD_1
	v_pk_fma_f32 v[2:3], v[12:13], v[22:23], v[2:3] op_sel_hi:[0,1,1]
	v_pk_fma_f32 v[0:1], v[12:13], v[20:21], v[0:1] op_sel_hi:[0,1,1]
.LBB0_209:
	s_mul_hi_i32 s9, s10, s38
	s_mul_i32 s8, s10, s38
	s_lshl_b64 s[8:9], s[8:9], 2
	v_mul_lo_u32 v20, s38, v39
	s_add_u32 s16, s30, s8
	v_ashrrev_i32_e32 v21, 31, v20
	s_addc_u32 s17, s31, s9
	v_lshlrev_b64 v[18:19], 2, v[20:21]
	v_mov_b32_e32 v7, s17
	v_add_co_u32_e32 v12, vcc, s16, v18
	v_addc_co_u32_e32 v7, vcc, v7, v19, vcc
	s_mov_b64 s[8:9], src_private_base
	v_add_co_u32_e32 v12, vcc, v12, v11
	buffer_store_dword v15, off, s[0:3], 0
	buffer_store_dword v15, off, s[0:3], 0 offset:4
	buffer_store_dword v15, off, s[0:3], 0 offset:8
	;; [unrolled: 1-line block ×3, first 2 shown]
	v_addc_co_u32_e32 v7, vcc, 0, v7, vcc
	v_mov_b32_e32 v15, s9
	v_cndmask_b32_e64 v19, v15, v7, s[6:7]
	v_cndmask_b32_e64 v18, v13, v12, s[6:7]
	flat_load_dwordx4 v[22:25], v[18:19]
	v_add_f32_e32 v7, 0x40051340, v0
	v_max_f32_e32 v12, v10, v10
	v_mbcnt_hi_u32_b32 v29, -1, v54
	v_max_f32_e32 v7, v12, v7
	v_cmp_gt_u32_e64 s[10:11], s14, v6
	v_or_b32_e32 v18, 1, v6
	v_or_b32_e32 v21, 2, v6
	;; [unrolled: 1-line block ×3, first 2 shown]
	v_and_b32_e32 v12, 64, v29
	v_cndmask_b32_e64 v6, v10, v7, s[10:11]
	v_add_f32_e32 v19, 0x40051340, v1
	v_add_u32_e32 v7, 64, v12
	v_max_f32_e32 v12, v6, v6
	v_max_f32_e32 v12, v12, v19
	v_cmp_gt_u32_e64 s[12:13], s14, v18
	v_cndmask_b32_e64 v6, v6, v12, s[12:13]
	v_add_f32_e32 v26, 0x40051340, v2
	v_max_f32_e32 v12, v6, v6
	v_max_f32_e32 v12, v12, v26
	v_cmp_gt_u32_e64 s[6:7], s14, v21
	v_xor_b32_e32 v30, 32, v29
	v_cndmask_b32_e64 v6, v6, v12, s[6:7]
	v_add_f32_e32 v28, 0x40051340, v3
	v_cmp_lt_i32_e32 vcc, v30, v7
	v_max_f32_e32 v12, v6, v6
	v_cndmask_b32_e32 v30, v29, v30, vcc
	v_max_f32_e32 v12, v12, v28
	v_cmp_gt_u32_e32 vcc, s14, v27
	v_lshlrev_b32_e32 v19, 2, v30
	v_cndmask_b32_e32 v6, v6, v12, vcc
	ds_bpermute_b32 v12, v19, v6
	v_xor_b32_e32 v31, 16, v29
	v_cmp_lt_i32_e64 s[14:15], v31, v7
	v_cndmask_b32_e64 v7, v29, v31, s[14:15]
	v_lshlrev_b32_e32 v21, 2, v7
	v_max_f32_e32 v6, v6, v6
	s_waitcnt lgkmcnt(0)
	v_max_f32_e32 v7, v12, v12
	v_max_f32_e32 v6, v6, v7
	ds_bpermute_b32 v7, v21, v6
	s_mov_b32 s9, 0x3fb8aa3b
	s_mov_b32 s18, 0xc2ce8ed0
	v_cndmask_b32_e64 v2, v2, v2, s[12:13]
	s_mov_b32 s19, 0x42b17218
	s_waitcnt lgkmcnt(0)
	v_max_f32_e32 v7, v7, v7
	v_max_f32_e32 v18, v6, v7
	v_sub_f32_e32 v6, v0, v18
	v_mul_f32_e32 v0, 0x3fb8aa3b, v6
	v_sub_f32_e32 v7, v1, v18
	v_fma_f32 v1, v6, s9, -v0
	v_rndne_f32_e32 v12, v0
	v_fmac_f32_e32 v1, 0x32a5705f, v6
	v_sub_f32_e32 v0, v0, v12
	v_add_f32_e32 v0, v0, v1
	v_cvt_i32_f32_e32 v12, v12
	v_exp_f32_e32 v0, v0
	v_cmp_ngt_f32_e64 s[14:15], s18, v6
	v_mul_f32_e32 v27, 0x3fb8aa3b, v7
	v_fma_f32 v28, v7, s9, -v27
	v_ldexp_f32 v0, v0, v12
	v_cndmask_b32_e64 v29, 0, v0, s[14:15]
	v_lshl_add_u32 v0, s38, 5, v20
	v_ashrrev_i32_e32 v1, 31, v0
	v_lshlrev_b64 v[0:1], 2, v[0:1]
	v_mov_b32_e32 v12, s17
	v_add_co_u32_e64 v0, s[14:15], s16, v0
	v_addc_co_u32_e64 v1, s[14:15], v12, v1, s[14:15]
	v_add_co_u32_e64 v0, s[14:15], v0, v11
	v_addc_co_u32_e64 v1, s[14:15], 0, v1, s[14:15]
	v_cndmask_b32_e64 v1, v15, v1, s[4:5]
	v_cndmask_b32_e64 v0, v13, v0, s[4:5]
	v_fmac_f32_e32 v28, 0x32a5705f, v7
	v_sub_f32_e32 v2, v2, v18
	v_mov_b32_e32 v26, 0x7f800000
	v_cmp_nlt_f32_e64 s[4:5], s19, v6
	s_mov_b32 s8, 0
	s_waitcnt vmcnt(0)
	ds_write_b128 v14, v[22:25]
	flat_load_dwordx4 v[12:15], v[0:1]
	v_rndne_f32_e32 v0, v27
	v_sub_f32_e32 v1, v27, v0
	v_add_f32_e32 v1, v1, v28
	v_exp_f32_e32 v1, v1
	v_cvt_i32_f32_e32 v11, v0
	v_cndmask_b32_e64 v0, v26, v29, s[4:5]
	v_cmp_ngt_f32_e64 s[4:5], s18, v7
	v_cndmask_b32_e64 v0, 0, v0, s[10:11]
	v_ldexp_f32 v1, v1, v11
	v_mul_f32_e32 v11, 0x3fb8aa3b, v2
	v_fma_f32 v20, v2, s9, -v11
	v_rndne_f32_e32 v22, v11
	v_fmac_f32_e32 v20, 0x32a5705f, v2
	v_sub_f32_e32 v11, v11, v22
	v_add_f32_e32 v11, v11, v20
	v_exp_f32_e32 v11, v11
	v_cvt_i32_f32_e32 v20, v22
	v_cndmask_b32_e64 v1, 0, v1, s[4:5]
	v_cmp_nlt_f32_e64 s[4:5], s19, v7
	v_cndmask_b32_e64 v6, v26, v1, s[4:5]
	v_add_f32_e32 v7, v6, v0
	v_mov_b32_e32 v1, s8
	v_cndmask_b32_e64 v3, v3, v3, s[12:13]
	v_cndmask_b32_e64 v1, v1, v6, s[12:13]
	;; [unrolled: 1-line block ×3, first 2 shown]
	v_ldexp_f32 v7, v11, v20
	v_cmp_ngt_f32_e64 s[4:5], s18, v2
	v_sub_f32_e32 v3, v3, v18
	v_cndmask_b32_e64 v7, 0, v7, s[4:5]
	v_cmp_nlt_f32_e64 s[4:5], s19, v2
	v_mul_f32_e32 v2, 0x3fb8aa3b, v3
	v_fma_f32 v20, v3, s9, -v2
	v_rndne_f32_e32 v22, v2
	v_fmac_f32_e32 v20, 0x32a5705f, v3
	v_sub_f32_e32 v2, v2, v22
	v_add_f32_e32 v2, v2, v20
	v_exp_f32_e32 v20, v2
	v_cvt_i32_f32_e32 v22, v22
	v_cndmask_b32_e64 v7, v26, v7, s[4:5]
	v_mov_b32_e32 v2, s8
	v_add_f32_e32 v11, v6, v7
	v_cndmask_b32_e64 v2, v2, v7, s[6:7]
	v_sub_f32_e32 v7, v10, v18
	v_mul_f32_e32 v10, 0x3fb8aa3b, v7
	v_cndmask_b32_e64 v23, v6, v11, s[6:7]
	v_ldexp_f32 v6, v20, v22
	v_fma_f32 v11, v7, s9, -v10
	v_rndne_f32_e32 v20, v10
	v_fmac_f32_e32 v11, 0x32a5705f, v7
	v_sub_f32_e32 v10, v10, v20
	v_add_f32_e32 v10, v10, v11
	v_exp_f32_e32 v10, v10
	v_cvt_i32_f32_e32 v11, v20
	v_cmp_ngt_f32_e64 s[4:5], s18, v3
	v_cndmask_b32_e64 v6, 0, v6, s[4:5]
	v_cmp_nlt_f32_e64 s[4:5], s19, v3
	v_cndmask_b32_e64 v6, v26, v6, s[4:5]
	v_ldexp_f32 v3, v10, v11
	v_cmp_ngt_f32_e64 s[4:5], s18, v7
	v_cndmask_b32_e64 v3, 0, v3, s[4:5]
	v_cmp_nlt_f32_e64 s[4:5], s19, v7
	v_cndmask_b32_e64 v3, v26, v3, s[4:5]
	s_mov_b32 s4, 0xc1a00000
	v_cmp_le_f32_e64 s[4:5], s4, v7
	v_cndmask_b32_e64 v20, 0, v3, s[4:5]
	v_cvt_f16_f32_e32 v22, v20
	v_mov_b32_e32 v3, s8
	v_cvt_f16_f32_e32 v11, v0
	v_cvt_f16_f32_e32 v24, v1
	;; [unrolled: 1-line block ×3, first 2 shown]
	v_mul_u32_u24_e32 v0, 0x48, v4
	v_mul_u32_u24_e32 v1, 0x90, v4
	v_or_b32_e32 v2, 3, v38
	v_add_f32_e32 v26, v23, v6
	v_cndmask_b32_e32 v3, v3, v6, vcc
	v_pk_mul_f16 v6, v22, v45 op_sel_hi:[0,1]
	v_or_b32_e32 v0, v0, v35
	v_mul_u32_u24_e32 v2, 0x90, v2
	v_add3_u32 v4, v9, v1, v37
	v_cvt_f16_f32_e32 v27, v3
	s_waitcnt vmcnt(0) lgkmcnt(0)
	ds_write_b128 v5, v[12:15]
	s_waitcnt lgkmcnt(0)
	s_barrier
	v_lshl_add_u32 v3, v0, 1, v9
	v_add3_u32 v5, v9, v2, v37
	v_cvt_f32_f16_e32 v0, v6
	v_cvt_f32_f16_sdwa v1, v6 dst_sel:DWORD dst_unused:UNUSED_PAD src0_sel:WORD_1
	s_mov_b32 s4, 0x5040100
	ds_read_u16 v6, v4 offset:288
	ds_read_u16 v9, v4 offset:320
	;; [unrolled: 1-line block ×3, first 2 shown]
	ds_read_u16 v12, v5
	ds_read_u16 v14, v5 offset:32
	ds_read_u16 v15, v5 offset:64
	;; [unrolled: 1-line block ×4, first 2 shown]
	s_waitcnt lgkmcnt(4)
	v_perm_b32 v5, v12, v6, s4
	ds_read_u16 v6, v3
	ds_read_u16 v12, v3 offset:32
	ds_read_u16 v30, v3 offset:64
	ds_read_u16 v31, v4 offset:144
	ds_read_u16 v32, v4 offset:176
	ds_read_u16 v33, v4 offset:208
	ds_read_u16 v37, v4 offset:240
	ds_read_u16 v38, v3 offset:96
	v_pk_mul_f16 v7, v22, v48 op_sel_hi:[0,1]
	s_waitcnt lgkmcnt(4)
	v_perm_b32 v4, v31, v6, s4
	v_cvt_f32_f16_e32 v2, v7
	v_cvt_f32_f16_sdwa v3, v7 dst_sel:DWORD dst_unused:UNUSED_PAD src0_sel:WORD_1
	v_pk_mul_f16 v10, v22, v46 op_sel_hi:[0,1]
	v_pack_b32_f16 v24, v11, v24
	v_pack_b32_f16 v25, v25, v27
	v_pk_mul_f16 v7, v22, v41 op_sel_hi:[0,1]
	v_perm_b32 v11, v14, v9, s4
	v_mfma_f32_16x16x16f16 v[0:3], v[4:5], v[24:25], v[0:3]
	v_cvt_f32_f16_e32 v4, v10
	v_cvt_f32_f16_sdwa v5, v10 dst_sel:DWORD dst_unused:UNUSED_PAD src0_sel:WORD_1
	s_waitcnt lgkmcnt(3)
	v_perm_b32 v10, v32, v12, s4
	v_cvt_f32_f16_e32 v6, v7
	v_cvt_f32_f16_sdwa v7, v7 dst_sel:DWORD dst_unused:UNUSED_PAD src0_sel:WORD_1
	v_cndmask_b32_e32 v31, v23, v26, vcc
	v_pk_mul_f16 v9, v22, v44 op_sel_hi:[0,1]
	v_pk_mul_f16 v23, v22, v43 op_sel_hi:[0,1]
	v_perm_b32 v15, v15, v13, s4
	s_waitcnt lgkmcnt(2)
	v_perm_b32 v14, v33, v30, s4
	v_mfma_f32_16x16x16f16 v[4:7], v[10:11], v[24:25], v[4:7]
	v_cvt_f32_f16_e32 v10, v9
	v_cvt_f32_f16_sdwa v11, v9 dst_sel:DWORD dst_unused:UNUSED_PAD src0_sel:WORD_1
	v_cvt_f32_f16_e32 v12, v23
	v_cvt_f32_f16_sdwa v13, v23 dst_sel:DWORD dst_unused:UNUSED_PAD src0_sel:WORD_1
	v_fmac_f32_e32 v31, v8, v20
	v_pk_mul_f16 v20, v22, v42 op_sel_hi:[0,1]
	v_pk_mul_f16 v22, v22, v40 op_sel_hi:[0,1]
	v_perm_b32 v27, v28, v29, s4
	s_waitcnt lgkmcnt(0)
	v_perm_b32 v26, v37, v38, s4
	v_mfma_f32_16x16x16f16 v[8:11], v[14:15], v[24:25], v[10:13]
	v_cvt_f32_f16_e32 v14, v22
	v_cvt_f32_f16_sdwa v15, v22 dst_sel:DWORD dst_unused:UNUSED_PAD src0_sel:WORD_1
	v_cmp_gt_u32_e64 s[4:5], 16, v34
	s_barrier
	s_nop 2
	v_cvt_f32_f16_e32 v12, v20
	v_cvt_f32_f16_sdwa v13, v20 dst_sel:DWORD dst_unused:UNUSED_PAD src0_sel:WORD_1
	ds_bpermute_b32 v20, v19, v31
	s_waitcnt lgkmcnt(0)
	v_mfma_f32_16x16x16f16 v[12:15], v[26:27], v[24:25], v[12:15]
	v_add_f32_e32 v20, v31, v20
	ds_bpermute_b32 v22, v21, v20
	s_and_saveexec_b64 s[6:7], s[4:5]
	s_cbranch_execz .LBB0_211
; %bb.210:
	s_waitcnt lgkmcnt(0)
	v_add_f32_e32 v20, v20, v22
	v_or_b32_e32 v22, v49, v34
	s_movk_i32 s8, 0x90
	v_mad_u32_u24 v22, v22, s8, 0
	ds_write2_b32 v22, v18, v20 offset0:32 offset1:33
.LBB0_211:
	s_or_b64 exec, exec, s[6:7]
	v_cmp_eq_u32_e32 vcc, 0, v53
	v_cmp_ne_u32_e64 s[6:7], 0, v53
	s_waitcnt lgkmcnt(0)
	s_barrier
	s_and_saveexec_b64 s[8:9], s[6:7]
	s_xor_b64 s[6:7], exec, s[8:9]
	s_cbranch_execz .LBB0_213
; %bb.212:
	s_barrier
	s_waitcnt lgkmcnt(0)
                                        ; implicit-def: $vgpr34
                                        ; implicit-def: $vgpr19
                                        ; implicit-def: $vgpr21
                                        ; implicit-def: $vgpr51
.LBB0_213:
	s_andn2_saveexec_b64 s[8:9], s[6:7]
	s_cbranch_execz .LBB0_217
; %bb.214:
	v_add_u32_e32 v18, v49, v34
	s_movk_i32 s6, 0x90
	v_mad_u32_u24 v24, v18, s6, 0
	ds_read_b64 v[22:23], v24 offset:128
	s_mov_b32 s6, 0x3fb8aa3b
	s_mov_b32 s10, 0x42b17218
	;; [unrolled: 1-line block ×3, first 2 shown]
	s_waitcnt lgkmcnt(0)
	ds_bpermute_b32 v18, v19, v22
	v_max_f32_e32 v20, v22, v22
	s_barrier
	s_waitcnt lgkmcnt(0)
	v_max_f32_e32 v18, v18, v18
	v_max_f32_e32 v18, v20, v18
	ds_bpermute_b32 v20, v21, v18
	s_waitcnt lgkmcnt(0)
	v_max_f32_e32 v20, v20, v20
	v_max_f32_e32 v18, v18, v20
	v_sub_f32_e32 v20, v22, v18
	v_mul_f32_e32 v22, 0x3fb8aa3b, v20
	v_fma_f32 v25, v20, s6, -v22
	v_rndne_f32_e32 v26, v22
	v_fmac_f32_e32 v25, 0x32a5705f, v20
	v_sub_f32_e32 v22, v22, v26
	v_add_f32_e32 v22, v22, v25
	v_cvt_i32_f32_e32 v26, v26
	v_exp_f32_e32 v22, v22
	s_mov_b32 s6, 0xc2ce8ed0
	v_cmp_ngt_f32_e64 s[6:7], s6, v20
	v_mov_b32_e32 v25, 0x7f800000
	v_ldexp_f32 v22, v22, v26
	v_cndmask_b32_e64 v22, 0, v22, s[6:7]
	v_cmp_nlt_f32_e64 s[6:7], s10, v20
	v_cndmask_b32_e64 v20, v25, v22, s[6:7]
	v_mul_f32_e32 v22, v23, v20
	ds_bpermute_b32 v19, v19, v22
	s_waitcnt lgkmcnt(0)
	v_fmac_f32_e32 v19, v23, v20
	ds_bpermute_b32 v21, v21, v19
	s_waitcnt lgkmcnt(0)
	v_add_f32_e32 v21, v19, v21
	ds_write_b64 v24, v[20:21] offset:128
	s_and_saveexec_b64 s[6:7], s[4:5]
	s_cbranch_execz .LBB0_216
; %bb.215:
	s_add_i32 s4, s65, s64
	s_lshl_b32 s10, s4, 4
	s_lshl_b64 s[4:5], s[10:11], 3
	s_add_u32 s4, s54, s4
	v_or_b32_e32 v19, v51, v34
	s_addc_u32 s5, s55, s5
	v_lshlrev_b32_e32 v20, 3, v19
	v_mov_b32_e32 v19, v21
	global_store_dwordx2 v20, v[18:19], s[4:5]
.LBB0_216:
	s_or_b64 exec, exec, s[6:7]
.LBB0_217:
	s_or_b64 exec, exec, s[8:9]
	v_cvt_f16_f32_e32 v0, v0
	v_cvt_f16_f32_e32 v1, v1
	;; [unrolled: 1-line block ×8, first 2 shown]
	v_pack_b32_f16 v2, v2, v3
	v_pack_b32_f16 v0, v0, v1
	;; [unrolled: 1-line block ×4, first 2 shown]
	v_cvt_f16_f32_e32 v4, v8
	v_cvt_f16_f32_e32 v6, v10
	;; [unrolled: 1-line block ×8, first 2 shown]
	v_pack_b32_f16 v6, v6, v7
	v_pack_b32_f16 v7, v8, v11
	v_or_b32_e32 v8, v49, v35
	v_mad_u32_u24 v8, v8, 36, v36
	s_mov_b32 s7, 0
	v_lshl_add_u32 v8, v8, 2, 0
	v_pack_b32_f16 v4, v4, v5
	v_pack_b32_f16 v5, v9, v10
	ds_write2_b32 v8, v0, v2 offset1:1
	ds_write2_b32 v8, v3, v1 offset0:8 offset1:9
	ds_write2_b32 v8, v4, v6 offset0:16 offset1:17
	;; [unrolled: 1-line block ×3, first 2 shown]
	s_waitcnt lgkmcnt(0)
	s_barrier
	s_and_saveexec_b64 s[4:5], vcc
	s_cbranch_execz .LBB0_219
; %bb.218:
	s_lshl_b32 s6, s65, 5
	s_lshl_b64 s[8:9], s[6:7], 3
	s_add_u32 s8, s54, s8
	s_addc_u32 s9, s55, s9
	s_lshl_b32 s6, s64, 9
	v_lshrrev_b32_e32 v0, 1, v47
	s_lshl_b64 s[6:7], s[6:7], 3
	v_add_u32_e32 v12, v17, v0
	s_add_u32 s6, s8, s6
	v_lshlrev_b32_e32 v0, 2, v12
	v_and_b32_e32 v1, 15, v12
	s_movk_i32 s8, 0xfc0
	v_and_or_b32 v0, v0, s8, v1
	s_movk_i32 s8, 0x90
	v_mad_u32_u24 v2, v0, s8, 0
	v_lshlrev_b32_e32 v13, 2, v16
	v_add_u32_e32 v4, 0x80, v2
	v_add_u32_e32 v6, v2, v13
	ds_read2st64_b32 v[0:1], v4 offset1:9
	ds_read2st64_b32 v[2:3], v6 offset1:9
	ds_read2st64_b32 v[4:5], v4 offset0:18 offset1:27
	ds_read2st64_b32 v[6:7], v6 offset0:18 offset1:27
	s_addc_u32 s7, s9, s7
	s_movk_i32 s9, 0x1fc0
	s_waitcnt lgkmcnt(2)
	v_cvt_f32_f16_e32 v8, v2
	v_cvt_f32_f16_sdwa v9, v2 dst_sel:DWORD dst_unused:UNUSED_PAD src0_sel:WORD_1
	v_cvt_f32_f16_e32 v2, v3
	v_cvt_f32_f16_sdwa v3, v3 dst_sel:DWORD dst_unused:UNUSED_PAD src0_sel:WORD_1
	s_waitcnt lgkmcnt(0)
	v_cvt_f32_f16_e32 v10, v6
	v_cvt_f32_f16_sdwa v11, v6 dst_sel:DWORD dst_unused:UNUSED_PAD src0_sel:WORD_1
	v_pk_fma_f32 v[8:9], v[0:1], v[8:9], 0 op_sel_hi:[0,1,0]
	v_mov_b32_e32 v0, v1
	v_pk_fma_f32 v[0:1], v[0:1], v[2:3], v[8:9] op_sel_hi:[0,1,1]
	v_pk_fma_f32 v[0:1], v[4:5], v[10:11], v[0:1] op_sel_hi:[0,1,1]
	v_add_u32_e32 v10, 2, v12
	v_cvt_f32_f16_e32 v2, v7
	v_cvt_f32_f16_sdwa v3, v7 dst_sel:DWORD dst_unused:UNUSED_PAD src0_sel:WORD_1
	v_mov_b32_e32 v4, v5
	v_lshlrev_b32_e32 v5, 2, v10
	v_and_b32_e32 v6, 15, v10
	v_and_or_b32 v5, v5, s9, v6
	v_mad_u32_u24 v5, v5, s8, 0
	v_lshlrev_b32_e32 v14, 3, v16
	v_add_u32_e32 v8, v5, v13
	v_lshl_or_b32 v15, v12, 8, v14
	ds_read2st64_b32 v[6:7], v8 offset1:9
	v_pk_fma_f32 v[0:1], v[4:5], v[2:3], v[0:1] op_sel_hi:[0,1,1]
	global_store_dwordx2 v15, v[0:1], s[6:7]
	v_add_u32_e32 v4, 0x80, v5
	ds_read2st64_b32 v[0:1], v4 offset1:9
	ds_read2st64_b32 v[4:5], v4 offset0:18 offset1:27
	ds_read2st64_b32 v[8:9], v8 offset0:18 offset1:27
	s_waitcnt lgkmcnt(3)
	v_cvt_f32_f16_e32 v2, v6
	v_cvt_f32_f16_sdwa v3, v6 dst_sel:DWORD dst_unused:UNUSED_PAD src0_sel:WORD_1
	v_cvt_f32_f16_e32 v6, v7
	v_cvt_f32_f16_sdwa v7, v7 dst_sel:DWORD dst_unused:UNUSED_PAD src0_sel:WORD_1
	v_lshl_or_b32 v15, v10, 8, v14
	s_waitcnt lgkmcnt(0)
	v_cvt_f32_f16_e32 v10, v8
	v_cvt_f32_f16_sdwa v11, v8 dst_sel:DWORD dst_unused:UNUSED_PAD src0_sel:WORD_1
	v_cvt_f32_f16_e32 v8, v9
	v_cvt_f32_f16_sdwa v9, v9 dst_sel:DWORD dst_unused:UNUSED_PAD src0_sel:WORD_1
	v_pk_fma_f32 v[2:3], v[0:1], v[2:3], 0 op_sel_hi:[0,1,0]
	v_mov_b32_e32 v0, v1
	v_pk_fma_f32 v[0:1], v[0:1], v[6:7], v[2:3] op_sel_hi:[0,1,1]
	v_pk_fma_f32 v[0:1], v[4:5], v[10:11], v[0:1] op_sel_hi:[0,1,1]
	v_mov_b32_e32 v2, v5
	v_pk_fma_f32 v[0:1], v[2:3], v[8:9], v[0:1] op_sel_hi:[0,1,1]
	v_add_u32_e32 v8, 4, v12
	global_store_dwordx2 v15, v[0:1], s[6:7]
	v_lshlrev_b32_e32 v0, 2, v8
	v_and_b32_e32 v1, 15, v8
	v_and_or_b32 v0, v0, s9, v1
	v_mad_u32_u24 v0, v0, s8, 0
	v_add_u32_e32 v4, 0x80, v0
	v_add_u32_e32 v6, v0, v13
	ds_read2st64_b32 v[0:1], v6 offset1:9
	ds_read2st64_b32 v[2:3], v4 offset1:9
	ds_read2st64_b32 v[4:5], v4 offset0:18 offset1:27
	ds_read2st64_b32 v[6:7], v6 offset0:18 offset1:27
	v_lshl_or_b32 v15, v8, 8, v14
	s_waitcnt lgkmcnt(3)
	v_cvt_f32_f16_e32 v8, v0
	v_cvt_f32_f16_sdwa v9, v0 dst_sel:DWORD dst_unused:UNUSED_PAD src0_sel:WORD_1
	v_cvt_f32_f16_e32 v0, v1
	v_cvt_f32_f16_sdwa v1, v1 dst_sel:DWORD dst_unused:UNUSED_PAD src0_sel:WORD_1
	s_waitcnt lgkmcnt(0)
	v_cvt_f32_f16_e32 v10, v6
	v_cvt_f32_f16_sdwa v11, v6 dst_sel:DWORD dst_unused:UNUSED_PAD src0_sel:WORD_1
	v_pk_fma_f32 v[8:9], v[2:3], v[8:9], 0 op_sel_hi:[0,1,0]
	v_mov_b32_e32 v2, v3
	v_pk_fma_f32 v[0:1], v[2:3], v[0:1], v[8:9] op_sel_hi:[0,1,1]
	v_pk_fma_f32 v[0:1], v[4:5], v[10:11], v[0:1] op_sel_hi:[0,1,1]
	v_add_u32_e32 v10, 6, v12
	v_cvt_f32_f16_e32 v2, v7
	v_cvt_f32_f16_sdwa v3, v7 dst_sel:DWORD dst_unused:UNUSED_PAD src0_sel:WORD_1
	v_mov_b32_e32 v4, v5
	v_lshlrev_b32_e32 v5, 2, v10
	v_and_b32_e32 v6, 15, v10
	v_and_or_b32 v5, v5, s9, v6
	v_mad_u32_u24 v5, v5, s8, 0
	v_add_u32_e32 v8, v5, v13
	ds_read2st64_b32 v[6:7], v8 offset1:9
	v_pk_fma_f32 v[0:1], v[4:5], v[2:3], v[0:1] op_sel_hi:[0,1,1]
	global_store_dwordx2 v15, v[0:1], s[6:7]
	v_add_u32_e32 v4, 0x80, v5
	ds_read2st64_b32 v[0:1], v4 offset1:9
	ds_read2st64_b32 v[4:5], v4 offset0:18 offset1:27
	ds_read2st64_b32 v[8:9], v8 offset0:18 offset1:27
	s_waitcnt lgkmcnt(3)
	v_cvt_f32_f16_e32 v2, v6
	v_cvt_f32_f16_sdwa v3, v6 dst_sel:DWORD dst_unused:UNUSED_PAD src0_sel:WORD_1
	v_cvt_f32_f16_e32 v6, v7
	v_cvt_f32_f16_sdwa v7, v7 dst_sel:DWORD dst_unused:UNUSED_PAD src0_sel:WORD_1
	v_lshl_or_b32 v15, v10, 8, v14
	s_waitcnt lgkmcnt(0)
	v_cvt_f32_f16_e32 v10, v8
	v_cvt_f32_f16_sdwa v11, v8 dst_sel:DWORD dst_unused:UNUSED_PAD src0_sel:WORD_1
	v_cvt_f32_f16_e32 v8, v9
	v_cvt_f32_f16_sdwa v9, v9 dst_sel:DWORD dst_unused:UNUSED_PAD src0_sel:WORD_1
	v_pk_fma_f32 v[2:3], v[0:1], v[2:3], 0 op_sel_hi:[0,1,0]
	v_mov_b32_e32 v0, v1
	v_pk_fma_f32 v[0:1], v[0:1], v[6:7], v[2:3] op_sel_hi:[0,1,1]
	v_pk_fma_f32 v[0:1], v[4:5], v[10:11], v[0:1] op_sel_hi:[0,1,1]
	v_mov_b32_e32 v2, v5
	v_pk_fma_f32 v[0:1], v[2:3], v[8:9], v[0:1] op_sel_hi:[0,1,1]
	v_add_u32_e32 v8, 8, v12
	global_store_dwordx2 v15, v[0:1], s[6:7]
	v_lshlrev_b32_e32 v0, 2, v8
	v_and_b32_e32 v1, 15, v8
	v_and_or_b32 v0, v0, s9, v1
	v_mad_u32_u24 v0, v0, s8, 0
	v_add_u32_e32 v4, 0x80, v0
	v_add_u32_e32 v6, v0, v13
	ds_read2st64_b32 v[0:1], v6 offset1:9
	ds_read2st64_b32 v[2:3], v4 offset1:9
	ds_read2st64_b32 v[4:5], v4 offset0:18 offset1:27
	ds_read2st64_b32 v[6:7], v6 offset0:18 offset1:27
	v_lshl_or_b32 v15, v8, 8, v14
	s_waitcnt lgkmcnt(3)
	v_cvt_f32_f16_e32 v8, v0
	v_cvt_f32_f16_sdwa v9, v0 dst_sel:DWORD dst_unused:UNUSED_PAD src0_sel:WORD_1
	v_cvt_f32_f16_e32 v0, v1
	v_cvt_f32_f16_sdwa v1, v1 dst_sel:DWORD dst_unused:UNUSED_PAD src0_sel:WORD_1
	s_waitcnt lgkmcnt(0)
	v_cvt_f32_f16_e32 v10, v6
	v_cvt_f32_f16_sdwa v11, v6 dst_sel:DWORD dst_unused:UNUSED_PAD src0_sel:WORD_1
	v_pk_fma_f32 v[8:9], v[2:3], v[8:9], 0 op_sel_hi:[0,1,0]
	v_mov_b32_e32 v2, v3
	v_pk_fma_f32 v[0:1], v[2:3], v[0:1], v[8:9] op_sel_hi:[0,1,1]
	v_pk_fma_f32 v[0:1], v[4:5], v[10:11], v[0:1] op_sel_hi:[0,1,1]
	v_add_u32_e32 v10, 10, v12
	v_cvt_f32_f16_e32 v2, v7
	v_cvt_f32_f16_sdwa v3, v7 dst_sel:DWORD dst_unused:UNUSED_PAD src0_sel:WORD_1
	v_mov_b32_e32 v4, v5
	v_lshlrev_b32_e32 v5, 2, v10
	v_and_b32_e32 v6, 15, v10
	v_and_or_b32 v5, v5, s9, v6
	v_mad_u32_u24 v5, v5, s8, 0
	v_add_u32_e32 v8, v5, v13
	;; [unrolled: 58-line block ×3, first 2 shown]
	ds_read2st64_b32 v[6:7], v8 offset1:9
	v_pk_fma_f32 v[0:1], v[4:5], v[2:3], v[0:1] op_sel_hi:[0,1,1]
	global_store_dwordx2 v15, v[0:1], s[6:7]
	v_add_u32_e32 v4, 0x80, v5
	ds_read2st64_b32 v[0:1], v4 offset1:9
	ds_read2st64_b32 v[4:5], v4 offset0:18 offset1:27
	ds_read2st64_b32 v[8:9], v8 offset0:18 offset1:27
	s_waitcnt lgkmcnt(3)
	v_cvt_f32_f16_e32 v2, v6
	v_cvt_f32_f16_sdwa v3, v6 dst_sel:DWORD dst_unused:UNUSED_PAD src0_sel:WORD_1
	v_cvt_f32_f16_e32 v6, v7
	v_cvt_f32_f16_sdwa v7, v7 dst_sel:DWORD dst_unused:UNUSED_PAD src0_sel:WORD_1
	v_lshl_or_b32 v12, v10, 8, v14
	s_waitcnt lgkmcnt(0)
	v_cvt_f32_f16_e32 v10, v8
	v_cvt_f32_f16_sdwa v11, v8 dst_sel:DWORD dst_unused:UNUSED_PAD src0_sel:WORD_1
	v_cvt_f32_f16_e32 v8, v9
	v_cvt_f32_f16_sdwa v9, v9 dst_sel:DWORD dst_unused:UNUSED_PAD src0_sel:WORD_1
	v_pk_fma_f32 v[2:3], v[0:1], v[2:3], 0 op_sel_hi:[0,1,0]
	v_mov_b32_e32 v0, v1
	v_pk_fma_f32 v[0:1], v[0:1], v[6:7], v[2:3] op_sel_hi:[0,1,1]
	v_pk_fma_f32 v[0:1], v[4:5], v[10:11], v[0:1] op_sel_hi:[0,1,1]
	v_mov_b32_e32 v2, v5
	v_pk_fma_f32 v[0:1], v[2:3], v[8:9], v[0:1] op_sel_hi:[0,1,1]
	global_store_dwordx2 v12, v[0:1], s[6:7]
.LBB0_219:
	s_or_b64 exec, exec, s[4:5]
	s_barrier
	s_endpgm
	.section	.rodata,"a",@progbits
	.p2align	6, 0x0
	.amdhsa_kernel _ZL18flash_attn_ext_f16ILi64ELi64ELi16ELi1ELb0ELb0EEvPKcS1_S1_S1_S1_PKiPfP15HIP_vector_typeIfLj2EEffffjfiS5_IjLj3EEiiiiiiiiiiiliiliiiiil
		.amdhsa_group_segment_fixed_size 0
		.amdhsa_private_segment_fixed_size 32
		.amdhsa_kernarg_size 464
		.amdhsa_user_sgpr_count 8
		.amdhsa_user_sgpr_private_segment_buffer 1
		.amdhsa_user_sgpr_dispatch_ptr 0
		.amdhsa_user_sgpr_queue_ptr 0
		.amdhsa_user_sgpr_kernarg_segment_ptr 1
		.amdhsa_user_sgpr_dispatch_id 0
		.amdhsa_user_sgpr_flat_scratch_init 1
		.amdhsa_user_sgpr_kernarg_preload_length 0
		.amdhsa_user_sgpr_kernarg_preload_offset 0
		.amdhsa_user_sgpr_private_segment_size 0
		.amdhsa_uses_dynamic_stack 0
		.amdhsa_system_sgpr_private_segment_wavefront_offset 1
		.amdhsa_system_sgpr_workgroup_id_x 1
		.amdhsa_system_sgpr_workgroup_id_y 0
		.amdhsa_system_sgpr_workgroup_id_z 0
		.amdhsa_system_sgpr_workgroup_info 0
		.amdhsa_system_vgpr_workitem_id 1
		.amdhsa_next_free_vgpr 160
		.amdhsa_next_free_sgpr 100
		.amdhsa_accum_offset 160
		.amdhsa_reserve_vcc 1
		.amdhsa_reserve_flat_scratch 1
		.amdhsa_float_round_mode_32 0
		.amdhsa_float_round_mode_16_64 0
		.amdhsa_float_denorm_mode_32 3
		.amdhsa_float_denorm_mode_16_64 3
		.amdhsa_dx10_clamp 1
		.amdhsa_ieee_mode 1
		.amdhsa_fp16_overflow 0
		.amdhsa_tg_split 0
		.amdhsa_exception_fp_ieee_invalid_op 0
		.amdhsa_exception_fp_denorm_src 0
		.amdhsa_exception_fp_ieee_div_zero 0
		.amdhsa_exception_fp_ieee_overflow 0
		.amdhsa_exception_fp_ieee_underflow 0
		.amdhsa_exception_fp_ieee_inexact 0
		.amdhsa_exception_int_div_zero 0
	.end_amdhsa_kernel
	.section	.text._ZL18flash_attn_ext_f16ILi64ELi64ELi16ELi1ELb0ELb0EEvPKcS1_S1_S1_S1_PKiPfP15HIP_vector_typeIfLj2EEffffjfiS5_IjLj3EEiiiiiiiiiiiliiliiiiil,"axG",@progbits,_ZL18flash_attn_ext_f16ILi64ELi64ELi16ELi1ELb0ELb0EEvPKcS1_S1_S1_S1_PKiPfP15HIP_vector_typeIfLj2EEffffjfiS5_IjLj3EEiiiiiiiiiiiliiliiiiil,comdat
.Lfunc_end0:
	.size	_ZL18flash_attn_ext_f16ILi64ELi64ELi16ELi1ELb0ELb0EEvPKcS1_S1_S1_S1_PKiPfP15HIP_vector_typeIfLj2EEffffjfiS5_IjLj3EEiiiiiiiiiiiliiliiiiil, .Lfunc_end0-_ZL18flash_attn_ext_f16ILi64ELi64ELi16ELi1ELb0ELb0EEvPKcS1_S1_S1_S1_PKiPfP15HIP_vector_typeIfLj2EEffffjfiS5_IjLj3EEiiiiiiiiiiiliiliiiiil
                                        ; -- End function
	.section	.AMDGPU.csdata,"",@progbits
; Kernel info:
; codeLenInByte = 32504
; NumSgprs: 106
; NumVgprs: 160
; NumAgprs: 0
; TotalNumVgprs: 160
; ScratchSize: 32
; MemoryBound: 0
; FloatMode: 240
; IeeeMode: 1
; LDSByteSize: 0 bytes/workgroup (compile time only)
; SGPRBlocks: 13
; VGPRBlocks: 19
; NumSGPRsForWavesPerEU: 106
; NumVGPRsForWavesPerEU: 160
; AccumOffset: 160
; Occupancy: 3
; WaveLimiterHint : 0
; COMPUTE_PGM_RSRC2:SCRATCH_EN: 1
; COMPUTE_PGM_RSRC2:USER_SGPR: 8
; COMPUTE_PGM_RSRC2:TRAP_HANDLER: 0
; COMPUTE_PGM_RSRC2:TGID_X_EN: 1
; COMPUTE_PGM_RSRC2:TGID_Y_EN: 0
; COMPUTE_PGM_RSRC2:TGID_Z_EN: 0
; COMPUTE_PGM_RSRC2:TIDIG_COMP_CNT: 1
; COMPUTE_PGM_RSRC3_GFX90A:ACCUM_OFFSET: 39
; COMPUTE_PGM_RSRC3_GFX90A:TG_SPLIT: 0
	.text
	.p2align	2                               ; -- Begin function __ockl_printf_append_string_n
	.type	__ockl_printf_append_string_n,@function
__ockl_printf_append_string_n:          ; @__ockl_printf_append_string_n
; %bb.0:
	s_waitcnt vmcnt(0) expcnt(0) lgkmcnt(0)
	v_mov_b32_e32 v7, v3
	v_mov_b32_e32 v6, v2
	;; [unrolled: 1-line block ×3, first 2 shown]
	s_mov_b64 s[6:7], 0
	v_cmp_ne_u64_e32 vcc, 0, v[6:7]
	v_mbcnt_lo_u32_b32 v2, -1, 0
	s_and_saveexec_b64 s[4:5], vcc
	s_xor_b64 s[10:11], exec, s[4:5]
	s_cbranch_execz .LBB1_86
; %bb.1:
	s_load_dwordx2 s[12:13], s[8:9], 0x50
	v_and_b32_e32 v28, 2, v3
	s_mov_b32 s22, 0
	v_mov_b32_e32 v31, 0
	v_and_b32_e32 v0, -3, v3
	v_mbcnt_hi_u32_b32 v32, -1, v2
	s_movk_i32 s23, 0xff1f
	v_mov_b32_e32 v10, 2
	v_mov_b32_e32 v11, 1
	s_branch .LBB1_3
.LBB1_2:                                ;   in Loop: Header=BB1_3 Depth=1
	s_or_b64 exec, exec, s[16:17]
	v_sub_co_u32_e32 v4, vcc, v4, v34
	v_subb_co_u32_e32 v5, vcc, v5, v35, vcc
	v_cmp_eq_u64_e32 vcc, 0, v[4:5]
	s_or_b64 s[6:7], vcc, s[6:7]
	v_add_co_u32_e32 v6, vcc, v6, v34
	v_addc_co_u32_e32 v7, vcc, v7, v35, vcc
	s_andn2_b64 exec, exec, s[6:7]
	s_cbranch_execz .LBB1_85
.LBB1_3:                                ; =>This Loop Header: Depth=1
                                        ;     Child Loop BB1_6 Depth 2
                                        ;     Child Loop BB1_14 Depth 2
	;; [unrolled: 1-line block ×11, first 2 shown]
	v_cmp_gt_u64_e32 vcc, 56, v[4:5]
	v_cndmask_b32_e32 v35, 0, v5, vcc
	v_cndmask_b32_e32 v34, 56, v4, vcc
	v_cmp_gt_u64_e32 vcc, 8, v[4:5]
                                        ; implicit-def: $vgpr2_vgpr3
                                        ; implicit-def: $sgpr14
	s_and_saveexec_b64 s[4:5], vcc
	s_xor_b64 s[4:5], exec, s[4:5]
	s_cbranch_execz .LBB1_9
; %bb.4:                                ;   in Loop: Header=BB1_3 Depth=1
	s_mov_b64 s[16:17], 0
	v_cmp_ne_u64_e32 vcc, 0, v[4:5]
	s_waitcnt vmcnt(0)
	v_pk_mov_b32 v[2:3], 0, 0
	s_and_saveexec_b64 s[14:15], vcc
	s_cbranch_execz .LBB1_8
; %bb.5:                                ;   in Loop: Header=BB1_3 Depth=1
	v_lshlrev_b64 v[8:9], 3, v[34:35]
	v_pk_mov_b32 v[2:3], 0, 0
	v_pk_mov_b32 v[12:13], v[6:7], v[6:7] op_sel:[0,1]
	s_mov_b64 s[18:19], 0
.LBB1_6:                                ;   Parent Loop BB1_3 Depth=1
                                        ; =>  This Inner Loop Header: Depth=2
	flat_load_ubyte v9, v[12:13]
	v_mov_b32_e32 v15, s22
	v_add_co_u32_e32 v12, vcc, 1, v12
	v_addc_co_u32_e32 v13, vcc, 0, v13, vcc
	s_waitcnt vmcnt(0) lgkmcnt(0)
	v_and_b32_e32 v14, 0xffff, v9
	v_lshlrev_b64 v[14:15], s18, v[14:15]
	s_add_u32 s18, s18, 8
	s_addc_u32 s19, s19, 0
	v_cmp_eq_u32_e32 vcc, s18, v8
	v_or_b32_e32 v3, v15, v3
	s_or_b64 s[16:17], vcc, s[16:17]
	v_or_b32_e32 v2, v14, v2
	s_andn2_b64 exec, exec, s[16:17]
	s_cbranch_execnz .LBB1_6
; %bb.7:                                ;   in Loop: Header=BB1_3 Depth=1
	s_or_b64 exec, exec, s[16:17]
.LBB1_8:                                ;   in Loop: Header=BB1_3 Depth=1
	s_or_b64 exec, exec, s[14:15]
	s_mov_b32 s14, 0
.LBB1_9:                                ;   in Loop: Header=BB1_3 Depth=1
	s_or_saveexec_b64 s[4:5], s[4:5]
	v_mov_b32_e32 v14, s14
	v_pk_mov_b32 v[8:9], v[6:7], v[6:7] op_sel:[0,1]
	s_xor_b64 exec, exec, s[4:5]
	s_cbranch_execz .LBB1_11
; %bb.10:                               ;   in Loop: Header=BB1_3 Depth=1
	s_waitcnt vmcnt(0)
	flat_load_dwordx2 v[2:3], v[6:7]
	v_add_u32_e32 v14, -8, v34
	s_waitcnt vmcnt(0) lgkmcnt(0)
	v_and_b32_e32 v8, 0xff, v3
	v_and_b32_e32 v9, 0xff00, v3
	;; [unrolled: 1-line block ×4, first 2 shown]
	v_or_b32_e32 v8, v8, v9
	v_or3_b32 v3, v8, v12, v3
	v_add_co_u32_e32 v8, vcc, 8, v6
	v_or3_b32 v2, v2, 0, 0
	v_addc_co_u32_e32 v9, vcc, 0, v7, vcc
.LBB1_11:                               ;   in Loop: Header=BB1_3 Depth=1
	s_or_b64 exec, exec, s[4:5]
	v_cmp_gt_u32_e32 vcc, 8, v14
                                        ; implicit-def: $vgpr12_vgpr13
                                        ; implicit-def: $sgpr14
	s_and_saveexec_b64 s[4:5], vcc
	s_xor_b64 s[4:5], exec, s[4:5]
	s_cbranch_execz .LBB1_17
; %bb.12:                               ;   in Loop: Header=BB1_3 Depth=1
	v_cmp_ne_u32_e32 vcc, 0, v14
	v_pk_mov_b32 v[12:13], 0, 0
	s_and_saveexec_b64 s[14:15], vcc
	s_cbranch_execz .LBB1_16
; %bb.13:                               ;   in Loop: Header=BB1_3 Depth=1
	s_mov_b64 s[16:17], 0
	v_pk_mov_b32 v[12:13], 0, 0
	s_mov_b64 s[18:19], 0
	s_mov_b64 s[20:21], 0
.LBB1_14:                               ;   Parent Loop BB1_3 Depth=1
                                        ; =>  This Inner Loop Header: Depth=2
	v_mov_b32_e32 v15, s21
	v_add_co_u32_e32 v16, vcc, s20, v8
	v_addc_co_u32_e32 v17, vcc, v9, v15, vcc
	flat_load_ubyte v15, v[16:17]
	s_add_u32 s20, s20, 1
	v_mov_b32_e32 v17, s22
	s_addc_u32 s21, s21, 0
	v_cmp_eq_u32_e32 vcc, s20, v14
	s_waitcnt vmcnt(0) lgkmcnt(0)
	v_and_b32_e32 v16, 0xffff, v15
	v_lshlrev_b64 v[16:17], s18, v[16:17]
	s_add_u32 s18, s18, 8
	s_addc_u32 s19, s19, 0
	v_or_b32_e32 v13, v17, v13
	s_or_b64 s[16:17], vcc, s[16:17]
	v_or_b32_e32 v12, v16, v12
	s_andn2_b64 exec, exec, s[16:17]
	s_cbranch_execnz .LBB1_14
; %bb.15:                               ;   in Loop: Header=BB1_3 Depth=1
	s_or_b64 exec, exec, s[16:17]
.LBB1_16:                               ;   in Loop: Header=BB1_3 Depth=1
	s_or_b64 exec, exec, s[14:15]
	s_mov_b32 s14, 0
                                        ; implicit-def: $vgpr14
.LBB1_17:                               ;   in Loop: Header=BB1_3 Depth=1
	s_or_saveexec_b64 s[4:5], s[4:5]
	v_mov_b32_e32 v16, s14
	s_xor_b64 exec, exec, s[4:5]
	s_cbranch_execz .LBB1_19
; %bb.18:                               ;   in Loop: Header=BB1_3 Depth=1
	flat_load_dwordx2 v[12:13], v[8:9]
	v_add_u32_e32 v16, -8, v14
	v_add_co_u32_e32 v8, vcc, 8, v8
	v_addc_co_u32_e32 v9, vcc, 0, v9, vcc
	s_waitcnt vmcnt(0) lgkmcnt(0)
	v_and_b32_e32 v14, 0xff, v13
	v_and_b32_e32 v15, 0xff00, v13
	;; [unrolled: 1-line block ×4, first 2 shown]
	v_or_b32_e32 v14, v14, v15
	v_or3_b32 v12, v12, 0, 0
	v_or3_b32 v13, v14, v17, v13
.LBB1_19:                               ;   in Loop: Header=BB1_3 Depth=1
	s_or_b64 exec, exec, s[4:5]
	v_cmp_gt_u32_e32 vcc, 8, v16
                                        ; implicit-def: $sgpr14
	s_and_saveexec_b64 s[4:5], vcc
	s_xor_b64 s[4:5], exec, s[4:5]
	s_cbranch_execz .LBB1_25
; %bb.20:                               ;   in Loop: Header=BB1_3 Depth=1
	v_cmp_ne_u32_e32 vcc, 0, v16
	v_pk_mov_b32 v[14:15], 0, 0
	s_and_saveexec_b64 s[14:15], vcc
	s_cbranch_execz .LBB1_24
; %bb.21:                               ;   in Loop: Header=BB1_3 Depth=1
	s_mov_b64 s[16:17], 0
	v_pk_mov_b32 v[14:15], 0, 0
	s_mov_b64 s[18:19], 0
	s_mov_b64 s[20:21], 0
.LBB1_22:                               ;   Parent Loop BB1_3 Depth=1
                                        ; =>  This Inner Loop Header: Depth=2
	v_mov_b32_e32 v17, s21
	v_add_co_u32_e32 v18, vcc, s20, v8
	v_addc_co_u32_e32 v19, vcc, v9, v17, vcc
	flat_load_ubyte v17, v[18:19]
	s_add_u32 s20, s20, 1
	v_mov_b32_e32 v19, s22
	s_addc_u32 s21, s21, 0
	v_cmp_eq_u32_e32 vcc, s20, v16
	s_waitcnt vmcnt(0) lgkmcnt(0)
	v_and_b32_e32 v18, 0xffff, v17
	v_lshlrev_b64 v[18:19], s18, v[18:19]
	s_add_u32 s18, s18, 8
	s_addc_u32 s19, s19, 0
	v_or_b32_e32 v15, v19, v15
	s_or_b64 s[16:17], vcc, s[16:17]
	v_or_b32_e32 v14, v18, v14
	s_andn2_b64 exec, exec, s[16:17]
	s_cbranch_execnz .LBB1_22
; %bb.23:                               ;   in Loop: Header=BB1_3 Depth=1
	s_or_b64 exec, exec, s[16:17]
.LBB1_24:                               ;   in Loop: Header=BB1_3 Depth=1
	s_or_b64 exec, exec, s[14:15]
	s_mov_b32 s14, 0
                                        ; implicit-def: $vgpr16
.LBB1_25:                               ;   in Loop: Header=BB1_3 Depth=1
	s_or_saveexec_b64 s[4:5], s[4:5]
	v_mov_b32_e32 v18, s14
	s_xor_b64 exec, exec, s[4:5]
	s_cbranch_execz .LBB1_27
; %bb.26:                               ;   in Loop: Header=BB1_3 Depth=1
	flat_load_dwordx2 v[14:15], v[8:9]
	v_add_u32_e32 v18, -8, v16
	v_add_co_u32_e32 v8, vcc, 8, v8
	v_addc_co_u32_e32 v9, vcc, 0, v9, vcc
	s_waitcnt vmcnt(0) lgkmcnt(0)
	v_and_b32_e32 v16, 0xff, v15
	v_and_b32_e32 v17, 0xff00, v15
	;; [unrolled: 1-line block ×4, first 2 shown]
	v_or_b32_e32 v16, v16, v17
	v_or3_b32 v14, v14, 0, 0
	v_or3_b32 v15, v16, v19, v15
.LBB1_27:                               ;   in Loop: Header=BB1_3 Depth=1
	s_or_b64 exec, exec, s[4:5]
	v_cmp_gt_u32_e32 vcc, 8, v18
                                        ; implicit-def: $vgpr16_vgpr17
                                        ; implicit-def: $sgpr14
	s_and_saveexec_b64 s[4:5], vcc
	s_xor_b64 s[4:5], exec, s[4:5]
	s_cbranch_execz .LBB1_33
; %bb.28:                               ;   in Loop: Header=BB1_3 Depth=1
	v_cmp_ne_u32_e32 vcc, 0, v18
	v_pk_mov_b32 v[16:17], 0, 0
	s_and_saveexec_b64 s[14:15], vcc
	s_cbranch_execz .LBB1_32
; %bb.29:                               ;   in Loop: Header=BB1_3 Depth=1
	s_mov_b64 s[16:17], 0
	v_pk_mov_b32 v[16:17], 0, 0
	s_mov_b64 s[18:19], 0
	s_mov_b64 s[20:21], 0
.LBB1_30:                               ;   Parent Loop BB1_3 Depth=1
                                        ; =>  This Inner Loop Header: Depth=2
	v_mov_b32_e32 v19, s21
	v_add_co_u32_e32 v20, vcc, s20, v8
	v_addc_co_u32_e32 v21, vcc, v9, v19, vcc
	flat_load_ubyte v19, v[20:21]
	s_add_u32 s20, s20, 1
	v_mov_b32_e32 v21, s22
	s_addc_u32 s21, s21, 0
	v_cmp_eq_u32_e32 vcc, s20, v18
	s_waitcnt vmcnt(0) lgkmcnt(0)
	v_and_b32_e32 v20, 0xffff, v19
	v_lshlrev_b64 v[20:21], s18, v[20:21]
	s_add_u32 s18, s18, 8
	s_addc_u32 s19, s19, 0
	v_or_b32_e32 v17, v21, v17
	s_or_b64 s[16:17], vcc, s[16:17]
	v_or_b32_e32 v16, v20, v16
	s_andn2_b64 exec, exec, s[16:17]
	s_cbranch_execnz .LBB1_30
; %bb.31:                               ;   in Loop: Header=BB1_3 Depth=1
	s_or_b64 exec, exec, s[16:17]
.LBB1_32:                               ;   in Loop: Header=BB1_3 Depth=1
	s_or_b64 exec, exec, s[14:15]
	s_mov_b32 s14, 0
                                        ; implicit-def: $vgpr18
.LBB1_33:                               ;   in Loop: Header=BB1_3 Depth=1
	s_or_saveexec_b64 s[4:5], s[4:5]
	v_mov_b32_e32 v20, s14
	s_xor_b64 exec, exec, s[4:5]
	s_cbranch_execz .LBB1_35
; %bb.34:                               ;   in Loop: Header=BB1_3 Depth=1
	flat_load_dwordx2 v[16:17], v[8:9]
	v_add_u32_e32 v20, -8, v18
	v_add_co_u32_e32 v8, vcc, 8, v8
	v_addc_co_u32_e32 v9, vcc, 0, v9, vcc
	s_waitcnt vmcnt(0) lgkmcnt(0)
	v_and_b32_e32 v18, 0xff, v17
	v_and_b32_e32 v19, 0xff00, v17
	;; [unrolled: 1-line block ×4, first 2 shown]
	v_or_b32_e32 v18, v18, v19
	v_or3_b32 v16, v16, 0, 0
	v_or3_b32 v17, v18, v21, v17
.LBB1_35:                               ;   in Loop: Header=BB1_3 Depth=1
	s_or_b64 exec, exec, s[4:5]
	v_cmp_gt_u32_e32 vcc, 8, v20
                                        ; implicit-def: $sgpr14
	s_and_saveexec_b64 s[4:5], vcc
	s_xor_b64 s[4:5], exec, s[4:5]
	s_cbranch_execz .LBB1_41
; %bb.36:                               ;   in Loop: Header=BB1_3 Depth=1
	v_cmp_ne_u32_e32 vcc, 0, v20
	v_pk_mov_b32 v[18:19], 0, 0
	s_and_saveexec_b64 s[14:15], vcc
	s_cbranch_execz .LBB1_40
; %bb.37:                               ;   in Loop: Header=BB1_3 Depth=1
	s_mov_b64 s[16:17], 0
	v_pk_mov_b32 v[18:19], 0, 0
	s_mov_b64 s[18:19], 0
	s_mov_b64 s[20:21], 0
.LBB1_38:                               ;   Parent Loop BB1_3 Depth=1
                                        ; =>  This Inner Loop Header: Depth=2
	v_mov_b32_e32 v21, s21
	v_add_co_u32_e32 v22, vcc, s20, v8
	v_addc_co_u32_e32 v23, vcc, v9, v21, vcc
	flat_load_ubyte v21, v[22:23]
	s_add_u32 s20, s20, 1
	v_mov_b32_e32 v23, s22
	s_addc_u32 s21, s21, 0
	v_cmp_eq_u32_e32 vcc, s20, v20
	s_waitcnt vmcnt(0) lgkmcnt(0)
	v_and_b32_e32 v22, 0xffff, v21
	v_lshlrev_b64 v[22:23], s18, v[22:23]
	s_add_u32 s18, s18, 8
	s_addc_u32 s19, s19, 0
	v_or_b32_e32 v19, v23, v19
	s_or_b64 s[16:17], vcc, s[16:17]
	v_or_b32_e32 v18, v22, v18
	s_andn2_b64 exec, exec, s[16:17]
	s_cbranch_execnz .LBB1_38
; %bb.39:                               ;   in Loop: Header=BB1_3 Depth=1
	s_or_b64 exec, exec, s[16:17]
.LBB1_40:                               ;   in Loop: Header=BB1_3 Depth=1
	s_or_b64 exec, exec, s[14:15]
	s_mov_b32 s14, 0
                                        ; implicit-def: $vgpr20
.LBB1_41:                               ;   in Loop: Header=BB1_3 Depth=1
	s_or_saveexec_b64 s[4:5], s[4:5]
	v_mov_b32_e32 v22, s14
	s_xor_b64 exec, exec, s[4:5]
	s_cbranch_execz .LBB1_43
; %bb.42:                               ;   in Loop: Header=BB1_3 Depth=1
	flat_load_dwordx2 v[18:19], v[8:9]
	v_add_u32_e32 v22, -8, v20
	v_add_co_u32_e32 v8, vcc, 8, v8
	v_addc_co_u32_e32 v9, vcc, 0, v9, vcc
	s_waitcnt vmcnt(0) lgkmcnt(0)
	v_and_b32_e32 v20, 0xff, v19
	v_and_b32_e32 v21, 0xff00, v19
	;; [unrolled: 1-line block ×4, first 2 shown]
	v_or_b32_e32 v20, v20, v21
	v_or3_b32 v18, v18, 0, 0
	v_or3_b32 v19, v20, v23, v19
.LBB1_43:                               ;   in Loop: Header=BB1_3 Depth=1
	s_or_b64 exec, exec, s[4:5]
	v_cmp_gt_u32_e32 vcc, 8, v22
                                        ; implicit-def: $vgpr20_vgpr21
                                        ; implicit-def: $sgpr14
	s_and_saveexec_b64 s[4:5], vcc
	s_xor_b64 s[4:5], exec, s[4:5]
	s_cbranch_execz .LBB1_49
; %bb.44:                               ;   in Loop: Header=BB1_3 Depth=1
	v_cmp_ne_u32_e32 vcc, 0, v22
	v_pk_mov_b32 v[20:21], 0, 0
	s_and_saveexec_b64 s[14:15], vcc
	s_cbranch_execz .LBB1_48
; %bb.45:                               ;   in Loop: Header=BB1_3 Depth=1
	s_mov_b64 s[16:17], 0
	v_pk_mov_b32 v[20:21], 0, 0
	s_mov_b64 s[18:19], 0
	s_mov_b64 s[20:21], 0
.LBB1_46:                               ;   Parent Loop BB1_3 Depth=1
                                        ; =>  This Inner Loop Header: Depth=2
	v_mov_b32_e32 v23, s21
	v_add_co_u32_e32 v24, vcc, s20, v8
	v_addc_co_u32_e32 v25, vcc, v9, v23, vcc
	flat_load_ubyte v23, v[24:25]
	s_add_u32 s20, s20, 1
	v_mov_b32_e32 v25, s22
	s_addc_u32 s21, s21, 0
	v_cmp_eq_u32_e32 vcc, s20, v22
	s_waitcnt vmcnt(0) lgkmcnt(0)
	v_and_b32_e32 v24, 0xffff, v23
	v_lshlrev_b64 v[24:25], s18, v[24:25]
	s_add_u32 s18, s18, 8
	s_addc_u32 s19, s19, 0
	v_or_b32_e32 v21, v25, v21
	s_or_b64 s[16:17], vcc, s[16:17]
	v_or_b32_e32 v20, v24, v20
	s_andn2_b64 exec, exec, s[16:17]
	s_cbranch_execnz .LBB1_46
; %bb.47:                               ;   in Loop: Header=BB1_3 Depth=1
	s_or_b64 exec, exec, s[16:17]
.LBB1_48:                               ;   in Loop: Header=BB1_3 Depth=1
	s_or_b64 exec, exec, s[14:15]
	s_mov_b32 s14, 0
                                        ; implicit-def: $vgpr22
.LBB1_49:                               ;   in Loop: Header=BB1_3 Depth=1
	s_or_saveexec_b64 s[4:5], s[4:5]
	v_mov_b32_e32 v24, s14
	s_xor_b64 exec, exec, s[4:5]
	s_cbranch_execz .LBB1_51
; %bb.50:                               ;   in Loop: Header=BB1_3 Depth=1
	flat_load_dwordx2 v[20:21], v[8:9]
	v_add_u32_e32 v24, -8, v22
	v_add_co_u32_e32 v8, vcc, 8, v8
	v_addc_co_u32_e32 v9, vcc, 0, v9, vcc
	s_waitcnt vmcnt(0) lgkmcnt(0)
	v_and_b32_e32 v22, 0xff, v21
	v_and_b32_e32 v23, 0xff00, v21
	;; [unrolled: 1-line block ×4, first 2 shown]
	v_or_b32_e32 v22, v22, v23
	v_or3_b32 v20, v20, 0, 0
	v_or3_b32 v21, v22, v25, v21
.LBB1_51:                               ;   in Loop: Header=BB1_3 Depth=1
	s_or_b64 exec, exec, s[4:5]
	v_cmp_gt_u32_e32 vcc, 8, v24
	s_and_saveexec_b64 s[4:5], vcc
	s_xor_b64 s[4:5], exec, s[4:5]
	s_cbranch_execz .LBB1_57
; %bb.52:                               ;   in Loop: Header=BB1_3 Depth=1
	v_cmp_ne_u32_e32 vcc, 0, v24
	v_pk_mov_b32 v[22:23], 0, 0
	s_and_saveexec_b64 s[14:15], vcc
	s_cbranch_execz .LBB1_56
; %bb.53:                               ;   in Loop: Header=BB1_3 Depth=1
	s_mov_b64 s[16:17], 0
	v_pk_mov_b32 v[22:23], 0, 0
	s_mov_b64 s[18:19], 0
.LBB1_54:                               ;   Parent Loop BB1_3 Depth=1
                                        ; =>  This Inner Loop Header: Depth=2
	flat_load_ubyte v25, v[8:9]
	v_mov_b32_e32 v27, s22
	v_add_co_u32_e32 v8, vcc, 1, v8
	v_add_u32_e32 v24, -1, v24
	v_addc_co_u32_e32 v9, vcc, 0, v9, vcc
	v_cmp_eq_u32_e32 vcc, 0, v24
	s_waitcnt vmcnt(0) lgkmcnt(0)
	v_and_b32_e32 v26, 0xffff, v25
	v_lshlrev_b64 v[26:27], s18, v[26:27]
	s_add_u32 s18, s18, 8
	s_addc_u32 s19, s19, 0
	v_or_b32_e32 v23, v27, v23
	s_or_b64 s[16:17], vcc, s[16:17]
	v_or_b32_e32 v22, v26, v22
	s_andn2_b64 exec, exec, s[16:17]
	s_cbranch_execnz .LBB1_54
; %bb.55:                               ;   in Loop: Header=BB1_3 Depth=1
	s_or_b64 exec, exec, s[16:17]
.LBB1_56:                               ;   in Loop: Header=BB1_3 Depth=1
	s_or_b64 exec, exec, s[14:15]
                                        ; implicit-def: $vgpr8_vgpr9
.LBB1_57:                               ;   in Loop: Header=BB1_3 Depth=1
	s_andn2_saveexec_b64 s[4:5], s[4:5]
	s_cbranch_execz .LBB1_59
; %bb.58:                               ;   in Loop: Header=BB1_3 Depth=1
	flat_load_dwordx2 v[8:9], v[8:9]
	s_waitcnt vmcnt(0) lgkmcnt(0)
	v_and_b32_e32 v22, 0xff, v9
	v_and_b32_e32 v23, 0xff00, v9
	;; [unrolled: 1-line block ×4, first 2 shown]
	v_or_b32_e32 v22, v22, v23
	v_or3_b32 v23, v22, v24, v9
	v_or3_b32 v22, v8, 0, 0
.LBB1_59:                               ;   in Loop: Header=BB1_3 Depth=1
	s_or_b64 exec, exec, s[4:5]
	v_readfirstlane_b32 s4, v32
	v_cmp_eq_u32_e64 s[4:5], s4, v32
	v_pk_mov_b32 v[8:9], 0, 0
	s_and_saveexec_b64 s[14:15], s[4:5]
	s_cbranch_execz .LBB1_65
; %bb.60:                               ;   in Loop: Header=BB1_3 Depth=1
	s_waitcnt lgkmcnt(0)
	global_load_dwordx2 v[26:27], v31, s[12:13] offset:24 glc
	s_waitcnt vmcnt(0)
	buffer_invl2
	buffer_wbinvl1_vol
	global_load_dwordx2 v[8:9], v31, s[12:13] offset:40
	global_load_dwordx2 v[24:25], v31, s[12:13]
	s_waitcnt vmcnt(1)
	v_and_b32_e32 v8, v8, v26
	v_and_b32_e32 v9, v9, v27
	v_mul_lo_u32 v9, v9, 24
	v_mul_hi_u32 v29, v8, 24
	v_mul_lo_u32 v8, v8, 24
	v_add_u32_e32 v9, v29, v9
	s_waitcnt vmcnt(0)
	v_add_co_u32_e32 v8, vcc, v24, v8
	v_addc_co_u32_e32 v9, vcc, v25, v9, vcc
	global_load_dwordx2 v[24:25], v[8:9], off glc
	s_waitcnt vmcnt(0)
	global_atomic_cmpswap_x2 v[8:9], v31, v[24:27], s[12:13] offset:24 glc
	s_waitcnt vmcnt(0)
	buffer_invl2
	buffer_wbinvl1_vol
	v_cmp_ne_u64_e32 vcc, v[8:9], v[26:27]
	s_and_saveexec_b64 s[16:17], vcc
	s_cbranch_execz .LBB1_64
; %bb.61:                               ;   in Loop: Header=BB1_3 Depth=1
	s_mov_b64 s[18:19], 0
.LBB1_62:                               ;   Parent Loop BB1_3 Depth=1
                                        ; =>  This Inner Loop Header: Depth=2
	s_sleep 1
	global_load_dwordx2 v[24:25], v31, s[12:13] offset:40
	global_load_dwordx2 v[36:37], v31, s[12:13]
	v_pk_mov_b32 v[26:27], v[8:9], v[8:9] op_sel:[0,1]
	s_waitcnt vmcnt(1)
	v_and_b32_e32 v8, v24, v26
	s_waitcnt vmcnt(0)
	v_mad_u64_u32 v[8:9], s[20:21], v8, 24, v[36:37]
	v_and_b32_e32 v25, v25, v27
	v_mov_b32_e32 v24, v9
	v_mad_u64_u32 v[24:25], s[20:21], v25, 24, v[24:25]
	v_mov_b32_e32 v9, v24
	global_load_dwordx2 v[24:25], v[8:9], off glc
	s_waitcnt vmcnt(0)
	global_atomic_cmpswap_x2 v[8:9], v31, v[24:27], s[12:13] offset:24 glc
	s_waitcnt vmcnt(0)
	buffer_invl2
	buffer_wbinvl1_vol
	v_cmp_eq_u64_e32 vcc, v[8:9], v[26:27]
	s_or_b64 s[18:19], vcc, s[18:19]
	s_andn2_b64 exec, exec, s[18:19]
	s_cbranch_execnz .LBB1_62
; %bb.63:                               ;   in Loop: Header=BB1_3 Depth=1
	s_or_b64 exec, exec, s[18:19]
.LBB1_64:                               ;   in Loop: Header=BB1_3 Depth=1
	s_or_b64 exec, exec, s[16:17]
.LBB1_65:                               ;   in Loop: Header=BB1_3 Depth=1
	s_or_b64 exec, exec, s[14:15]
	s_waitcnt lgkmcnt(0)
	global_load_dwordx2 v[36:37], v31, s[12:13] offset:40
	global_load_dwordx4 v[24:27], v31, s[12:13]
	v_readfirstlane_b32 s14, v8
	v_readfirstlane_b32 s15, v9
	s_mov_b64 s[16:17], exec
	s_waitcnt vmcnt(1)
	v_readfirstlane_b32 s18, v36
	v_readfirstlane_b32 s19, v37
	s_and_b64 s[18:19], s[14:15], s[18:19]
	s_mul_i32 s20, s19, 24
	s_mul_hi_u32 s21, s18, 24
	s_mul_i32 s24, s18, 24
	s_add_i32 s20, s21, s20
	v_mov_b32_e32 v8, s20
	s_waitcnt vmcnt(0)
	v_add_co_u32_e32 v36, vcc, s24, v24
	v_addc_co_u32_e32 v37, vcc, v25, v8, vcc
	s_and_saveexec_b64 s[20:21], s[4:5]
	s_cbranch_execz .LBB1_67
; %bb.66:                               ;   in Loop: Header=BB1_3 Depth=1
	v_pk_mov_b32 v[8:9], s[16:17], s[16:17] op_sel:[0,1]
	global_store_dwordx4 v[36:37], v[8:11], off offset:8
.LBB1_67:                               ;   in Loop: Header=BB1_3 Depth=1
	s_or_b64 exec, exec, s[20:21]
	s_lshl_b64 s[16:17], s[18:19], 12
	v_mov_b32_e32 v9, s17
	v_add_co_u32_e32 v8, vcc, s16, v26
	v_addc_co_u32_e32 v9, vcc, v27, v9, vcc
	v_or_b32_e32 v26, 0, v1
	v_cmp_lt_u64_e32 vcc, 56, v[4:5]
	v_or_b32_e32 v27, v0, v28
	v_cndmask_b32_e32 v1, v26, v1, vcc
	v_lshl_add_u32 v26, v34, 2, 28
	v_cndmask_b32_e32 v0, v27, v0, vcc
	v_and_b32_e32 v26, 0x1e0, v26
	v_and_or_b32 v0, v0, s23, v26
	v_lshlrev_b32_e32 v26, 6, v32
	v_readfirstlane_b32 s16, v8
	v_readfirstlane_b32 s17, v9
	s_nop 4
	global_store_dwordx4 v26, v[0:3], s[16:17]
	global_store_dwordx4 v26, v[12:15], s[16:17] offset:16
	global_store_dwordx4 v26, v[16:19], s[16:17] offset:32
	;; [unrolled: 1-line block ×3, first 2 shown]
	s_and_saveexec_b64 s[16:17], s[4:5]
	s_cbranch_execz .LBB1_75
; %bb.68:                               ;   in Loop: Header=BB1_3 Depth=1
	global_load_dwordx2 v[16:17], v31, s[12:13] offset:32 glc
	global_load_dwordx2 v[0:1], v31, s[12:13] offset:40
	v_mov_b32_e32 v14, s14
	v_mov_b32_e32 v15, s15
	s_waitcnt vmcnt(0)
	v_readfirstlane_b32 s18, v0
	v_readfirstlane_b32 s19, v1
	s_and_b64 s[18:19], s[18:19], s[14:15]
	s_mul_i32 s19, s19, 24
	s_mul_hi_u32 s20, s18, 24
	s_mul_i32 s18, s18, 24
	s_add_i32 s19, s20, s19
	v_mov_b32_e32 v0, s19
	v_add_co_u32_e32 v12, vcc, s18, v24
	v_addc_co_u32_e32 v13, vcc, v25, v0, vcc
	global_store_dwordx2 v[12:13], v[16:17], off
	buffer_wbl2
	s_waitcnt vmcnt(0)
	global_atomic_cmpswap_x2 v[2:3], v31, v[14:17], s[12:13] offset:32 glc
	s_waitcnt vmcnt(0)
	v_cmp_ne_u64_e32 vcc, v[2:3], v[16:17]
	s_and_saveexec_b64 s[18:19], vcc
	s_cbranch_execz .LBB1_71
; %bb.69:                               ;   in Loop: Header=BB1_3 Depth=1
	s_mov_b64 s[20:21], 0
.LBB1_70:                               ;   Parent Loop BB1_3 Depth=1
                                        ; =>  This Inner Loop Header: Depth=2
	s_sleep 1
	global_store_dwordx2 v[12:13], v[2:3], off
	v_mov_b32_e32 v0, s14
	v_mov_b32_e32 v1, s15
	buffer_wbl2
	s_waitcnt vmcnt(0)
	global_atomic_cmpswap_x2 v[0:1], v31, v[0:3], s[12:13] offset:32 glc
	s_waitcnt vmcnt(0)
	v_cmp_eq_u64_e32 vcc, v[0:1], v[2:3]
	s_or_b64 s[20:21], vcc, s[20:21]
	v_pk_mov_b32 v[2:3], v[0:1], v[0:1] op_sel:[0,1]
	s_andn2_b64 exec, exec, s[20:21]
	s_cbranch_execnz .LBB1_70
.LBB1_71:                               ;   in Loop: Header=BB1_3 Depth=1
	s_or_b64 exec, exec, s[18:19]
	global_load_dwordx2 v[0:1], v31, s[12:13] offset:16
	s_mov_b64 s[20:21], exec
	v_mbcnt_lo_u32_b32 v2, s20, 0
	v_mbcnt_hi_u32_b32 v2, s21, v2
	v_cmp_eq_u32_e32 vcc, 0, v2
	s_and_saveexec_b64 s[18:19], vcc
	s_cbranch_execz .LBB1_73
; %bb.72:                               ;   in Loop: Header=BB1_3 Depth=1
	s_bcnt1_i32_b64 s20, s[20:21]
	v_mov_b32_e32 v30, s20
	buffer_wbl2
	s_waitcnt vmcnt(0)
	global_atomic_add_x2 v[0:1], v[30:31], off offset:8
.LBB1_73:                               ;   in Loop: Header=BB1_3 Depth=1
	s_or_b64 exec, exec, s[18:19]
	s_waitcnt vmcnt(0)
	global_load_dwordx2 v[2:3], v[0:1], off offset:16
	s_waitcnt vmcnt(0)
	v_cmp_eq_u64_e32 vcc, 0, v[2:3]
	s_cbranch_vccnz .LBB1_75
; %bb.74:                               ;   in Loop: Header=BB1_3 Depth=1
	global_load_dword v30, v[0:1], off offset:24
	s_waitcnt vmcnt(0)
	v_and_b32_e32 v0, 0xffffff, v30
	v_readfirstlane_b32 m0, v0
	buffer_wbl2
	global_store_dwordx2 v[2:3], v[30:31], off
	s_sendmsg sendmsg(MSG_INTERRUPT)
.LBB1_75:                               ;   in Loop: Header=BB1_3 Depth=1
	s_or_b64 exec, exec, s[16:17]
	v_add_co_u32_e32 v0, vcc, v8, v26
	v_addc_co_u32_e32 v1, vcc, 0, v9, vcc
	s_branch .LBB1_79
.LBB1_76:                               ;   in Loop: Header=BB1_79 Depth=2
	s_or_b64 exec, exec, s[16:17]
	v_readfirstlane_b32 s16, v2
	s_cmp_eq_u32 s16, 0
	s_cbranch_scc1 .LBB1_78
; %bb.77:                               ;   in Loop: Header=BB1_79 Depth=2
	s_sleep 1
	s_cbranch_execnz .LBB1_79
	s_branch .LBB1_81
.LBB1_78:                               ;   in Loop: Header=BB1_3 Depth=1
	s_branch .LBB1_81
.LBB1_79:                               ;   Parent Loop BB1_3 Depth=1
                                        ; =>  This Inner Loop Header: Depth=2
	v_mov_b32_e32 v2, 1
	s_and_saveexec_b64 s[16:17], s[4:5]
	s_cbranch_execz .LBB1_76
; %bb.80:                               ;   in Loop: Header=BB1_79 Depth=2
	global_load_dword v2, v[36:37], off offset:20 glc
	s_waitcnt vmcnt(0)
	buffer_invl2
	buffer_wbinvl1_vol
	v_and_b32_e32 v2, 1, v2
	s_branch .LBB1_76
.LBB1_81:                               ;   in Loop: Header=BB1_3 Depth=1
	global_load_dwordx4 v[0:3], v[0:1], off
	s_and_saveexec_b64 s[16:17], s[4:5]
	s_cbranch_execz .LBB1_2
; %bb.82:                               ;   in Loop: Header=BB1_3 Depth=1
	global_load_dwordx2 v[2:3], v31, s[12:13] offset:40
	global_load_dwordx2 v[8:9], v31, s[12:13] offset:24 glc
	global_load_dwordx2 v[16:17], v31, s[12:13]
	v_mov_b32_e32 v13, s15
	s_waitcnt vmcnt(2)
	v_add_co_u32_e32 v15, vcc, 1, v2
	v_addc_co_u32_e32 v18, vcc, 0, v3, vcc
	v_add_co_u32_e32 v12, vcc, s14, v15
	v_addc_co_u32_e32 v13, vcc, v18, v13, vcc
	v_cmp_eq_u64_e32 vcc, 0, v[12:13]
	v_cndmask_b32_e32 v13, v13, v18, vcc
	v_cndmask_b32_e32 v12, v12, v15, vcc
	v_and_b32_e32 v3, v13, v3
	v_and_b32_e32 v2, v12, v2
	v_mul_lo_u32 v3, v3, 24
	v_mul_hi_u32 v15, v2, 24
	v_mul_lo_u32 v2, v2, 24
	v_add_u32_e32 v3, v15, v3
	s_waitcnt vmcnt(0)
	v_add_co_u32_e32 v2, vcc, v16, v2
	v_addc_co_u32_e32 v3, vcc, v17, v3, vcc
	v_mov_b32_e32 v14, v8
	global_store_dwordx2 v[2:3], v[8:9], off
	v_mov_b32_e32 v15, v9
	buffer_wbl2
	s_waitcnt vmcnt(0)
	global_atomic_cmpswap_x2 v[14:15], v31, v[12:15], s[12:13] offset:24 glc
	s_waitcnt vmcnt(0)
	v_cmp_ne_u64_e32 vcc, v[14:15], v[8:9]
	s_and_b64 exec, exec, vcc
	s_cbranch_execz .LBB1_2
; %bb.83:                               ;   in Loop: Header=BB1_3 Depth=1
	s_mov_b64 s[4:5], 0
.LBB1_84:                               ;   Parent Loop BB1_3 Depth=1
                                        ; =>  This Inner Loop Header: Depth=2
	s_sleep 1
	global_store_dwordx2 v[2:3], v[14:15], off
	buffer_wbl2
	s_waitcnt vmcnt(0)
	global_atomic_cmpswap_x2 v[8:9], v31, v[12:15], s[12:13] offset:24 glc
	s_waitcnt vmcnt(0)
	v_cmp_eq_u64_e32 vcc, v[8:9], v[14:15]
	s_or_b64 s[4:5], vcc, s[4:5]
	v_pk_mov_b32 v[14:15], v[8:9], v[8:9] op_sel:[0,1]
	s_andn2_b64 exec, exec, s[4:5]
	s_cbranch_execnz .LBB1_84
	s_branch .LBB1_2
.LBB1_85:
	s_or_b64 exec, exec, s[6:7]
                                        ; implicit-def: $vgpr3
                                        ; implicit-def: $vgpr2
.LBB1_86:
	s_andn2_saveexec_b64 s[6:7], s[10:11]
	s_cbranch_execz .LBB1_109
; %bb.87:
	s_load_dwordx2 s[8:9], s[8:9], 0x50
	s_waitcnt vmcnt(0)
	v_mbcnt_hi_u32_b32 v10, -1, v2
	v_readfirstlane_b32 s4, v10
	v_cmp_eq_u32_e64 s[4:5], s4, v10
	v_pk_mov_b32 v[8:9], 0, 0
	s_and_saveexec_b64 s[10:11], s[4:5]
	s_cbranch_execz .LBB1_93
; %bb.88:
	v_mov_b32_e32 v0, 0
	s_waitcnt lgkmcnt(0)
	global_load_dwordx2 v[6:7], v0, s[8:9] offset:24 glc
	s_waitcnt vmcnt(0)
	buffer_invl2
	buffer_wbinvl1_vol
	global_load_dwordx2 v[4:5], v0, s[8:9] offset:40
	global_load_dwordx2 v[8:9], v0, s[8:9]
	s_waitcnt vmcnt(1)
	v_and_b32_e32 v2, v4, v6
	v_and_b32_e32 v4, v5, v7
	v_mul_lo_u32 v4, v4, 24
	v_mul_hi_u32 v5, v2, 24
	v_mul_lo_u32 v2, v2, 24
	v_add_u32_e32 v5, v5, v4
	s_waitcnt vmcnt(0)
	v_add_co_u32_e32 v4, vcc, v8, v2
	v_addc_co_u32_e32 v5, vcc, v9, v5, vcc
	global_load_dwordx2 v[4:5], v[4:5], off glc
	s_waitcnt vmcnt(0)
	global_atomic_cmpswap_x2 v[8:9], v0, v[4:7], s[8:9] offset:24 glc
	s_waitcnt vmcnt(0)
	buffer_invl2
	buffer_wbinvl1_vol
	v_cmp_ne_u64_e32 vcc, v[8:9], v[6:7]
	s_and_saveexec_b64 s[12:13], vcc
	s_cbranch_execz .LBB1_92
; %bb.89:
	s_mov_b64 s[14:15], 0
.LBB1_90:                               ; =>This Inner Loop Header: Depth=1
	s_sleep 1
	global_load_dwordx2 v[4:5], v0, s[8:9] offset:40
	global_load_dwordx2 v[12:13], v0, s[8:9]
	v_pk_mov_b32 v[6:7], v[8:9], v[8:9] op_sel:[0,1]
	s_waitcnt vmcnt(1)
	v_and_b32_e32 v2, v4, v6
	v_and_b32_e32 v8, v5, v7
	s_waitcnt vmcnt(0)
	v_mad_u64_u32 v[4:5], s[16:17], v2, 24, v[12:13]
	v_mov_b32_e32 v2, v5
	v_mad_u64_u32 v[8:9], s[16:17], v8, 24, v[2:3]
	v_mov_b32_e32 v5, v8
	global_load_dwordx2 v[4:5], v[4:5], off glc
	s_waitcnt vmcnt(0)
	global_atomic_cmpswap_x2 v[8:9], v0, v[4:7], s[8:9] offset:24 glc
	s_waitcnt vmcnt(0)
	buffer_invl2
	buffer_wbinvl1_vol
	v_cmp_eq_u64_e32 vcc, v[8:9], v[6:7]
	s_or_b64 s[14:15], vcc, s[14:15]
	s_andn2_b64 exec, exec, s[14:15]
	s_cbranch_execnz .LBB1_90
; %bb.91:
	s_or_b64 exec, exec, s[14:15]
.LBB1_92:
	s_or_b64 exec, exec, s[12:13]
.LBB1_93:
	s_or_b64 exec, exec, s[10:11]
	v_mov_b32_e32 v2, 0
	s_waitcnt lgkmcnt(0)
	global_load_dwordx2 v[12:13], v2, s[8:9] offset:40
	global_load_dwordx4 v[4:7], v2, s[8:9]
	v_readfirstlane_b32 s10, v8
	v_readfirstlane_b32 s11, v9
	s_mov_b64 s[12:13], exec
	s_waitcnt vmcnt(1)
	v_readfirstlane_b32 s14, v12
	v_readfirstlane_b32 s15, v13
	s_and_b64 s[14:15], s[10:11], s[14:15]
	s_mul_i32 s16, s15, 24
	s_mul_hi_u32 s17, s14, 24
	s_mul_i32 s18, s14, 24
	s_add_i32 s16, s17, s16
	v_mov_b32_e32 v0, s16
	s_waitcnt vmcnt(0)
	v_add_co_u32_e32 v8, vcc, s18, v4
	v_addc_co_u32_e32 v9, vcc, v5, v0, vcc
	s_and_saveexec_b64 s[16:17], s[4:5]
	s_cbranch_execz .LBB1_95
; %bb.94:
	v_pk_mov_b32 v[12:13], s[12:13], s[12:13] op_sel:[0,1]
	v_mov_b32_e32 v14, 2
	v_mov_b32_e32 v15, 1
	global_store_dwordx4 v[8:9], v[12:15], off offset:8
.LBB1_95:
	s_or_b64 exec, exec, s[16:17]
	s_lshl_b64 s[12:13], s[14:15], 12
	v_mov_b32_e32 v0, s13
	v_add_co_u32_e32 v12, vcc, s12, v6
	s_movk_i32 s12, 0xff1f
	v_addc_co_u32_e32 v11, vcc, v7, v0, vcc
	v_and_or_b32 v0, v3, s12, 32
	s_mov_b32 s12, 0
	v_lshlrev_b32_e32 v10, 6, v10
	v_mov_b32_e32 v3, v2
	v_readfirstlane_b32 s16, v12
	v_readfirstlane_b32 s17, v11
	s_mov_b32 s13, s12
	v_add_co_u32_e32 v6, vcc, v12, v10
	s_mov_b32 s14, s12
	s_mov_b32 s15, s12
	s_nop 0
	global_store_dwordx4 v10, v[0:3], s[16:17]
	v_addc_co_u32_e32 v7, vcc, 0, v11, vcc
	v_pk_mov_b32 v[0:1], s[12:13], s[12:13] op_sel:[0,1]
	v_pk_mov_b32 v[2:3], s[14:15], s[14:15] op_sel:[0,1]
	global_store_dwordx4 v10, v[0:3], s[16:17] offset:16
	global_store_dwordx4 v10, v[0:3], s[16:17] offset:32
	;; [unrolled: 1-line block ×3, first 2 shown]
	s_and_saveexec_b64 s[12:13], s[4:5]
	s_cbranch_execz .LBB1_103
; %bb.96:
	v_mov_b32_e32 v10, 0
	global_load_dwordx2 v[14:15], v10, s[8:9] offset:32 glc
	global_load_dwordx2 v[0:1], v10, s[8:9] offset:40
	v_mov_b32_e32 v12, s10
	v_mov_b32_e32 v13, s11
	s_waitcnt vmcnt(0)
	v_and_b32_e32 v0, s10, v0
	v_and_b32_e32 v1, s11, v1
	v_mul_lo_u32 v1, v1, 24
	v_mul_hi_u32 v2, v0, 24
	v_mul_lo_u32 v0, v0, 24
	v_add_u32_e32 v1, v2, v1
	v_add_co_u32_e32 v4, vcc, v4, v0
	v_addc_co_u32_e32 v5, vcc, v5, v1, vcc
	global_store_dwordx2 v[4:5], v[14:15], off
	buffer_wbl2
	s_waitcnt vmcnt(0)
	global_atomic_cmpswap_x2 v[2:3], v10, v[12:15], s[8:9] offset:32 glc
	s_waitcnt vmcnt(0)
	v_cmp_ne_u64_e32 vcc, v[2:3], v[14:15]
	s_and_saveexec_b64 s[14:15], vcc
	s_cbranch_execz .LBB1_99
; %bb.97:
	s_mov_b64 s[16:17], 0
.LBB1_98:                               ; =>This Inner Loop Header: Depth=1
	s_sleep 1
	global_store_dwordx2 v[4:5], v[2:3], off
	v_mov_b32_e32 v0, s10
	v_mov_b32_e32 v1, s11
	buffer_wbl2
	s_waitcnt vmcnt(0)
	global_atomic_cmpswap_x2 v[0:1], v10, v[0:3], s[8:9] offset:32 glc
	s_waitcnt vmcnt(0)
	v_cmp_eq_u64_e32 vcc, v[0:1], v[2:3]
	s_or_b64 s[16:17], vcc, s[16:17]
	v_pk_mov_b32 v[2:3], v[0:1], v[0:1] op_sel:[0,1]
	s_andn2_b64 exec, exec, s[16:17]
	s_cbranch_execnz .LBB1_98
.LBB1_99:
	s_or_b64 exec, exec, s[14:15]
	v_mov_b32_e32 v3, 0
	global_load_dwordx2 v[0:1], v3, s[8:9] offset:16
	s_mov_b64 s[14:15], exec
	v_mbcnt_lo_u32_b32 v2, s14, 0
	v_mbcnt_hi_u32_b32 v2, s15, v2
	v_cmp_eq_u32_e32 vcc, 0, v2
	s_and_saveexec_b64 s[16:17], vcc
	s_cbranch_execz .LBB1_101
; %bb.100:
	s_bcnt1_i32_b64 s14, s[14:15]
	v_mov_b32_e32 v2, s14
	buffer_wbl2
	s_waitcnt vmcnt(0)
	global_atomic_add_x2 v[0:1], v[2:3], off offset:8
.LBB1_101:
	s_or_b64 exec, exec, s[16:17]
	s_waitcnt vmcnt(0)
	global_load_dwordx2 v[2:3], v[0:1], off offset:16
	s_waitcnt vmcnt(0)
	v_cmp_eq_u64_e32 vcc, 0, v[2:3]
	s_cbranch_vccnz .LBB1_103
; %bb.102:
	global_load_dword v0, v[0:1], off offset:24
	v_mov_b32_e32 v1, 0
	buffer_wbl2
	s_waitcnt vmcnt(0)
	global_store_dwordx2 v[2:3], v[0:1], off
	v_and_b32_e32 v0, 0xffffff, v0
	v_readfirstlane_b32 m0, v0
	s_sendmsg sendmsg(MSG_INTERRUPT)
.LBB1_103:
	s_or_b64 exec, exec, s[12:13]
	s_branch .LBB1_107
.LBB1_104:                              ;   in Loop: Header=BB1_107 Depth=1
	s_or_b64 exec, exec, s[12:13]
	v_readfirstlane_b32 s12, v0
	s_cmp_eq_u32 s12, 0
	s_cbranch_scc1 .LBB1_106
; %bb.105:                              ;   in Loop: Header=BB1_107 Depth=1
	s_sleep 1
	s_cbranch_execnz .LBB1_107
	s_branch .LBB1_110
.LBB1_106:
	s_branch .LBB1_110
.LBB1_107:                              ; =>This Inner Loop Header: Depth=1
	v_mov_b32_e32 v0, 1
	s_and_saveexec_b64 s[12:13], s[4:5]
	s_cbranch_execz .LBB1_104
; %bb.108:                              ;   in Loop: Header=BB1_107 Depth=1
	global_load_dword v0, v[8:9], off offset:20 glc
	s_waitcnt vmcnt(0)
	buffer_invl2
	buffer_wbinvl1_vol
	v_and_b32_e32 v0, 1, v0
	s_branch .LBB1_104
.LBB1_109:
	s_or_b64 exec, exec, s[6:7]
	s_waitcnt vmcnt(0) lgkmcnt(0)
	s_setpc_b64 s[30:31]
.LBB1_110:
	global_load_dwordx2 v[0:1], v[6:7], off
	s_and_saveexec_b64 s[12:13], s[4:5]
	s_cbranch_execz .LBB1_113
; %bb.111:
	v_mov_b32_e32 v8, 0
	global_load_dwordx2 v[6:7], v8, s[8:9] offset:40
	global_load_dwordx2 v[10:11], v8, s[8:9] offset:24 glc
	global_load_dwordx2 v[12:13], v8, s[8:9]
	v_mov_b32_e32 v3, s11
	s_mov_b64 s[4:5], 0
	s_waitcnt vmcnt(2)
	v_add_co_u32_e32 v5, vcc, 1, v6
	v_addc_co_u32_e32 v9, vcc, 0, v7, vcc
	v_add_co_u32_e32 v2, vcc, s10, v5
	v_addc_co_u32_e32 v3, vcc, v9, v3, vcc
	v_cmp_eq_u64_e32 vcc, 0, v[2:3]
	v_cndmask_b32_e32 v3, v3, v9, vcc
	v_cndmask_b32_e32 v2, v2, v5, vcc
	v_and_b32_e32 v5, v3, v7
	v_and_b32_e32 v6, v2, v6
	v_mul_lo_u32 v5, v5, 24
	v_mul_hi_u32 v7, v6, 24
	v_mul_lo_u32 v6, v6, 24
	v_add_u32_e32 v5, v7, v5
	s_waitcnt vmcnt(0)
	v_add_co_u32_e32 v6, vcc, v12, v6
	v_addc_co_u32_e32 v7, vcc, v13, v5, vcc
	v_mov_b32_e32 v4, v10
	global_store_dwordx2 v[6:7], v[10:11], off
	v_mov_b32_e32 v5, v11
	buffer_wbl2
	s_waitcnt vmcnt(0)
	global_atomic_cmpswap_x2 v[4:5], v8, v[2:5], s[8:9] offset:24 glc
	s_waitcnt vmcnt(0)
	v_cmp_ne_u64_e32 vcc, v[4:5], v[10:11]
	s_and_b64 exec, exec, vcc
	s_cbranch_execz .LBB1_113
.LBB1_112:                              ; =>This Inner Loop Header: Depth=1
	s_sleep 1
	global_store_dwordx2 v[6:7], v[4:5], off
	buffer_wbl2
	s_waitcnt vmcnt(0)
	global_atomic_cmpswap_x2 v[10:11], v8, v[2:5], s[8:9] offset:24 glc
	s_waitcnt vmcnt(0)
	v_cmp_eq_u64_e32 vcc, v[10:11], v[4:5]
	s_or_b64 s[4:5], vcc, s[4:5]
	v_pk_mov_b32 v[4:5], v[10:11], v[10:11] op_sel:[0,1]
	s_andn2_b64 exec, exec, s[4:5]
	s_cbranch_execnz .LBB1_112
.LBB1_113:
	s_or_b64 exec, exec, s[12:13]
	s_or_b64 exec, exec, s[6:7]
	s_waitcnt vmcnt(0) lgkmcnt(0)
	s_setpc_b64 s[30:31]
.Lfunc_end1:
	.size	__ockl_printf_append_string_n, .Lfunc_end1-__ockl_printf_append_string_n
                                        ; -- End function
	.section	.AMDGPU.csdata,"",@progbits
; Function info:
; codeLenInByte = 4376
; NumSgprs: 36
; NumVgprs: 38
; NumAgprs: 0
; TotalNumVgprs: 38
; ScratchSize: 0
; MemoryBound: 0
	.text
	.p2align	2                               ; -- Begin function __ockl_printf_append_args
	.type	__ockl_printf_append_args,@function
__ockl_printf_append_args:              ; @__ockl_printf_append_args
; %bb.0:
	s_waitcnt vmcnt(0) expcnt(0) lgkmcnt(0)
	s_load_dwordx2 s[6:7], s[8:9], 0x50
	v_mbcnt_lo_u32_b32 v5, -1, 0
	v_mbcnt_hi_u32_b32 v5, -1, v5
	v_readfirstlane_b32 s4, v5
	v_cmp_eq_u32_e64 s[4:5], s4, v5
	v_pk_mov_b32 v[10:11], 0, 0
	s_and_saveexec_b64 s[8:9], s[4:5]
	s_cbranch_execz .LBB2_6
; %bb.1:
	v_mov_b32_e32 v6, 0
	s_waitcnt lgkmcnt(0)
	global_load_dwordx2 v[12:13], v6, s[6:7] offset:24 glc
	s_waitcnt vmcnt(0)
	buffer_invl2
	buffer_wbinvl1_vol
	global_load_dwordx2 v[8:9], v6, s[6:7] offset:40
	global_load_dwordx2 v[10:11], v6, s[6:7]
	s_waitcnt vmcnt(1)
	v_and_b32_e32 v7, v8, v12
	v_and_b32_e32 v8, v9, v13
	v_mul_lo_u32 v8, v8, 24
	v_mul_hi_u32 v9, v7, 24
	v_mul_lo_u32 v7, v7, 24
	v_add_u32_e32 v9, v9, v8
	s_waitcnt vmcnt(0)
	v_add_co_u32_e32 v8, vcc, v10, v7
	v_addc_co_u32_e32 v9, vcc, v11, v9, vcc
	global_load_dwordx2 v[10:11], v[8:9], off glc
	s_waitcnt vmcnt(0)
	global_atomic_cmpswap_x2 v[10:11], v6, v[10:13], s[6:7] offset:24 glc
	s_waitcnt vmcnt(0)
	buffer_invl2
	buffer_wbinvl1_vol
	v_cmp_ne_u64_e32 vcc, v[10:11], v[12:13]
	s_and_saveexec_b64 s[10:11], vcc
	s_cbranch_execz .LBB2_5
; %bb.2:
	s_mov_b64 s[12:13], 0
.LBB2_3:                                ; =>This Inner Loop Header: Depth=1
	s_sleep 1
	global_load_dwordx2 v[8:9], v6, s[6:7] offset:40
	global_load_dwordx2 v[14:15], v6, s[6:7]
	v_pk_mov_b32 v[12:13], v[10:11], v[10:11] op_sel:[0,1]
	s_waitcnt vmcnt(1)
	v_and_b32_e32 v8, v8, v12
	v_and_b32_e32 v7, v9, v13
	s_waitcnt vmcnt(0)
	v_mad_u64_u32 v[8:9], s[14:15], v8, 24, v[14:15]
	v_mov_b32_e32 v10, v9
	v_mad_u64_u32 v[10:11], s[14:15], v7, 24, v[10:11]
	v_mov_b32_e32 v9, v10
	global_load_dwordx2 v[10:11], v[8:9], off glc
	s_waitcnt vmcnt(0)
	global_atomic_cmpswap_x2 v[10:11], v6, v[10:13], s[6:7] offset:24 glc
	s_waitcnt vmcnt(0)
	buffer_invl2
	buffer_wbinvl1_vol
	v_cmp_eq_u64_e32 vcc, v[10:11], v[12:13]
	s_or_b64 s[12:13], vcc, s[12:13]
	s_andn2_b64 exec, exec, s[12:13]
	s_cbranch_execnz .LBB2_3
; %bb.4:
	s_or_b64 exec, exec, s[12:13]
.LBB2_5:
	s_or_b64 exec, exec, s[10:11]
.LBB2_6:
	s_or_b64 exec, exec, s[8:9]
	v_mov_b32_e32 v14, 0
	s_waitcnt lgkmcnt(0)
	global_load_dwordx2 v[12:13], v14, s[6:7] offset:40
	global_load_dwordx4 v[6:9], v14, s[6:7]
	v_readfirstlane_b32 s8, v10
	v_readfirstlane_b32 s9, v11
	s_mov_b64 s[10:11], exec
	s_waitcnt vmcnt(1)
	v_readfirstlane_b32 s12, v12
	v_readfirstlane_b32 s13, v13
	s_and_b64 s[12:13], s[8:9], s[12:13]
	s_mul_i32 s14, s13, 24
	s_mul_hi_u32 s15, s12, 24
	s_mul_i32 s16, s12, 24
	s_add_i32 s14, s15, s14
	v_mov_b32_e32 v11, s14
	s_waitcnt vmcnt(0)
	v_add_co_u32_e32 v10, vcc, s16, v6
	v_addc_co_u32_e32 v11, vcc, v7, v11, vcc
	s_and_saveexec_b64 s[14:15], s[4:5]
	s_cbranch_execz .LBB2_8
; %bb.7:
	v_pk_mov_b32 v[12:13], s[10:11], s[10:11] op_sel:[0,1]
	v_mov_b32_e32 v14, 2
	v_mov_b32_e32 v15, 1
	global_store_dwordx4 v[10:11], v[12:15], off offset:8
.LBB2_8:
	s_or_b64 exec, exec, s[14:15]
	s_lshl_b64 s[10:11], s[12:13], 12
	v_mov_b32_e32 v12, s11
	v_add_co_u32_e32 v8, vcc, s10, v8
	v_addc_co_u32_e32 v9, vcc, v9, v12, vcc
	v_or_b32_e32 v12, 2, v0
	v_cmp_eq_u32_e32 vcc, 0, v4
	s_mov_b32 s12, 0
	v_cndmask_b32_e32 v0, v12, v0, vcc
	s_movk_i32 s10, 0xff1f
	v_and_or_b32 v0, v0, s10, 32
	v_lshlrev_b32_e32 v4, 6, v5
	v_readfirstlane_b32 s10, v8
	v_readfirstlane_b32 s11, v9
	s_mov_b32 s13, s12
	s_mov_b32 s14, s12
	;; [unrolled: 1-line block ×3, first 2 shown]
	s_nop 1
	global_store_dwordx4 v4, v[0:3], s[10:11]
	s_nop 0
	v_pk_mov_b32 v[0:1], s[12:13], s[12:13] op_sel:[0,1]
	v_pk_mov_b32 v[2:3], s[14:15], s[14:15] op_sel:[0,1]
	global_store_dwordx4 v4, v[0:3], s[10:11] offset:16
	global_store_dwordx4 v4, v[0:3], s[10:11] offset:32
	;; [unrolled: 1-line block ×3, first 2 shown]
	s_and_saveexec_b64 s[10:11], s[4:5]
	s_cbranch_execz .LBB2_16
; %bb.9:
	v_mov_b32_e32 v8, 0
	global_load_dwordx2 v[14:15], v8, s[6:7] offset:32 glc
	global_load_dwordx2 v[0:1], v8, s[6:7] offset:40
	v_mov_b32_e32 v12, s8
	v_mov_b32_e32 v13, s9
	s_waitcnt vmcnt(0)
	v_and_b32_e32 v0, s8, v0
	v_and_b32_e32 v1, s9, v1
	v_mul_lo_u32 v1, v1, 24
	v_mul_hi_u32 v2, v0, 24
	v_mul_lo_u32 v0, v0, 24
	v_add_u32_e32 v1, v2, v1
	v_add_co_u32_e32 v4, vcc, v6, v0
	v_addc_co_u32_e32 v5, vcc, v7, v1, vcc
	global_store_dwordx2 v[4:5], v[14:15], off
	buffer_wbl2
	s_waitcnt vmcnt(0)
	global_atomic_cmpswap_x2 v[2:3], v8, v[12:15], s[6:7] offset:32 glc
	s_waitcnt vmcnt(0)
	v_cmp_ne_u64_e32 vcc, v[2:3], v[14:15]
	s_and_saveexec_b64 s[12:13], vcc
	s_cbranch_execz .LBB2_12
; %bb.10:
	s_mov_b64 s[14:15], 0
.LBB2_11:                               ; =>This Inner Loop Header: Depth=1
	s_sleep 1
	global_store_dwordx2 v[4:5], v[2:3], off
	v_mov_b32_e32 v0, s8
	v_mov_b32_e32 v1, s9
	buffer_wbl2
	s_waitcnt vmcnt(0)
	global_atomic_cmpswap_x2 v[0:1], v8, v[0:3], s[6:7] offset:32 glc
	s_waitcnt vmcnt(0)
	v_cmp_eq_u64_e32 vcc, v[0:1], v[2:3]
	s_or_b64 s[14:15], vcc, s[14:15]
	v_pk_mov_b32 v[2:3], v[0:1], v[0:1] op_sel:[0,1]
	s_andn2_b64 exec, exec, s[14:15]
	s_cbranch_execnz .LBB2_11
.LBB2_12:
	s_or_b64 exec, exec, s[12:13]
	v_mov_b32_e32 v3, 0
	global_load_dwordx2 v[0:1], v3, s[6:7] offset:16
	s_mov_b64 s[12:13], exec
	v_mbcnt_lo_u32_b32 v2, s12, 0
	v_mbcnt_hi_u32_b32 v2, s13, v2
	v_cmp_eq_u32_e32 vcc, 0, v2
	s_and_saveexec_b64 s[14:15], vcc
	s_cbranch_execz .LBB2_14
; %bb.13:
	s_bcnt1_i32_b64 s12, s[12:13]
	v_mov_b32_e32 v2, s12
	buffer_wbl2
	s_waitcnt vmcnt(0)
	global_atomic_add_x2 v[0:1], v[2:3], off offset:8
.LBB2_14:
	s_or_b64 exec, exec, s[14:15]
	s_waitcnt vmcnt(0)
	global_load_dwordx2 v[2:3], v[0:1], off offset:16
	s_waitcnt vmcnt(0)
	v_cmp_eq_u64_e32 vcc, 0, v[2:3]
	s_cbranch_vccnz .LBB2_16
; %bb.15:
	global_load_dword v0, v[0:1], off offset:24
	v_mov_b32_e32 v1, 0
	buffer_wbl2
	s_waitcnt vmcnt(0)
	global_store_dwordx2 v[2:3], v[0:1], off
	v_and_b32_e32 v0, 0xffffff, v0
	v_readfirstlane_b32 m0, v0
	s_sendmsg sendmsg(MSG_INTERRUPT)
.LBB2_16:
	s_or_b64 exec, exec, s[10:11]
	s_branch .LBB2_20
.LBB2_17:                               ;   in Loop: Header=BB2_20 Depth=1
	s_or_b64 exec, exec, s[10:11]
	v_readfirstlane_b32 s10, v0
	s_cmp_eq_u32 s10, 0
	s_cbranch_scc1 .LBB2_19
; %bb.18:                               ;   in Loop: Header=BB2_20 Depth=1
	s_sleep 1
	s_cbranch_execnz .LBB2_20
	s_branch .LBB2_22
.LBB2_19:
	s_branch .LBB2_22
.LBB2_20:                               ; =>This Inner Loop Header: Depth=1
	v_mov_b32_e32 v0, 1
	s_and_saveexec_b64 s[10:11], s[4:5]
	s_cbranch_execz .LBB2_17
; %bb.21:                               ;   in Loop: Header=BB2_20 Depth=1
	global_load_dword v0, v[10:11], off offset:20 glc
	s_waitcnt vmcnt(0)
	buffer_invl2
	buffer_wbinvl1_vol
	v_and_b32_e32 v0, 1, v0
	s_branch .LBB2_17
.LBB2_22:
	s_and_saveexec_b64 s[10:11], s[4:5]
	s_cbranch_execz .LBB2_25
; %bb.23:
	v_mov_b32_e32 v6, 0
	global_load_dwordx2 v[4:5], v6, s[6:7] offset:40
	global_load_dwordx2 v[8:9], v6, s[6:7] offset:24 glc
	global_load_dwordx2 v[10:11], v6, s[6:7]
	v_mov_b32_e32 v1, s9
	s_mov_b64 s[4:5], 0
	s_waitcnt vmcnt(2)
	v_add_co_u32_e32 v3, vcc, 1, v4
	v_addc_co_u32_e32 v7, vcc, 0, v5, vcc
	v_add_co_u32_e32 v0, vcc, s8, v3
	v_addc_co_u32_e32 v1, vcc, v7, v1, vcc
	v_cmp_eq_u64_e32 vcc, 0, v[0:1]
	v_cndmask_b32_e32 v1, v1, v7, vcc
	v_cndmask_b32_e32 v0, v0, v3, vcc
	v_and_b32_e32 v3, v1, v5
	v_and_b32_e32 v4, v0, v4
	v_mul_lo_u32 v3, v3, 24
	v_mul_hi_u32 v5, v4, 24
	v_mul_lo_u32 v4, v4, 24
	v_add_u32_e32 v3, v5, v3
	s_waitcnt vmcnt(0)
	v_add_co_u32_e32 v4, vcc, v10, v4
	v_addc_co_u32_e32 v5, vcc, v11, v3, vcc
	v_mov_b32_e32 v2, v8
	global_store_dwordx2 v[4:5], v[8:9], off
	v_mov_b32_e32 v3, v9
	buffer_wbl2
	s_waitcnt vmcnt(0)
	global_atomic_cmpswap_x2 v[2:3], v6, v[0:3], s[6:7] offset:24 glc
	s_waitcnt vmcnt(0)
	v_cmp_ne_u64_e32 vcc, v[2:3], v[8:9]
	s_and_b64 exec, exec, vcc
	s_cbranch_execz .LBB2_25
.LBB2_24:                               ; =>This Inner Loop Header: Depth=1
	s_sleep 1
	global_store_dwordx2 v[4:5], v[2:3], off
	buffer_wbl2
	s_waitcnt vmcnt(0)
	global_atomic_cmpswap_x2 v[8:9], v6, v[0:3], s[6:7] offset:24 glc
	s_waitcnt vmcnt(0)
	v_cmp_eq_u64_e32 vcc, v[8:9], v[2:3]
	s_or_b64 s[4:5], vcc, s[4:5]
	v_pk_mov_b32 v[2:3], v[8:9], v[8:9] op_sel:[0,1]
	s_andn2_b64 exec, exec, s[4:5]
	s_cbranch_execnz .LBB2_24
.LBB2_25:
	s_or_b64 exec, exec, s[10:11]
	s_waitcnt vmcnt(0) lgkmcnt(0)
	s_setpc_b64 s[30:31]
.Lfunc_end2:
	.size	__ockl_printf_append_args, .Lfunc_end2-__ockl_printf_append_args
                                        ; -- End function
	.section	.AMDGPU.csdata,"",@progbits
; Function info:
; codeLenInByte = 1284
; NumSgprs: 36
; NumVgprs: 16
; NumAgprs: 0
; TotalNumVgprs: 16
; ScratchSize: 0
; MemoryBound: 0
	.text
	.p2align	2                               ; -- Begin function _ZL14no_device_codePKciS0_iS0_
	.type	_ZL14no_device_codePKciS0_iS0_,@function
_ZL14no_device_codePKciS0_iS0_:         ; @_ZL14no_device_codePKciS0_iS0_
; %bb.0:
	s_waitcnt vmcnt(0) expcnt(0) lgkmcnt(0)
	s_mov_b32 s25, s33
	s_mov_b32 s33, s32
	s_xor_saveexec_b64 s[4:5], -1
	buffer_store_dword v38, off, s[0:3], s33 ; 4-byte Folded Spill
	s_mov_b64 exec, s[4:5]
	v_writelane_b32 v38, s30, 0
	s_addk_i32 s32, 0x400
	v_writelane_b32 v38, s31, 1
	s_load_dwordx2 s[6:7], s[8:9], 0x50
	v_mbcnt_lo_u32_b32 v0, -1, 0
	v_mbcnt_hi_u32_b32 v35, -1, v0
	v_readfirstlane_b32 s4, v35
	s_mov_b64 s[26:27], s[8:9]
	v_cmp_eq_u32_e64 s[4:5], s4, v35
	v_pk_mov_b32 v[6:7], 0, 0
	s_and_saveexec_b64 s[10:11], s[4:5]
	s_cbranch_execz .LBB3_6
; %bb.1:
	v_mov_b32_e32 v0, 0
	s_waitcnt lgkmcnt(0)
	global_load_dwordx2 v[4:5], v0, s[6:7] offset:24 glc
	s_waitcnt vmcnt(0)
	buffer_invl2
	buffer_wbinvl1_vol
	global_load_dwordx2 v[2:3], v0, s[6:7] offset:40
	global_load_dwordx2 v[6:7], v0, s[6:7]
	s_waitcnt vmcnt(1)
	v_and_b32_e32 v1, v2, v4
	v_and_b32_e32 v2, v3, v5
	v_mul_lo_u32 v2, v2, 24
	v_mul_hi_u32 v3, v1, 24
	v_mul_lo_u32 v1, v1, 24
	v_add_u32_e32 v3, v3, v2
	s_waitcnt vmcnt(0)
	v_add_co_u32_e32 v2, vcc, v6, v1
	v_addc_co_u32_e32 v3, vcc, v7, v3, vcc
	global_load_dwordx2 v[2:3], v[2:3], off glc
	s_waitcnt vmcnt(0)
	global_atomic_cmpswap_x2 v[6:7], v0, v[2:5], s[6:7] offset:24 glc
	s_waitcnt vmcnt(0)
	buffer_invl2
	buffer_wbinvl1_vol
	v_cmp_ne_u64_e32 vcc, v[6:7], v[4:5]
	s_and_saveexec_b64 s[12:13], vcc
	s_cbranch_execz .LBB3_5
; %bb.2:
	s_mov_b64 s[14:15], 0
.LBB3_3:                                ; =>This Inner Loop Header: Depth=1
	s_sleep 1
	global_load_dwordx2 v[2:3], v0, s[6:7] offset:40
	global_load_dwordx2 v[8:9], v0, s[6:7]
	v_pk_mov_b32 v[4:5], v[6:7], v[6:7] op_sel:[0,1]
	s_waitcnt vmcnt(1)
	v_and_b32_e32 v2, v2, v4
	v_and_b32_e32 v1, v3, v5
	s_waitcnt vmcnt(0)
	v_mad_u64_u32 v[2:3], s[16:17], v2, 24, v[8:9]
	v_mov_b32_e32 v6, v3
	v_mad_u64_u32 v[6:7], s[16:17], v1, 24, v[6:7]
	v_mov_b32_e32 v3, v6
	global_load_dwordx2 v[2:3], v[2:3], off glc
	s_waitcnt vmcnt(0)
	global_atomic_cmpswap_x2 v[6:7], v0, v[2:5], s[6:7] offset:24 glc
	s_waitcnt vmcnt(0)
	buffer_invl2
	buffer_wbinvl1_vol
	v_cmp_eq_u64_e32 vcc, v[6:7], v[4:5]
	s_or_b64 s[14:15], vcc, s[14:15]
	s_andn2_b64 exec, exec, s[14:15]
	s_cbranch_execnz .LBB3_3
; %bb.4:
	s_or_b64 exec, exec, s[14:15]
.LBB3_5:
	s_or_b64 exec, exec, s[12:13]
.LBB3_6:
	s_or_b64 exec, exec, s[10:11]
	v_mov_b32_e32 v5, 0
	s_waitcnt lgkmcnt(0)
	global_load_dwordx2 v[8:9], v5, s[6:7] offset:40
	global_load_dwordx4 v[0:3], v5, s[6:7]
	v_readfirstlane_b32 s10, v6
	v_readfirstlane_b32 s11, v7
	s_mov_b64 s[12:13], exec
	s_waitcnt vmcnt(1)
	v_readfirstlane_b32 s14, v8
	v_readfirstlane_b32 s15, v9
	s_and_b64 s[14:15], s[10:11], s[14:15]
	s_mul_i32 s16, s15, 24
	s_mul_hi_u32 s17, s14, 24
	s_mul_i32 s18, s14, 24
	s_add_i32 s16, s17, s16
	v_mov_b32_e32 v4, s16
	s_waitcnt vmcnt(0)
	v_add_co_u32_e32 v8, vcc, s18, v0
	v_addc_co_u32_e32 v9, vcc, v1, v4, vcc
	s_and_saveexec_b64 s[16:17], s[4:5]
	s_cbranch_execz .LBB3_8
; %bb.7:
	v_pk_mov_b32 v[10:11], s[12:13], s[12:13] op_sel:[0,1]
	v_mov_b32_e32 v12, 2
	v_mov_b32_e32 v13, 1
	global_store_dwordx4 v[8:9], v[10:13], off offset:8
.LBB3_8:
	s_or_b64 exec, exec, s[16:17]
	s_lshl_b64 s[12:13], s[14:15], 12
	v_mov_b32_e32 v4, s13
	v_add_co_u32_e32 v2, vcc, s12, v2
	v_addc_co_u32_e32 v3, vcc, v3, v4, vcc
	s_mov_b32 s12, 0
	v_lshlrev_b32_e32 v34, 6, v35
	v_add_co_u32_e32 v10, vcc, v2, v34
	v_mov_b32_e32 v4, 33
	v_mov_b32_e32 v6, v5
	;; [unrolled: 1-line block ×3, first 2 shown]
	v_readfirstlane_b32 s16, v2
	v_readfirstlane_b32 s17, v3
	s_mov_b32 s13, s12
	v_addc_co_u32_e32 v11, vcc, 0, v3, vcc
	s_mov_b32 s14, s12
	s_mov_b32 s15, s12
	s_nop 0
	global_store_dwordx4 v34, v[4:7], s[16:17]
	v_pk_mov_b32 v[2:3], s[12:13], s[12:13] op_sel:[0,1]
	v_pk_mov_b32 v[4:5], s[14:15], s[14:15] op_sel:[0,1]
	global_store_dwordx4 v34, v[2:5], s[16:17] offset:16
	global_store_dwordx4 v34, v[2:5], s[16:17] offset:32
	;; [unrolled: 1-line block ×3, first 2 shown]
	s_and_saveexec_b64 s[12:13], s[4:5]
	s_cbranch_execz .LBB3_16
; %bb.9:
	v_mov_b32_e32 v6, 0
	global_load_dwordx2 v[14:15], v6, s[6:7] offset:32 glc
	global_load_dwordx2 v[2:3], v6, s[6:7] offset:40
	v_mov_b32_e32 v12, s10
	v_mov_b32_e32 v13, s11
	s_waitcnt vmcnt(0)
	v_and_b32_e32 v2, s10, v2
	v_and_b32_e32 v3, s11, v3
	v_mul_lo_u32 v3, v3, 24
	v_mul_hi_u32 v4, v2, 24
	v_mul_lo_u32 v2, v2, 24
	v_add_u32_e32 v3, v4, v3
	v_add_co_u32_e32 v4, vcc, v0, v2
	v_addc_co_u32_e32 v5, vcc, v1, v3, vcc
	global_store_dwordx2 v[4:5], v[14:15], off
	buffer_wbl2
	s_waitcnt vmcnt(0)
	global_atomic_cmpswap_x2 v[2:3], v6, v[12:15], s[6:7] offset:32 glc
	s_waitcnt vmcnt(0)
	v_cmp_ne_u64_e32 vcc, v[2:3], v[14:15]
	s_and_saveexec_b64 s[14:15], vcc
	s_cbranch_execz .LBB3_12
; %bb.10:
	s_mov_b64 s[16:17], 0
.LBB3_11:                               ; =>This Inner Loop Header: Depth=1
	s_sleep 1
	global_store_dwordx2 v[4:5], v[2:3], off
	v_mov_b32_e32 v0, s10
	v_mov_b32_e32 v1, s11
	buffer_wbl2
	s_waitcnt vmcnt(0)
	global_atomic_cmpswap_x2 v[0:1], v6, v[0:3], s[6:7] offset:32 glc
	s_waitcnt vmcnt(0)
	v_cmp_eq_u64_e32 vcc, v[0:1], v[2:3]
	s_or_b64 s[16:17], vcc, s[16:17]
	v_pk_mov_b32 v[2:3], v[0:1], v[0:1] op_sel:[0,1]
	s_andn2_b64 exec, exec, s[16:17]
	s_cbranch_execnz .LBB3_11
.LBB3_12:
	s_or_b64 exec, exec, s[14:15]
	v_mov_b32_e32 v3, 0
	global_load_dwordx2 v[0:1], v3, s[6:7] offset:16
	s_mov_b64 s[14:15], exec
	v_mbcnt_lo_u32_b32 v2, s14, 0
	v_mbcnt_hi_u32_b32 v2, s15, v2
	v_cmp_eq_u32_e32 vcc, 0, v2
	s_and_saveexec_b64 s[16:17], vcc
	s_cbranch_execz .LBB3_14
; %bb.13:
	s_bcnt1_i32_b64 s14, s[14:15]
	v_mov_b32_e32 v2, s14
	buffer_wbl2
	s_waitcnt vmcnt(0)
	global_atomic_add_x2 v[0:1], v[2:3], off offset:8
.LBB3_14:
	s_or_b64 exec, exec, s[16:17]
	s_waitcnt vmcnt(0)
	global_load_dwordx2 v[2:3], v[0:1], off offset:16
	s_waitcnt vmcnt(0)
	v_cmp_eq_u64_e32 vcc, 0, v[2:3]
	s_cbranch_vccnz .LBB3_16
; %bb.15:
	global_load_dword v0, v[0:1], off offset:24
	v_mov_b32_e32 v1, 0
	buffer_wbl2
	s_waitcnt vmcnt(0)
	global_store_dwordx2 v[2:3], v[0:1], off
	v_and_b32_e32 v0, 0xffffff, v0
	v_readfirstlane_b32 m0, v0
	s_sendmsg sendmsg(MSG_INTERRUPT)
.LBB3_16:
	s_or_b64 exec, exec, s[12:13]
	s_branch .LBB3_20
.LBB3_17:                               ;   in Loop: Header=BB3_20 Depth=1
	s_or_b64 exec, exec, s[12:13]
	v_readfirstlane_b32 s12, v0
	s_cmp_eq_u32 s12, 0
	s_cbranch_scc1 .LBB3_19
; %bb.18:                               ;   in Loop: Header=BB3_20 Depth=1
	s_sleep 1
	s_cbranch_execnz .LBB3_20
	s_branch .LBB3_22
.LBB3_19:
	s_branch .LBB3_22
.LBB3_20:                               ; =>This Inner Loop Header: Depth=1
	v_mov_b32_e32 v0, 1
	s_and_saveexec_b64 s[12:13], s[4:5]
	s_cbranch_execz .LBB3_17
; %bb.21:                               ;   in Loop: Header=BB3_20 Depth=1
	global_load_dword v0, v[8:9], off offset:20 glc
	s_waitcnt vmcnt(0)
	buffer_invl2
	buffer_wbinvl1_vol
	v_and_b32_e32 v0, 1, v0
	s_branch .LBB3_17
.LBB3_22:
	global_load_dwordx2 v[4:5], v[10:11], off
	s_and_saveexec_b64 s[12:13], s[4:5]
	s_cbranch_execz .LBB3_25
; %bb.23:
	v_mov_b32_e32 v8, 0
	global_load_dwordx2 v[6:7], v8, s[6:7] offset:40
	global_load_dwordx2 v[10:11], v8, s[6:7] offset:24 glc
	global_load_dwordx2 v[12:13], v8, s[6:7]
	v_mov_b32_e32 v1, s11
	s_mov_b64 s[4:5], 0
	s_waitcnt vmcnt(2)
	v_add_co_u32_e32 v3, vcc, 1, v6
	v_addc_co_u32_e32 v9, vcc, 0, v7, vcc
	v_add_co_u32_e32 v0, vcc, s10, v3
	v_addc_co_u32_e32 v1, vcc, v9, v1, vcc
	v_cmp_eq_u64_e32 vcc, 0, v[0:1]
	v_cndmask_b32_e32 v1, v1, v9, vcc
	v_cndmask_b32_e32 v0, v0, v3, vcc
	v_and_b32_e32 v3, v1, v7
	v_and_b32_e32 v6, v0, v6
	v_mul_lo_u32 v3, v3, 24
	v_mul_hi_u32 v7, v6, 24
	v_mul_lo_u32 v6, v6, 24
	v_add_u32_e32 v3, v7, v3
	s_waitcnt vmcnt(0)
	v_add_co_u32_e32 v6, vcc, v12, v6
	v_addc_co_u32_e32 v7, vcc, v13, v3, vcc
	v_mov_b32_e32 v2, v10
	global_store_dwordx2 v[6:7], v[10:11], off
	v_mov_b32_e32 v3, v11
	buffer_wbl2
	s_waitcnt vmcnt(0)
	global_atomic_cmpswap_x2 v[2:3], v8, v[0:3], s[6:7] offset:24 glc
	s_waitcnt vmcnt(0)
	v_cmp_ne_u64_e32 vcc, v[2:3], v[10:11]
	s_and_b64 exec, exec, vcc
	s_cbranch_execz .LBB3_25
.LBB3_24:                               ; =>This Inner Loop Header: Depth=1
	s_sleep 1
	global_store_dwordx2 v[6:7], v[2:3], off
	buffer_wbl2
	s_waitcnt vmcnt(0)
	global_atomic_cmpswap_x2 v[10:11], v8, v[0:3], s[6:7] offset:24 glc
	s_waitcnt vmcnt(0)
	v_cmp_eq_u64_e32 vcc, v[10:11], v[2:3]
	s_or_b64 s[4:5], vcc, s[4:5]
	v_pk_mov_b32 v[2:3], v[10:11], v[10:11] op_sel:[0,1]
	s_andn2_b64 exec, exec, s[4:5]
	s_cbranch_execnz .LBB3_24
.LBB3_25:
	s_or_b64 exec, exec, s[12:13]
	s_getpc_b64 s[10:11]
	s_add_u32 s10, s10, .str.3@rel32@lo+4
	s_addc_u32 s11, s11, .str.3@rel32@hi+12
	s_cmp_lg_u64 s[10:11], 0
	s_cbranch_scc0 .LBB3_109
; %bb.26:
	s_waitcnt vmcnt(0)
	v_and_b32_e32 v26, 2, v4
	v_mov_b32_e32 v29, 0
	v_and_b32_e32 v0, -3, v4
	v_mov_b32_e32 v1, v5
	s_mov_b64 s[12:13], 0x4d
	v_mov_b32_e32 v8, 2
	v_mov_b32_e32 v9, 1
	s_branch .LBB3_28
.LBB3_27:                               ;   in Loop: Header=BB3_28 Depth=1
	s_or_b64 exec, exec, s[18:19]
	s_sub_u32 s12, s12, s14
	s_subb_u32 s13, s13, s15
	s_add_u32 s10, s10, s14
	s_addc_u32 s11, s11, s15
	s_cmp_lg_u64 s[12:13], 0
	s_cbranch_scc0 .LBB3_110
.LBB3_28:                               ; =>This Loop Header: Depth=1
                                        ;     Child Loop BB3_31 Depth 2
                                        ;     Child Loop BB3_38 Depth 2
	;; [unrolled: 1-line block ×11, first 2 shown]
	v_cmp_lt_u64_e64 s[4:5], s[12:13], 56
	s_and_b64 s[4:5], s[4:5], exec
	v_cmp_gt_u64_e64 s[4:5], s[12:13], 7
	s_cselect_b32 s15, s13, 0
	s_cselect_b32 s14, s12, 56
	s_and_b64 vcc, exec, s[4:5]
	s_cbranch_vccnz .LBB3_33
; %bb.29:                               ;   in Loop: Header=BB3_28 Depth=1
	s_mov_b64 s[4:5], 0
	s_cmp_eq_u64 s[12:13], 0
	s_waitcnt vmcnt(0)
	v_pk_mov_b32 v[2:3], 0, 0
	s_cbranch_scc1 .LBB3_32
; %bb.30:                               ;   in Loop: Header=BB3_28 Depth=1
	s_lshl_b64 s[16:17], s[14:15], 3
	s_mov_b64 s[18:19], 0
	v_pk_mov_b32 v[2:3], 0, 0
	s_mov_b64 s[20:21], s[10:11]
.LBB3_31:                               ;   Parent Loop BB3_28 Depth=1
                                        ; =>  This Inner Loop Header: Depth=2
	global_load_ubyte v6, v29, s[20:21]
	s_waitcnt vmcnt(0)
	v_and_b32_e32 v28, 0xffff, v6
	v_lshlrev_b64 v[6:7], s18, v[28:29]
	s_add_u32 s18, s18, 8
	s_addc_u32 s19, s19, 0
	s_add_u32 s20, s20, 1
	s_addc_u32 s21, s21, 0
	v_or_b32_e32 v2, v6, v2
	s_cmp_lg_u32 s16, s18
	v_or_b32_e32 v3, v7, v3
	s_cbranch_scc1 .LBB3_31
.LBB3_32:                               ;   in Loop: Header=BB3_28 Depth=1
	s_mov_b32 s20, 0
	s_andn2_b64 vcc, exec, s[4:5]
	s_mov_b64 s[4:5], s[10:11]
	s_cbranch_vccz .LBB3_34
	s_branch .LBB3_35
.LBB3_33:                               ;   in Loop: Header=BB3_28 Depth=1
                                        ; implicit-def: $vgpr2_vgpr3
                                        ; implicit-def: $sgpr20
	s_mov_b64 s[4:5], s[10:11]
.LBB3_34:                               ;   in Loop: Header=BB3_28 Depth=1
	global_load_dwordx2 v[2:3], v29, s[10:11]
	s_add_i32 s20, s14, -8
	s_add_u32 s4, s10, 8
	s_addc_u32 s5, s11, 0
.LBB3_35:                               ;   in Loop: Header=BB3_28 Depth=1
	s_cmp_gt_u32 s20, 7
	s_cbranch_scc1 .LBB3_39
; %bb.36:                               ;   in Loop: Header=BB3_28 Depth=1
	s_cmp_eq_u32 s20, 0
	s_cbranch_scc1 .LBB3_40
; %bb.37:                               ;   in Loop: Header=BB3_28 Depth=1
	s_mov_b64 s[16:17], 0
	v_pk_mov_b32 v[10:11], 0, 0
	s_mov_b64 s[18:19], 0
.LBB3_38:                               ;   Parent Loop BB3_28 Depth=1
                                        ; =>  This Inner Loop Header: Depth=2
	s_add_u32 s22, s4, s18
	s_addc_u32 s23, s5, s19
	global_load_ubyte v6, v29, s[22:23]
	s_add_u32 s18, s18, 1
	s_addc_u32 s19, s19, 0
	s_waitcnt vmcnt(0)
	v_and_b32_e32 v28, 0xffff, v6
	v_lshlrev_b64 v[6:7], s16, v[28:29]
	s_add_u32 s16, s16, 8
	s_addc_u32 s17, s17, 0
	v_or_b32_e32 v10, v6, v10
	s_cmp_lg_u32 s20, s18
	v_or_b32_e32 v11, v7, v11
	s_cbranch_scc1 .LBB3_38
	s_branch .LBB3_41
.LBB3_39:                               ;   in Loop: Header=BB3_28 Depth=1
                                        ; implicit-def: $vgpr10_vgpr11
                                        ; implicit-def: $sgpr21
	s_branch .LBB3_42
.LBB3_40:                               ;   in Loop: Header=BB3_28 Depth=1
	v_pk_mov_b32 v[10:11], 0, 0
.LBB3_41:                               ;   in Loop: Header=BB3_28 Depth=1
	s_mov_b32 s21, 0
	s_cbranch_execnz .LBB3_43
.LBB3_42:                               ;   in Loop: Header=BB3_28 Depth=1
	global_load_dwordx2 v[10:11], v29, s[4:5]
	s_add_i32 s21, s20, -8
	s_add_u32 s4, s4, 8
	s_addc_u32 s5, s5, 0
.LBB3_43:                               ;   in Loop: Header=BB3_28 Depth=1
	s_cmp_gt_u32 s21, 7
	s_cbranch_scc1 .LBB3_47
; %bb.44:                               ;   in Loop: Header=BB3_28 Depth=1
	s_cmp_eq_u32 s21, 0
	s_cbranch_scc1 .LBB3_48
; %bb.45:                               ;   in Loop: Header=BB3_28 Depth=1
	s_mov_b64 s[16:17], 0
	v_pk_mov_b32 v[12:13], 0, 0
	s_mov_b64 s[18:19], 0
.LBB3_46:                               ;   Parent Loop BB3_28 Depth=1
                                        ; =>  This Inner Loop Header: Depth=2
	s_add_u32 s22, s4, s18
	s_addc_u32 s23, s5, s19
	global_load_ubyte v6, v29, s[22:23]
	s_add_u32 s18, s18, 1
	s_addc_u32 s19, s19, 0
	s_waitcnt vmcnt(0)
	v_and_b32_e32 v28, 0xffff, v6
	v_lshlrev_b64 v[6:7], s16, v[28:29]
	s_add_u32 s16, s16, 8
	s_addc_u32 s17, s17, 0
	v_or_b32_e32 v12, v6, v12
	s_cmp_lg_u32 s21, s18
	v_or_b32_e32 v13, v7, v13
	s_cbranch_scc1 .LBB3_46
	s_branch .LBB3_49
.LBB3_47:                               ;   in Loop: Header=BB3_28 Depth=1
                                        ; implicit-def: $sgpr20
	s_branch .LBB3_50
.LBB3_48:                               ;   in Loop: Header=BB3_28 Depth=1
	v_pk_mov_b32 v[12:13], 0, 0
.LBB3_49:                               ;   in Loop: Header=BB3_28 Depth=1
	s_mov_b32 s20, 0
	s_cbranch_execnz .LBB3_51
.LBB3_50:                               ;   in Loop: Header=BB3_28 Depth=1
	global_load_dwordx2 v[12:13], v29, s[4:5]
	s_add_i32 s20, s21, -8
	s_add_u32 s4, s4, 8
	s_addc_u32 s5, s5, 0
.LBB3_51:                               ;   in Loop: Header=BB3_28 Depth=1
	s_cmp_gt_u32 s20, 7
	s_cbranch_scc1 .LBB3_55
; %bb.52:                               ;   in Loop: Header=BB3_28 Depth=1
	s_cmp_eq_u32 s20, 0
	s_cbranch_scc1 .LBB3_56
; %bb.53:                               ;   in Loop: Header=BB3_28 Depth=1
	s_mov_b64 s[16:17], 0
	v_pk_mov_b32 v[14:15], 0, 0
	s_mov_b64 s[18:19], 0
.LBB3_54:                               ;   Parent Loop BB3_28 Depth=1
                                        ; =>  This Inner Loop Header: Depth=2
	s_add_u32 s22, s4, s18
	s_addc_u32 s23, s5, s19
	global_load_ubyte v6, v29, s[22:23]
	s_add_u32 s18, s18, 1
	s_addc_u32 s19, s19, 0
	s_waitcnt vmcnt(0)
	v_and_b32_e32 v28, 0xffff, v6
	v_lshlrev_b64 v[6:7], s16, v[28:29]
	s_add_u32 s16, s16, 8
	s_addc_u32 s17, s17, 0
	v_or_b32_e32 v14, v6, v14
	s_cmp_lg_u32 s20, s18
	v_or_b32_e32 v15, v7, v15
	s_cbranch_scc1 .LBB3_54
	s_branch .LBB3_57
.LBB3_55:                               ;   in Loop: Header=BB3_28 Depth=1
                                        ; implicit-def: $vgpr14_vgpr15
                                        ; implicit-def: $sgpr21
	s_branch .LBB3_58
.LBB3_56:                               ;   in Loop: Header=BB3_28 Depth=1
	v_pk_mov_b32 v[14:15], 0, 0
.LBB3_57:                               ;   in Loop: Header=BB3_28 Depth=1
	s_mov_b32 s21, 0
	s_cbranch_execnz .LBB3_59
.LBB3_58:                               ;   in Loop: Header=BB3_28 Depth=1
	global_load_dwordx2 v[14:15], v29, s[4:5]
	s_add_i32 s21, s20, -8
	s_add_u32 s4, s4, 8
	s_addc_u32 s5, s5, 0
.LBB3_59:                               ;   in Loop: Header=BB3_28 Depth=1
	s_cmp_gt_u32 s21, 7
	s_cbranch_scc1 .LBB3_63
; %bb.60:                               ;   in Loop: Header=BB3_28 Depth=1
	s_cmp_eq_u32 s21, 0
	s_cbranch_scc1 .LBB3_64
; %bb.61:                               ;   in Loop: Header=BB3_28 Depth=1
	s_mov_b64 s[16:17], 0
	v_pk_mov_b32 v[16:17], 0, 0
	s_mov_b64 s[18:19], 0
.LBB3_62:                               ;   Parent Loop BB3_28 Depth=1
                                        ; =>  This Inner Loop Header: Depth=2
	s_add_u32 s22, s4, s18
	s_addc_u32 s23, s5, s19
	global_load_ubyte v6, v29, s[22:23]
	s_add_u32 s18, s18, 1
	s_addc_u32 s19, s19, 0
	s_waitcnt vmcnt(0)
	v_and_b32_e32 v28, 0xffff, v6
	v_lshlrev_b64 v[6:7], s16, v[28:29]
	s_add_u32 s16, s16, 8
	s_addc_u32 s17, s17, 0
	v_or_b32_e32 v16, v6, v16
	s_cmp_lg_u32 s21, s18
	v_or_b32_e32 v17, v7, v17
	s_cbranch_scc1 .LBB3_62
	s_branch .LBB3_65
.LBB3_63:                               ;   in Loop: Header=BB3_28 Depth=1
                                        ; implicit-def: $sgpr20
	s_branch .LBB3_66
.LBB3_64:                               ;   in Loop: Header=BB3_28 Depth=1
	v_pk_mov_b32 v[16:17], 0, 0
.LBB3_65:                               ;   in Loop: Header=BB3_28 Depth=1
	s_mov_b32 s20, 0
	s_cbranch_execnz .LBB3_67
.LBB3_66:                               ;   in Loop: Header=BB3_28 Depth=1
	global_load_dwordx2 v[16:17], v29, s[4:5]
	s_add_i32 s20, s21, -8
	s_add_u32 s4, s4, 8
	s_addc_u32 s5, s5, 0
.LBB3_67:                               ;   in Loop: Header=BB3_28 Depth=1
	s_cmp_gt_u32 s20, 7
	s_cbranch_scc1 .LBB3_71
; %bb.68:                               ;   in Loop: Header=BB3_28 Depth=1
	s_cmp_eq_u32 s20, 0
	s_cbranch_scc1 .LBB3_72
; %bb.69:                               ;   in Loop: Header=BB3_28 Depth=1
	s_mov_b64 s[16:17], 0
	v_pk_mov_b32 v[18:19], 0, 0
	s_mov_b64 s[18:19], 0
.LBB3_70:                               ;   Parent Loop BB3_28 Depth=1
                                        ; =>  This Inner Loop Header: Depth=2
	s_add_u32 s22, s4, s18
	s_addc_u32 s23, s5, s19
	global_load_ubyte v6, v29, s[22:23]
	s_add_u32 s18, s18, 1
	s_addc_u32 s19, s19, 0
	s_waitcnt vmcnt(0)
	v_and_b32_e32 v28, 0xffff, v6
	v_lshlrev_b64 v[6:7], s16, v[28:29]
	s_add_u32 s16, s16, 8
	s_addc_u32 s17, s17, 0
	v_or_b32_e32 v18, v6, v18
	s_cmp_lg_u32 s20, s18
	v_or_b32_e32 v19, v7, v19
	s_cbranch_scc1 .LBB3_70
	s_branch .LBB3_73
.LBB3_71:                               ;   in Loop: Header=BB3_28 Depth=1
                                        ; implicit-def: $vgpr18_vgpr19
                                        ; implicit-def: $sgpr21
	s_branch .LBB3_74
.LBB3_72:                               ;   in Loop: Header=BB3_28 Depth=1
	v_pk_mov_b32 v[18:19], 0, 0
.LBB3_73:                               ;   in Loop: Header=BB3_28 Depth=1
	s_mov_b32 s21, 0
	s_cbranch_execnz .LBB3_75
.LBB3_74:                               ;   in Loop: Header=BB3_28 Depth=1
	global_load_dwordx2 v[18:19], v29, s[4:5]
	s_add_i32 s21, s20, -8
	s_add_u32 s4, s4, 8
	s_addc_u32 s5, s5, 0
.LBB3_75:                               ;   in Loop: Header=BB3_28 Depth=1
	s_cmp_gt_u32 s21, 7
	s_cbranch_scc1 .LBB3_79
; %bb.76:                               ;   in Loop: Header=BB3_28 Depth=1
	s_cmp_eq_u32 s21, 0
	s_cbranch_scc1 .LBB3_80
; %bb.77:                               ;   in Loop: Header=BB3_28 Depth=1
	s_mov_b64 s[16:17], 0
	v_pk_mov_b32 v[20:21], 0, 0
	s_mov_b64 s[18:19], s[4:5]
.LBB3_78:                               ;   Parent Loop BB3_28 Depth=1
                                        ; =>  This Inner Loop Header: Depth=2
	global_load_ubyte v6, v29, s[18:19]
	s_add_i32 s21, s21, -1
	s_waitcnt vmcnt(0)
	v_and_b32_e32 v28, 0xffff, v6
	v_lshlrev_b64 v[6:7], s16, v[28:29]
	s_add_u32 s16, s16, 8
	s_addc_u32 s17, s17, 0
	s_add_u32 s18, s18, 1
	s_addc_u32 s19, s19, 0
	v_or_b32_e32 v20, v6, v20
	s_cmp_lg_u32 s21, 0
	v_or_b32_e32 v21, v7, v21
	s_cbranch_scc1 .LBB3_78
	s_branch .LBB3_81
.LBB3_79:                               ;   in Loop: Header=BB3_28 Depth=1
	s_branch .LBB3_82
.LBB3_80:                               ;   in Loop: Header=BB3_28 Depth=1
	v_pk_mov_b32 v[20:21], 0, 0
.LBB3_81:                               ;   in Loop: Header=BB3_28 Depth=1
	s_cbranch_execnz .LBB3_83
.LBB3_82:                               ;   in Loop: Header=BB3_28 Depth=1
	global_load_dwordx2 v[20:21], v29, s[4:5]
.LBB3_83:                               ;   in Loop: Header=BB3_28 Depth=1
	v_readfirstlane_b32 s4, v35
	v_cmp_eq_u32_e64 s[4:5], s4, v35
	v_pk_mov_b32 v[6:7], 0, 0
	s_and_saveexec_b64 s[16:17], s[4:5]
	s_cbranch_execz .LBB3_89
; %bb.84:                               ;   in Loop: Header=BB3_28 Depth=1
	global_load_dwordx2 v[24:25], v29, s[6:7] offset:24 glc
	s_waitcnt vmcnt(0)
	buffer_invl2
	buffer_wbinvl1_vol
	global_load_dwordx2 v[6:7], v29, s[6:7] offset:40
	global_load_dwordx2 v[22:23], v29, s[6:7]
	s_waitcnt vmcnt(1)
	v_and_b32_e32 v6, v6, v24
	v_and_b32_e32 v7, v7, v25
	v_mul_lo_u32 v7, v7, 24
	v_mul_hi_u32 v27, v6, 24
	v_mul_lo_u32 v6, v6, 24
	v_add_u32_e32 v7, v27, v7
	s_waitcnt vmcnt(0)
	v_add_co_u32_e32 v6, vcc, v22, v6
	v_addc_co_u32_e32 v7, vcc, v23, v7, vcc
	global_load_dwordx2 v[22:23], v[6:7], off glc
	s_waitcnt vmcnt(0)
	global_atomic_cmpswap_x2 v[6:7], v29, v[22:25], s[6:7] offset:24 glc
	s_waitcnt vmcnt(0)
	buffer_invl2
	buffer_wbinvl1_vol
	v_cmp_ne_u64_e32 vcc, v[6:7], v[24:25]
	s_and_saveexec_b64 s[18:19], vcc
	s_cbranch_execz .LBB3_88
; %bb.85:                               ;   in Loop: Header=BB3_28 Depth=1
	s_mov_b64 s[20:21], 0
.LBB3_86:                               ;   Parent Loop BB3_28 Depth=1
                                        ; =>  This Inner Loop Header: Depth=2
	s_sleep 1
	global_load_dwordx2 v[22:23], v29, s[6:7] offset:40
	global_load_dwordx2 v[30:31], v29, s[6:7]
	v_pk_mov_b32 v[24:25], v[6:7], v[6:7] op_sel:[0,1]
	s_waitcnt vmcnt(1)
	v_and_b32_e32 v6, v22, v24
	s_waitcnt vmcnt(0)
	v_mad_u64_u32 v[6:7], s[22:23], v6, 24, v[30:31]
	v_and_b32_e32 v23, v23, v25
	v_mov_b32_e32 v22, v7
	v_mad_u64_u32 v[22:23], s[22:23], v23, 24, v[22:23]
	v_mov_b32_e32 v7, v22
	global_load_dwordx2 v[22:23], v[6:7], off glc
	s_waitcnt vmcnt(0)
	global_atomic_cmpswap_x2 v[6:7], v29, v[22:25], s[6:7] offset:24 glc
	s_waitcnt vmcnt(0)
	buffer_invl2
	buffer_wbinvl1_vol
	v_cmp_eq_u64_e32 vcc, v[6:7], v[24:25]
	s_or_b64 s[20:21], vcc, s[20:21]
	s_andn2_b64 exec, exec, s[20:21]
	s_cbranch_execnz .LBB3_86
; %bb.87:                               ;   in Loop: Header=BB3_28 Depth=1
	s_or_b64 exec, exec, s[20:21]
.LBB3_88:                               ;   in Loop: Header=BB3_28 Depth=1
	s_or_b64 exec, exec, s[18:19]
.LBB3_89:                               ;   in Loop: Header=BB3_28 Depth=1
	s_or_b64 exec, exec, s[16:17]
	global_load_dwordx2 v[30:31], v29, s[6:7] offset:40
	global_load_dwordx4 v[22:25], v29, s[6:7]
	v_readfirstlane_b32 s16, v6
	v_readfirstlane_b32 s17, v7
	s_mov_b64 s[18:19], exec
	s_waitcnt vmcnt(1)
	v_readfirstlane_b32 s20, v30
	v_readfirstlane_b32 s21, v31
	s_and_b64 s[20:21], s[16:17], s[20:21]
	s_mul_i32 s22, s21, 24
	s_mul_hi_u32 s23, s20, 24
	s_mul_i32 s24, s20, 24
	s_add_i32 s22, s23, s22
	v_mov_b32_e32 v6, s22
	s_waitcnt vmcnt(0)
	v_add_co_u32_e32 v30, vcc, s24, v22
	v_addc_co_u32_e32 v31, vcc, v23, v6, vcc
	s_and_saveexec_b64 s[22:23], s[4:5]
	s_cbranch_execz .LBB3_91
; %bb.90:                               ;   in Loop: Header=BB3_28 Depth=1
	v_pk_mov_b32 v[6:7], s[18:19], s[18:19] op_sel:[0,1]
	global_store_dwordx4 v[30:31], v[6:9], off offset:8
.LBB3_91:                               ;   in Loop: Header=BB3_28 Depth=1
	s_or_b64 exec, exec, s[22:23]
	s_lshl_b64 s[18:19], s[20:21], 12
	v_mov_b32_e32 v7, s19
	v_add_co_u32_e32 v6, vcc, s18, v24
	v_addc_co_u32_e32 v7, vcc, v25, v7, vcc
	v_or_b32_e32 v25, v0, v26
	v_cmp_gt_u64_e64 vcc, s[12:13], 56
	s_lshl_b32 s18, s14, 2
	v_cndmask_b32_e32 v0, v25, v0, vcc
	s_add_i32 s18, s18, 28
	v_or_b32_e32 v24, 0, v1
	s_and_b32 s18, s18, 0x1e0
	v_and_b32_e32 v0, 0xffffff1f, v0
	v_cndmask_b32_e32 v1, v24, v1, vcc
	v_or_b32_e32 v0, s18, v0
	v_readfirstlane_b32 s18, v6
	v_readfirstlane_b32 s19, v7
	s_nop 4
	global_store_dwordx4 v34, v[0:3], s[18:19]
	global_store_dwordx4 v34, v[10:13], s[18:19] offset:16
	global_store_dwordx4 v34, v[14:17], s[18:19] offset:32
	;; [unrolled: 1-line block ×3, first 2 shown]
	s_and_saveexec_b64 s[18:19], s[4:5]
	s_cbranch_execz .LBB3_99
; %bb.92:                               ;   in Loop: Header=BB3_28 Depth=1
	global_load_dwordx2 v[14:15], v29, s[6:7] offset:32 glc
	global_load_dwordx2 v[0:1], v29, s[6:7] offset:40
	v_mov_b32_e32 v12, s16
	v_mov_b32_e32 v13, s17
	s_waitcnt vmcnt(0)
	v_readfirstlane_b32 s20, v0
	v_readfirstlane_b32 s21, v1
	s_and_b64 s[20:21], s[20:21], s[16:17]
	s_mul_i32 s21, s21, 24
	s_mul_hi_u32 s22, s20, 24
	s_mul_i32 s20, s20, 24
	s_add_i32 s21, s22, s21
	v_mov_b32_e32 v0, s21
	v_add_co_u32_e32 v10, vcc, s20, v22
	v_addc_co_u32_e32 v11, vcc, v23, v0, vcc
	global_store_dwordx2 v[10:11], v[14:15], off
	buffer_wbl2
	s_waitcnt vmcnt(0)
	global_atomic_cmpswap_x2 v[2:3], v29, v[12:15], s[6:7] offset:32 glc
	s_waitcnt vmcnt(0)
	v_cmp_ne_u64_e32 vcc, v[2:3], v[14:15]
	s_and_saveexec_b64 s[20:21], vcc
	s_cbranch_execz .LBB3_95
; %bb.93:                               ;   in Loop: Header=BB3_28 Depth=1
	s_mov_b64 s[22:23], 0
.LBB3_94:                               ;   Parent Loop BB3_28 Depth=1
                                        ; =>  This Inner Loop Header: Depth=2
	s_sleep 1
	global_store_dwordx2 v[10:11], v[2:3], off
	v_mov_b32_e32 v0, s16
	v_mov_b32_e32 v1, s17
	buffer_wbl2
	s_waitcnt vmcnt(0)
	global_atomic_cmpswap_x2 v[0:1], v29, v[0:3], s[6:7] offset:32 glc
	s_waitcnt vmcnt(0)
	v_cmp_eq_u64_e32 vcc, v[0:1], v[2:3]
	s_or_b64 s[22:23], vcc, s[22:23]
	v_pk_mov_b32 v[2:3], v[0:1], v[0:1] op_sel:[0,1]
	s_andn2_b64 exec, exec, s[22:23]
	s_cbranch_execnz .LBB3_94
.LBB3_95:                               ;   in Loop: Header=BB3_28 Depth=1
	s_or_b64 exec, exec, s[20:21]
	global_load_dwordx2 v[0:1], v29, s[6:7] offset:16
	s_mov_b64 s[22:23], exec
	v_mbcnt_lo_u32_b32 v2, s22, 0
	v_mbcnt_hi_u32_b32 v2, s23, v2
	v_cmp_eq_u32_e32 vcc, 0, v2
	s_and_saveexec_b64 s[20:21], vcc
	s_cbranch_execz .LBB3_97
; %bb.96:                               ;   in Loop: Header=BB3_28 Depth=1
	s_bcnt1_i32_b64 s22, s[22:23]
	v_mov_b32_e32 v28, s22
	buffer_wbl2
	s_waitcnt vmcnt(0)
	global_atomic_add_x2 v[0:1], v[28:29], off offset:8
.LBB3_97:                               ;   in Loop: Header=BB3_28 Depth=1
	s_or_b64 exec, exec, s[20:21]
	s_waitcnt vmcnt(0)
	global_load_dwordx2 v[2:3], v[0:1], off offset:16
	s_waitcnt vmcnt(0)
	v_cmp_eq_u64_e32 vcc, 0, v[2:3]
	s_cbranch_vccnz .LBB3_99
; %bb.98:                               ;   in Loop: Header=BB3_28 Depth=1
	global_load_dword v28, v[0:1], off offset:24
	s_waitcnt vmcnt(0)
	v_and_b32_e32 v0, 0xffffff, v28
	v_readfirstlane_b32 m0, v0
	buffer_wbl2
	global_store_dwordx2 v[2:3], v[28:29], off
	s_sendmsg sendmsg(MSG_INTERRUPT)
.LBB3_99:                               ;   in Loop: Header=BB3_28 Depth=1
	s_or_b64 exec, exec, s[18:19]
	v_add_co_u32_e32 v0, vcc, v6, v34
	v_addc_co_u32_e32 v1, vcc, 0, v7, vcc
	s_branch .LBB3_103
.LBB3_100:                              ;   in Loop: Header=BB3_103 Depth=2
	s_or_b64 exec, exec, s[18:19]
	v_readfirstlane_b32 s18, v2
	s_cmp_eq_u32 s18, 0
	s_cbranch_scc1 .LBB3_102
; %bb.101:                              ;   in Loop: Header=BB3_103 Depth=2
	s_sleep 1
	s_cbranch_execnz .LBB3_103
	s_branch .LBB3_105
.LBB3_102:                              ;   in Loop: Header=BB3_28 Depth=1
	s_branch .LBB3_105
.LBB3_103:                              ;   Parent Loop BB3_28 Depth=1
                                        ; =>  This Inner Loop Header: Depth=2
	v_mov_b32_e32 v2, 1
	s_and_saveexec_b64 s[18:19], s[4:5]
	s_cbranch_execz .LBB3_100
; %bb.104:                              ;   in Loop: Header=BB3_103 Depth=2
	global_load_dword v2, v[30:31], off offset:20 glc
	s_waitcnt vmcnt(0)
	buffer_invl2
	buffer_wbinvl1_vol
	v_and_b32_e32 v2, 1, v2
	s_branch .LBB3_100
.LBB3_105:                              ;   in Loop: Header=BB3_28 Depth=1
	global_load_dwordx4 v[0:3], v[0:1], off
	s_and_saveexec_b64 s[18:19], s[4:5]
	s_cbranch_execz .LBB3_27
; %bb.106:                              ;   in Loop: Header=BB3_28 Depth=1
	global_load_dwordx2 v[2:3], v29, s[6:7] offset:40
	global_load_dwordx2 v[6:7], v29, s[6:7] offset:24 glc
	global_load_dwordx2 v[14:15], v29, s[6:7]
	v_mov_b32_e32 v11, s17
	s_waitcnt vmcnt(2)
	v_add_co_u32_e32 v13, vcc, 1, v2
	v_addc_co_u32_e32 v16, vcc, 0, v3, vcc
	v_add_co_u32_e32 v10, vcc, s16, v13
	v_addc_co_u32_e32 v11, vcc, v16, v11, vcc
	v_cmp_eq_u64_e32 vcc, 0, v[10:11]
	v_cndmask_b32_e32 v11, v11, v16, vcc
	v_cndmask_b32_e32 v10, v10, v13, vcc
	v_and_b32_e32 v3, v11, v3
	v_and_b32_e32 v2, v10, v2
	v_mul_lo_u32 v3, v3, 24
	v_mul_hi_u32 v13, v2, 24
	v_mul_lo_u32 v2, v2, 24
	v_add_u32_e32 v3, v13, v3
	s_waitcnt vmcnt(0)
	v_add_co_u32_e32 v2, vcc, v14, v2
	v_addc_co_u32_e32 v3, vcc, v15, v3, vcc
	v_mov_b32_e32 v12, v6
	global_store_dwordx2 v[2:3], v[6:7], off
	v_mov_b32_e32 v13, v7
	buffer_wbl2
	s_waitcnt vmcnt(0)
	global_atomic_cmpswap_x2 v[12:13], v29, v[10:13], s[6:7] offset:24 glc
	s_waitcnt vmcnt(0)
	v_cmp_ne_u64_e32 vcc, v[12:13], v[6:7]
	s_and_b64 exec, exec, vcc
	s_cbranch_execz .LBB3_27
; %bb.107:                              ;   in Loop: Header=BB3_28 Depth=1
	s_mov_b64 s[4:5], 0
.LBB3_108:                              ;   Parent Loop BB3_28 Depth=1
                                        ; =>  This Inner Loop Header: Depth=2
	s_sleep 1
	global_store_dwordx2 v[2:3], v[12:13], off
	buffer_wbl2
	s_waitcnt vmcnt(0)
	global_atomic_cmpswap_x2 v[6:7], v29, v[10:13], s[6:7] offset:24 glc
	s_waitcnt vmcnt(0)
	v_cmp_eq_u64_e32 vcc, v[6:7], v[12:13]
	s_or_b64 s[4:5], vcc, s[4:5]
	v_pk_mov_b32 v[12:13], v[6:7], v[6:7] op_sel:[0,1]
	s_andn2_b64 exec, exec, s[4:5]
	s_cbranch_execnz .LBB3_108
	s_branch .LBB3_27
.LBB3_109:
                                        ; implicit-def: $vgpr0_vgpr1
	s_cbranch_execnz .LBB3_111
	s_branch .LBB3_137
.LBB3_110:
	s_branch .LBB3_137
.LBB3_111:
	v_readfirstlane_b32 s4, v35
	v_cmp_eq_u32_e64 s[4:5], s4, v35
	v_pk_mov_b32 v[8:9], 0, 0
	s_and_saveexec_b64 s[10:11], s[4:5]
	s_cbranch_execz .LBB3_117
; %bb.112:
	s_waitcnt vmcnt(0)
	v_mov_b32_e32 v0, 0
	global_load_dwordx2 v[10:11], v0, s[6:7] offset:24 glc
	s_waitcnt vmcnt(0)
	buffer_invl2
	buffer_wbinvl1_vol
	global_load_dwordx2 v[2:3], v0, s[6:7] offset:40
	global_load_dwordx2 v[6:7], v0, s[6:7]
	s_waitcnt vmcnt(1)
	v_and_b32_e32 v1, v2, v10
	v_and_b32_e32 v2, v3, v11
	v_mul_lo_u32 v2, v2, 24
	v_mul_hi_u32 v3, v1, 24
	v_mul_lo_u32 v1, v1, 24
	v_add_u32_e32 v3, v3, v2
	s_waitcnt vmcnt(0)
	v_add_co_u32_e32 v2, vcc, v6, v1
	v_addc_co_u32_e32 v3, vcc, v7, v3, vcc
	global_load_dwordx2 v[8:9], v[2:3], off glc
	s_waitcnt vmcnt(0)
	global_atomic_cmpswap_x2 v[8:9], v0, v[8:11], s[6:7] offset:24 glc
	s_waitcnt vmcnt(0)
	buffer_invl2
	buffer_wbinvl1_vol
	v_cmp_ne_u64_e32 vcc, v[8:9], v[10:11]
	s_and_saveexec_b64 s[12:13], vcc
	s_cbranch_execz .LBB3_116
; %bb.113:
	s_mov_b64 s[14:15], 0
.LBB3_114:                              ; =>This Inner Loop Header: Depth=1
	s_sleep 1
	global_load_dwordx2 v[2:3], v0, s[6:7] offset:40
	global_load_dwordx2 v[6:7], v0, s[6:7]
	v_pk_mov_b32 v[10:11], v[8:9], v[8:9] op_sel:[0,1]
	s_waitcnt vmcnt(1)
	v_and_b32_e32 v2, v2, v10
	v_and_b32_e32 v1, v3, v11
	s_waitcnt vmcnt(0)
	v_mad_u64_u32 v[2:3], s[16:17], v2, 24, v[6:7]
	v_mov_b32_e32 v6, v3
	v_mad_u64_u32 v[6:7], s[16:17], v1, 24, v[6:7]
	v_mov_b32_e32 v3, v6
	global_load_dwordx2 v[8:9], v[2:3], off glc
	s_waitcnt vmcnt(0)
	global_atomic_cmpswap_x2 v[8:9], v0, v[8:11], s[6:7] offset:24 glc
	s_waitcnt vmcnt(0)
	buffer_invl2
	buffer_wbinvl1_vol
	v_cmp_eq_u64_e32 vcc, v[8:9], v[10:11]
	s_or_b64 s[14:15], vcc, s[14:15]
	s_andn2_b64 exec, exec, s[14:15]
	s_cbranch_execnz .LBB3_114
; %bb.115:
	s_or_b64 exec, exec, s[14:15]
.LBB3_116:
	s_or_b64 exec, exec, s[12:13]
.LBB3_117:
	s_or_b64 exec, exec, s[10:11]
	v_mov_b32_e32 v6, 0
	global_load_dwordx2 v[10:11], v6, s[6:7] offset:40
	global_load_dwordx4 v[0:3], v6, s[6:7]
	v_readfirstlane_b32 s10, v8
	v_readfirstlane_b32 s11, v9
	s_mov_b64 s[12:13], exec
	s_waitcnt vmcnt(1)
	v_readfirstlane_b32 s14, v10
	v_readfirstlane_b32 s15, v11
	s_and_b64 s[14:15], s[10:11], s[14:15]
	s_mul_i32 s16, s15, 24
	s_mul_hi_u32 s17, s14, 24
	s_mul_i32 s18, s14, 24
	s_add_i32 s16, s17, s16
	v_mov_b32_e32 v7, s16
	s_waitcnt vmcnt(0)
	v_add_co_u32_e32 v8, vcc, s18, v0
	v_addc_co_u32_e32 v9, vcc, v1, v7, vcc
	s_and_saveexec_b64 s[16:17], s[4:5]
	s_cbranch_execz .LBB3_119
; %bb.118:
	v_pk_mov_b32 v[10:11], s[12:13], s[12:13] op_sel:[0,1]
	v_mov_b32_e32 v12, 2
	v_mov_b32_e32 v13, 1
	global_store_dwordx4 v[8:9], v[10:13], off offset:8
.LBB3_119:
	s_or_b64 exec, exec, s[16:17]
	s_lshl_b64 s[12:13], s[14:15], 12
	v_mov_b32_e32 v7, s13
	v_add_co_u32_e32 v2, vcc, s12, v2
	s_movk_i32 s12, 0xff1f
	v_addc_co_u32_e32 v3, vcc, v3, v7, vcc
	v_and_or_b32 v4, v4, s12, 32
	s_mov_b32 s12, 0
	v_add_co_u32_e32 v10, vcc, v2, v34
	v_mov_b32_e32 v7, v6
	v_readfirstlane_b32 s16, v2
	v_readfirstlane_b32 s17, v3
	s_mov_b32 s13, s12
	v_addc_co_u32_e32 v11, vcc, 0, v3, vcc
	s_mov_b32 s14, s12
	s_mov_b32 s15, s12
	s_nop 0
	global_store_dwordx4 v34, v[4:7], s[16:17]
	v_pk_mov_b32 v[2:3], s[12:13], s[12:13] op_sel:[0,1]
	v_pk_mov_b32 v[4:5], s[14:15], s[14:15] op_sel:[0,1]
	global_store_dwordx4 v34, v[2:5], s[16:17] offset:16
	global_store_dwordx4 v34, v[2:5], s[16:17] offset:32
	;; [unrolled: 1-line block ×3, first 2 shown]
	s_and_saveexec_b64 s[12:13], s[4:5]
	s_cbranch_execz .LBB3_127
; %bb.120:
	v_mov_b32_e32 v6, 0
	global_load_dwordx2 v[14:15], v6, s[6:7] offset:32 glc
	global_load_dwordx2 v[2:3], v6, s[6:7] offset:40
	v_mov_b32_e32 v12, s10
	v_mov_b32_e32 v13, s11
	s_waitcnt vmcnt(0)
	v_readfirstlane_b32 s14, v2
	v_readfirstlane_b32 s15, v3
	s_and_b64 s[14:15], s[14:15], s[10:11]
	s_mul_i32 s15, s15, 24
	s_mul_hi_u32 s16, s14, 24
	s_mul_i32 s14, s14, 24
	s_add_i32 s15, s16, s15
	v_mov_b32_e32 v2, s15
	v_add_co_u32_e32 v4, vcc, s14, v0
	v_addc_co_u32_e32 v5, vcc, v1, v2, vcc
	global_store_dwordx2 v[4:5], v[14:15], off
	buffer_wbl2
	s_waitcnt vmcnt(0)
	global_atomic_cmpswap_x2 v[2:3], v6, v[12:15], s[6:7] offset:32 glc
	s_waitcnt vmcnt(0)
	v_cmp_ne_u64_e32 vcc, v[2:3], v[14:15]
	s_and_saveexec_b64 s[14:15], vcc
	s_cbranch_execz .LBB3_123
; %bb.121:
	s_mov_b64 s[16:17], 0
.LBB3_122:                              ; =>This Inner Loop Header: Depth=1
	s_sleep 1
	global_store_dwordx2 v[4:5], v[2:3], off
	v_mov_b32_e32 v0, s10
	v_mov_b32_e32 v1, s11
	buffer_wbl2
	s_waitcnt vmcnt(0)
	global_atomic_cmpswap_x2 v[0:1], v6, v[0:3], s[6:7] offset:32 glc
	s_waitcnt vmcnt(0)
	v_cmp_eq_u64_e32 vcc, v[0:1], v[2:3]
	s_or_b64 s[16:17], vcc, s[16:17]
	v_pk_mov_b32 v[2:3], v[0:1], v[0:1] op_sel:[0,1]
	s_andn2_b64 exec, exec, s[16:17]
	s_cbranch_execnz .LBB3_122
.LBB3_123:
	s_or_b64 exec, exec, s[14:15]
	v_mov_b32_e32 v3, 0
	global_load_dwordx2 v[0:1], v3, s[6:7] offset:16
	s_mov_b64 s[14:15], exec
	v_mbcnt_lo_u32_b32 v2, s14, 0
	v_mbcnt_hi_u32_b32 v2, s15, v2
	v_cmp_eq_u32_e32 vcc, 0, v2
	s_and_saveexec_b64 s[16:17], vcc
	s_cbranch_execz .LBB3_125
; %bb.124:
	s_bcnt1_i32_b64 s14, s[14:15]
	v_mov_b32_e32 v2, s14
	buffer_wbl2
	s_waitcnt vmcnt(0)
	global_atomic_add_x2 v[0:1], v[2:3], off offset:8
.LBB3_125:
	s_or_b64 exec, exec, s[16:17]
	s_waitcnt vmcnt(0)
	global_load_dwordx2 v[2:3], v[0:1], off offset:16
	s_waitcnt vmcnt(0)
	v_cmp_eq_u64_e32 vcc, 0, v[2:3]
	s_cbranch_vccnz .LBB3_127
; %bb.126:
	global_load_dword v0, v[0:1], off offset:24
	v_mov_b32_e32 v1, 0
	buffer_wbl2
	s_waitcnt vmcnt(0)
	global_store_dwordx2 v[2:3], v[0:1], off
	v_and_b32_e32 v0, 0xffffff, v0
	v_readfirstlane_b32 m0, v0
	s_sendmsg sendmsg(MSG_INTERRUPT)
.LBB3_127:
	s_or_b64 exec, exec, s[12:13]
	s_branch .LBB3_131
.LBB3_128:                              ;   in Loop: Header=BB3_131 Depth=1
	s_or_b64 exec, exec, s[12:13]
	v_readfirstlane_b32 s12, v0
	s_cmp_eq_u32 s12, 0
	s_cbranch_scc1 .LBB3_130
; %bb.129:                              ;   in Loop: Header=BB3_131 Depth=1
	s_sleep 1
	s_cbranch_execnz .LBB3_131
	s_branch .LBB3_133
.LBB3_130:
	s_branch .LBB3_133
.LBB3_131:                              ; =>This Inner Loop Header: Depth=1
	v_mov_b32_e32 v0, 1
	s_and_saveexec_b64 s[12:13], s[4:5]
	s_cbranch_execz .LBB3_128
; %bb.132:                              ;   in Loop: Header=BB3_131 Depth=1
	global_load_dword v0, v[8:9], off offset:20 glc
	s_waitcnt vmcnt(0)
	buffer_invl2
	buffer_wbinvl1_vol
	v_and_b32_e32 v0, 1, v0
	s_branch .LBB3_128
.LBB3_133:
	global_load_dwordx2 v[0:1], v[10:11], off
	s_and_saveexec_b64 s[12:13], s[4:5]
	s_cbranch_execz .LBB3_136
; %bb.134:
	v_mov_b32_e32 v8, 0
	global_load_dwordx2 v[6:7], v8, s[6:7] offset:40
	global_load_dwordx2 v[10:11], v8, s[6:7] offset:24 glc
	global_load_dwordx2 v[12:13], v8, s[6:7]
	v_mov_b32_e32 v3, s11
	s_mov_b64 s[4:5], 0
	s_waitcnt vmcnt(2)
	v_add_co_u32_e32 v5, vcc, 1, v6
	v_addc_co_u32_e32 v9, vcc, 0, v7, vcc
	v_add_co_u32_e32 v2, vcc, s10, v5
	v_addc_co_u32_e32 v3, vcc, v9, v3, vcc
	v_cmp_eq_u64_e32 vcc, 0, v[2:3]
	v_cndmask_b32_e32 v3, v3, v9, vcc
	v_cndmask_b32_e32 v2, v2, v5, vcc
	v_and_b32_e32 v5, v3, v7
	v_and_b32_e32 v6, v2, v6
	v_mul_lo_u32 v5, v5, 24
	v_mul_hi_u32 v7, v6, 24
	v_mul_lo_u32 v6, v6, 24
	v_add_u32_e32 v5, v7, v5
	s_waitcnt vmcnt(0)
	v_add_co_u32_e32 v6, vcc, v12, v6
	v_addc_co_u32_e32 v7, vcc, v13, v5, vcc
	v_mov_b32_e32 v4, v10
	global_store_dwordx2 v[6:7], v[10:11], off
	v_mov_b32_e32 v5, v11
	buffer_wbl2
	s_waitcnt vmcnt(0)
	global_atomic_cmpswap_x2 v[4:5], v8, v[2:5], s[6:7] offset:24 glc
	s_waitcnt vmcnt(0)
	v_cmp_ne_u64_e32 vcc, v[4:5], v[10:11]
	s_and_b64 exec, exec, vcc
	s_cbranch_execz .LBB3_136
.LBB3_135:                              ; =>This Inner Loop Header: Depth=1
	s_sleep 1
	global_store_dwordx2 v[6:7], v[4:5], off
	buffer_wbl2
	s_waitcnt vmcnt(0)
	global_atomic_cmpswap_x2 v[10:11], v8, v[2:5], s[6:7] offset:24 glc
	s_waitcnt vmcnt(0)
	v_cmp_eq_u64_e32 vcc, v[10:11], v[4:5]
	s_or_b64 s[4:5], vcc, s[4:5]
	v_pk_mov_b32 v[4:5], v[10:11], v[10:11] op_sel:[0,1]
	s_andn2_b64 exec, exec, s[4:5]
	s_cbranch_execnz .LBB3_135
.LBB3_136:
	s_or_b64 exec, exec, s[12:13]
.LBB3_137:
	s_getpc_b64 s[10:11]
	s_add_u32 s10, s10, .str.1@rel32@lo+4
	s_addc_u32 s11, s11, .str.1@rel32@hi+12
	s_cmp_lg_u64 s[10:11], 0
	s_cselect_b64 s[4:5], -1, 0
	s_cmp_eq_u64 s[10:11], 0
	s_mov_b64 s[10:11], 0
	s_cbranch_scc1 .LBB3_141
; %bb.138:
	s_waitcnt vmcnt(0)
	v_mov_b32_e32 v2, 0
	s_getpc_b64 s[10:11]
	s_add_u32 s10, s10, .str.1@rel32@lo+3
	s_addc_u32 s11, s11, .str.1@rel32@hi+11
.LBB3_139:                              ; =>This Inner Loop Header: Depth=1
	global_load_ubyte v3, v2, s[10:11] offset:1
	s_add_u32 s12, s10, 1
	s_addc_u32 s13, s11, 0
	s_mov_b64 s[10:11], s[12:13]
	s_waitcnt vmcnt(0)
	v_cmp_ne_u16_e32 vcc, 0, v3
	s_cbranch_vccnz .LBB3_139
; %bb.140:
	s_getpc_b64 s[10:11]
	s_add_u32 s10, s10, .str.1@rel32@lo+4
	s_addc_u32 s11, s11, .str.1@rel32@hi+12
	s_sub_u32 s10, s12, s10
	s_subb_u32 s11, s13, s11
	s_add_u32 s10, s10, 1
	s_addc_u32 s11, s11, 0
.LBB3_141:
	s_and_b64 vcc, exec, s[4:5]
	s_cbranch_vccz .LBB3_225
; %bb.142:
	s_waitcnt vmcnt(0)
	v_and_b32_e32 v28, 2, v0
	v_mov_b32_e32 v31, 0
	v_and_b32_e32 v2, -3, v0
	v_mov_b32_e32 v3, v1
	v_mov_b32_e32 v6, 2
	;; [unrolled: 1-line block ×3, first 2 shown]
	s_getpc_b64 s[12:13]
	s_add_u32 s12, s12, .str.1@rel32@lo+4
	s_addc_u32 s13, s13, .str.1@rel32@hi+12
	s_branch .LBB3_144
.LBB3_143:                              ;   in Loop: Header=BB3_144 Depth=1
	s_or_b64 exec, exec, s[18:19]
	s_sub_u32 s10, s10, s14
	s_subb_u32 s11, s11, s15
	s_add_u32 s12, s12, s14
	s_addc_u32 s13, s13, s15
	s_cmp_lg_u64 s[10:11], 0
	s_cbranch_scc0 .LBB3_226
.LBB3_144:                              ; =>This Loop Header: Depth=1
                                        ;     Child Loop BB3_147 Depth 2
                                        ;     Child Loop BB3_154 Depth 2
	;; [unrolled: 1-line block ×11, first 2 shown]
	v_cmp_lt_u64_e64 s[4:5], s[10:11], 56
	s_and_b64 s[4:5], s[4:5], exec
	v_cmp_gt_u64_e64 s[4:5], s[10:11], 7
	s_cselect_b32 s15, s11, 0
	s_cselect_b32 s14, s10, 56
	s_and_b64 vcc, exec, s[4:5]
	s_cbranch_vccnz .LBB3_149
; %bb.145:                              ;   in Loop: Header=BB3_144 Depth=1
	s_mov_b64 s[4:5], 0
	s_cmp_eq_u64 s[10:11], 0
	v_pk_mov_b32 v[10:11], 0, 0
	s_cbranch_scc1 .LBB3_148
; %bb.146:                              ;   in Loop: Header=BB3_144 Depth=1
	s_lshl_b64 s[16:17], s[14:15], 3
	s_mov_b64 s[18:19], 0
	v_pk_mov_b32 v[10:11], 0, 0
	s_mov_b64 s[20:21], s[12:13]
.LBB3_147:                              ;   Parent Loop BB3_144 Depth=1
                                        ; =>  This Inner Loop Header: Depth=2
	global_load_ubyte v4, v31, s[20:21]
	s_waitcnt vmcnt(0)
	v_and_b32_e32 v30, 0xffff, v4
	v_lshlrev_b64 v[4:5], s18, v[30:31]
	s_add_u32 s18, s18, 8
	s_addc_u32 s19, s19, 0
	s_add_u32 s20, s20, 1
	s_addc_u32 s21, s21, 0
	v_or_b32_e32 v10, v4, v10
	s_cmp_lg_u32 s16, s18
	v_or_b32_e32 v11, v5, v11
	s_cbranch_scc1 .LBB3_147
.LBB3_148:                              ;   in Loop: Header=BB3_144 Depth=1
	s_mov_b32 s20, 0
	s_andn2_b64 vcc, exec, s[4:5]
	s_mov_b64 s[4:5], s[12:13]
	s_cbranch_vccz .LBB3_150
	s_branch .LBB3_151
.LBB3_149:                              ;   in Loop: Header=BB3_144 Depth=1
                                        ; implicit-def: $vgpr10_vgpr11
                                        ; implicit-def: $sgpr20
	s_mov_b64 s[4:5], s[12:13]
.LBB3_150:                              ;   in Loop: Header=BB3_144 Depth=1
	global_load_dwordx2 v[10:11], v31, s[12:13]
	s_add_i32 s20, s14, -8
	s_add_u32 s4, s12, 8
	s_addc_u32 s5, s13, 0
.LBB3_151:                              ;   in Loop: Header=BB3_144 Depth=1
	s_cmp_gt_u32 s20, 7
	s_cbranch_scc1 .LBB3_155
; %bb.152:                              ;   in Loop: Header=BB3_144 Depth=1
	s_cmp_eq_u32 s20, 0
	s_cbranch_scc1 .LBB3_156
; %bb.153:                              ;   in Loop: Header=BB3_144 Depth=1
	s_mov_b64 s[16:17], 0
	v_pk_mov_b32 v[12:13], 0, 0
	s_mov_b64 s[18:19], 0
.LBB3_154:                              ;   Parent Loop BB3_144 Depth=1
                                        ; =>  This Inner Loop Header: Depth=2
	s_add_u32 s22, s4, s18
	s_addc_u32 s23, s5, s19
	global_load_ubyte v4, v31, s[22:23]
	s_add_u32 s18, s18, 1
	s_addc_u32 s19, s19, 0
	s_waitcnt vmcnt(0)
	v_and_b32_e32 v30, 0xffff, v4
	v_lshlrev_b64 v[4:5], s16, v[30:31]
	s_add_u32 s16, s16, 8
	s_addc_u32 s17, s17, 0
	v_or_b32_e32 v12, v4, v12
	s_cmp_lg_u32 s20, s18
	v_or_b32_e32 v13, v5, v13
	s_cbranch_scc1 .LBB3_154
	s_branch .LBB3_157
.LBB3_155:                              ;   in Loop: Header=BB3_144 Depth=1
                                        ; implicit-def: $vgpr12_vgpr13
                                        ; implicit-def: $sgpr21
	s_branch .LBB3_158
.LBB3_156:                              ;   in Loop: Header=BB3_144 Depth=1
	v_pk_mov_b32 v[12:13], 0, 0
.LBB3_157:                              ;   in Loop: Header=BB3_144 Depth=1
	s_mov_b32 s21, 0
	s_cbranch_execnz .LBB3_159
.LBB3_158:                              ;   in Loop: Header=BB3_144 Depth=1
	global_load_dwordx2 v[12:13], v31, s[4:5]
	s_add_i32 s21, s20, -8
	s_add_u32 s4, s4, 8
	s_addc_u32 s5, s5, 0
.LBB3_159:                              ;   in Loop: Header=BB3_144 Depth=1
	s_cmp_gt_u32 s21, 7
	s_cbranch_scc1 .LBB3_163
; %bb.160:                              ;   in Loop: Header=BB3_144 Depth=1
	s_cmp_eq_u32 s21, 0
	s_cbranch_scc1 .LBB3_164
; %bb.161:                              ;   in Loop: Header=BB3_144 Depth=1
	s_mov_b64 s[16:17], 0
	v_pk_mov_b32 v[14:15], 0, 0
	s_mov_b64 s[18:19], 0
.LBB3_162:                              ;   Parent Loop BB3_144 Depth=1
                                        ; =>  This Inner Loop Header: Depth=2
	s_add_u32 s22, s4, s18
	s_addc_u32 s23, s5, s19
	global_load_ubyte v4, v31, s[22:23]
	s_add_u32 s18, s18, 1
	s_addc_u32 s19, s19, 0
	s_waitcnt vmcnt(0)
	v_and_b32_e32 v30, 0xffff, v4
	v_lshlrev_b64 v[4:5], s16, v[30:31]
	s_add_u32 s16, s16, 8
	s_addc_u32 s17, s17, 0
	v_or_b32_e32 v14, v4, v14
	s_cmp_lg_u32 s21, s18
	v_or_b32_e32 v15, v5, v15
	s_cbranch_scc1 .LBB3_162
	s_branch .LBB3_165
.LBB3_163:                              ;   in Loop: Header=BB3_144 Depth=1
                                        ; implicit-def: $sgpr20
	s_branch .LBB3_166
.LBB3_164:                              ;   in Loop: Header=BB3_144 Depth=1
	v_pk_mov_b32 v[14:15], 0, 0
.LBB3_165:                              ;   in Loop: Header=BB3_144 Depth=1
	s_mov_b32 s20, 0
	s_cbranch_execnz .LBB3_167
.LBB3_166:                              ;   in Loop: Header=BB3_144 Depth=1
	global_load_dwordx2 v[14:15], v31, s[4:5]
	s_add_i32 s20, s21, -8
	s_add_u32 s4, s4, 8
	s_addc_u32 s5, s5, 0
.LBB3_167:                              ;   in Loop: Header=BB3_144 Depth=1
	s_cmp_gt_u32 s20, 7
	s_cbranch_scc1 .LBB3_171
; %bb.168:                              ;   in Loop: Header=BB3_144 Depth=1
	s_cmp_eq_u32 s20, 0
	s_cbranch_scc1 .LBB3_172
; %bb.169:                              ;   in Loop: Header=BB3_144 Depth=1
	s_mov_b64 s[16:17], 0
	v_pk_mov_b32 v[16:17], 0, 0
	s_mov_b64 s[18:19], 0
.LBB3_170:                              ;   Parent Loop BB3_144 Depth=1
                                        ; =>  This Inner Loop Header: Depth=2
	s_add_u32 s22, s4, s18
	s_addc_u32 s23, s5, s19
	global_load_ubyte v4, v31, s[22:23]
	s_add_u32 s18, s18, 1
	s_addc_u32 s19, s19, 0
	s_waitcnt vmcnt(0)
	v_and_b32_e32 v30, 0xffff, v4
	v_lshlrev_b64 v[4:5], s16, v[30:31]
	s_add_u32 s16, s16, 8
	s_addc_u32 s17, s17, 0
	v_or_b32_e32 v16, v4, v16
	s_cmp_lg_u32 s20, s18
	v_or_b32_e32 v17, v5, v17
	s_cbranch_scc1 .LBB3_170
	s_branch .LBB3_173
.LBB3_171:                              ;   in Loop: Header=BB3_144 Depth=1
                                        ; implicit-def: $vgpr16_vgpr17
                                        ; implicit-def: $sgpr21
	s_branch .LBB3_174
.LBB3_172:                              ;   in Loop: Header=BB3_144 Depth=1
	v_pk_mov_b32 v[16:17], 0, 0
.LBB3_173:                              ;   in Loop: Header=BB3_144 Depth=1
	s_mov_b32 s21, 0
	s_cbranch_execnz .LBB3_175
.LBB3_174:                              ;   in Loop: Header=BB3_144 Depth=1
	global_load_dwordx2 v[16:17], v31, s[4:5]
	s_add_i32 s21, s20, -8
	s_add_u32 s4, s4, 8
	s_addc_u32 s5, s5, 0
.LBB3_175:                              ;   in Loop: Header=BB3_144 Depth=1
	s_cmp_gt_u32 s21, 7
	s_cbranch_scc1 .LBB3_179
; %bb.176:                              ;   in Loop: Header=BB3_144 Depth=1
	s_cmp_eq_u32 s21, 0
	s_cbranch_scc1 .LBB3_180
; %bb.177:                              ;   in Loop: Header=BB3_144 Depth=1
	s_mov_b64 s[16:17], 0
	v_pk_mov_b32 v[18:19], 0, 0
	s_mov_b64 s[18:19], 0
.LBB3_178:                              ;   Parent Loop BB3_144 Depth=1
                                        ; =>  This Inner Loop Header: Depth=2
	s_add_u32 s22, s4, s18
	s_addc_u32 s23, s5, s19
	global_load_ubyte v4, v31, s[22:23]
	s_add_u32 s18, s18, 1
	s_addc_u32 s19, s19, 0
	s_waitcnt vmcnt(0)
	v_and_b32_e32 v30, 0xffff, v4
	v_lshlrev_b64 v[4:5], s16, v[30:31]
	s_add_u32 s16, s16, 8
	s_addc_u32 s17, s17, 0
	v_or_b32_e32 v18, v4, v18
	s_cmp_lg_u32 s21, s18
	v_or_b32_e32 v19, v5, v19
	s_cbranch_scc1 .LBB3_178
	s_branch .LBB3_181
.LBB3_179:                              ;   in Loop: Header=BB3_144 Depth=1
                                        ; implicit-def: $sgpr20
	s_branch .LBB3_182
.LBB3_180:                              ;   in Loop: Header=BB3_144 Depth=1
	v_pk_mov_b32 v[18:19], 0, 0
.LBB3_181:                              ;   in Loop: Header=BB3_144 Depth=1
	s_mov_b32 s20, 0
	s_cbranch_execnz .LBB3_183
.LBB3_182:                              ;   in Loop: Header=BB3_144 Depth=1
	global_load_dwordx2 v[18:19], v31, s[4:5]
	s_add_i32 s20, s21, -8
	s_add_u32 s4, s4, 8
	s_addc_u32 s5, s5, 0
.LBB3_183:                              ;   in Loop: Header=BB3_144 Depth=1
	s_cmp_gt_u32 s20, 7
	s_cbranch_scc1 .LBB3_187
; %bb.184:                              ;   in Loop: Header=BB3_144 Depth=1
	s_cmp_eq_u32 s20, 0
	s_cbranch_scc1 .LBB3_188
; %bb.185:                              ;   in Loop: Header=BB3_144 Depth=1
	s_mov_b64 s[16:17], 0
	v_pk_mov_b32 v[20:21], 0, 0
	s_mov_b64 s[18:19], 0
.LBB3_186:                              ;   Parent Loop BB3_144 Depth=1
                                        ; =>  This Inner Loop Header: Depth=2
	s_add_u32 s22, s4, s18
	s_addc_u32 s23, s5, s19
	global_load_ubyte v4, v31, s[22:23]
	s_add_u32 s18, s18, 1
	s_addc_u32 s19, s19, 0
	s_waitcnt vmcnt(0)
	v_and_b32_e32 v30, 0xffff, v4
	v_lshlrev_b64 v[4:5], s16, v[30:31]
	s_add_u32 s16, s16, 8
	s_addc_u32 s17, s17, 0
	v_or_b32_e32 v20, v4, v20
	s_cmp_lg_u32 s20, s18
	v_or_b32_e32 v21, v5, v21
	s_cbranch_scc1 .LBB3_186
	s_branch .LBB3_189
.LBB3_187:                              ;   in Loop: Header=BB3_144 Depth=1
                                        ; implicit-def: $vgpr20_vgpr21
                                        ; implicit-def: $sgpr21
	s_branch .LBB3_190
.LBB3_188:                              ;   in Loop: Header=BB3_144 Depth=1
	v_pk_mov_b32 v[20:21], 0, 0
.LBB3_189:                              ;   in Loop: Header=BB3_144 Depth=1
	s_mov_b32 s21, 0
	s_cbranch_execnz .LBB3_191
.LBB3_190:                              ;   in Loop: Header=BB3_144 Depth=1
	global_load_dwordx2 v[20:21], v31, s[4:5]
	s_add_i32 s21, s20, -8
	s_add_u32 s4, s4, 8
	s_addc_u32 s5, s5, 0
.LBB3_191:                              ;   in Loop: Header=BB3_144 Depth=1
	s_cmp_gt_u32 s21, 7
	s_cbranch_scc1 .LBB3_195
; %bb.192:                              ;   in Loop: Header=BB3_144 Depth=1
	s_cmp_eq_u32 s21, 0
	s_cbranch_scc1 .LBB3_196
; %bb.193:                              ;   in Loop: Header=BB3_144 Depth=1
	s_mov_b64 s[16:17], 0
	v_pk_mov_b32 v[22:23], 0, 0
	s_mov_b64 s[18:19], s[4:5]
.LBB3_194:                              ;   Parent Loop BB3_144 Depth=1
                                        ; =>  This Inner Loop Header: Depth=2
	global_load_ubyte v4, v31, s[18:19]
	s_add_i32 s21, s21, -1
	s_waitcnt vmcnt(0)
	v_and_b32_e32 v30, 0xffff, v4
	v_lshlrev_b64 v[4:5], s16, v[30:31]
	s_add_u32 s16, s16, 8
	s_addc_u32 s17, s17, 0
	s_add_u32 s18, s18, 1
	s_addc_u32 s19, s19, 0
	v_or_b32_e32 v22, v4, v22
	s_cmp_lg_u32 s21, 0
	v_or_b32_e32 v23, v5, v23
	s_cbranch_scc1 .LBB3_194
	s_branch .LBB3_197
.LBB3_195:                              ;   in Loop: Header=BB3_144 Depth=1
	s_branch .LBB3_198
.LBB3_196:                              ;   in Loop: Header=BB3_144 Depth=1
	v_pk_mov_b32 v[22:23], 0, 0
.LBB3_197:                              ;   in Loop: Header=BB3_144 Depth=1
	s_cbranch_execnz .LBB3_199
.LBB3_198:                              ;   in Loop: Header=BB3_144 Depth=1
	global_load_dwordx2 v[22:23], v31, s[4:5]
.LBB3_199:                              ;   in Loop: Header=BB3_144 Depth=1
	v_readfirstlane_b32 s4, v35
	v_cmp_eq_u32_e64 s[4:5], s4, v35
	s_waitcnt vmcnt(0)
	v_pk_mov_b32 v[4:5], 0, 0
	s_and_saveexec_b64 s[16:17], s[4:5]
	s_cbranch_execz .LBB3_205
; %bb.200:                              ;   in Loop: Header=BB3_144 Depth=1
	global_load_dwordx2 v[26:27], v31, s[6:7] offset:24 glc
	s_waitcnt vmcnt(0)
	buffer_invl2
	buffer_wbinvl1_vol
	global_load_dwordx2 v[4:5], v31, s[6:7] offset:40
	global_load_dwordx2 v[8:9], v31, s[6:7]
	s_waitcnt vmcnt(1)
	v_and_b32_e32 v4, v4, v26
	v_and_b32_e32 v5, v5, v27
	v_mul_lo_u32 v5, v5, 24
	v_mul_hi_u32 v24, v4, 24
	v_mul_lo_u32 v4, v4, 24
	v_add_u32_e32 v5, v24, v5
	s_waitcnt vmcnt(0)
	v_add_co_u32_e32 v4, vcc, v8, v4
	v_addc_co_u32_e32 v5, vcc, v9, v5, vcc
	global_load_dwordx2 v[24:25], v[4:5], off glc
	s_waitcnt vmcnt(0)
	global_atomic_cmpswap_x2 v[4:5], v31, v[24:27], s[6:7] offset:24 glc
	s_waitcnt vmcnt(0)
	buffer_invl2
	buffer_wbinvl1_vol
	v_cmp_ne_u64_e32 vcc, v[4:5], v[26:27]
	s_and_saveexec_b64 s[18:19], vcc
	s_cbranch_execz .LBB3_204
; %bb.201:                              ;   in Loop: Header=BB3_144 Depth=1
	s_mov_b64 s[20:21], 0
.LBB3_202:                              ;   Parent Loop BB3_144 Depth=1
                                        ; =>  This Inner Loop Header: Depth=2
	s_sleep 1
	global_load_dwordx2 v[8:9], v31, s[6:7] offset:40
	global_load_dwordx2 v[24:25], v31, s[6:7]
	v_pk_mov_b32 v[26:27], v[4:5], v[4:5] op_sel:[0,1]
	s_waitcnt vmcnt(1)
	v_and_b32_e32 v4, v8, v26
	s_waitcnt vmcnt(0)
	v_mad_u64_u32 v[4:5], s[22:23], v4, 24, v[24:25]
	v_and_b32_e32 v9, v9, v27
	v_mov_b32_e32 v8, v5
	v_mad_u64_u32 v[8:9], s[22:23], v9, 24, v[8:9]
	v_mov_b32_e32 v5, v8
	global_load_dwordx2 v[24:25], v[4:5], off glc
	s_waitcnt vmcnt(0)
	global_atomic_cmpswap_x2 v[4:5], v31, v[24:27], s[6:7] offset:24 glc
	s_waitcnt vmcnt(0)
	buffer_invl2
	buffer_wbinvl1_vol
	v_cmp_eq_u64_e32 vcc, v[4:5], v[26:27]
	s_or_b64 s[20:21], vcc, s[20:21]
	s_andn2_b64 exec, exec, s[20:21]
	s_cbranch_execnz .LBB3_202
; %bb.203:                              ;   in Loop: Header=BB3_144 Depth=1
	s_or_b64 exec, exec, s[20:21]
.LBB3_204:                              ;   in Loop: Header=BB3_144 Depth=1
	s_or_b64 exec, exec, s[18:19]
.LBB3_205:                              ;   in Loop: Header=BB3_144 Depth=1
	s_or_b64 exec, exec, s[16:17]
	global_load_dwordx2 v[8:9], v31, s[6:7] offset:40
	global_load_dwordx4 v[24:27], v31, s[6:7]
	v_readfirstlane_b32 s16, v4
	v_readfirstlane_b32 s17, v5
	s_mov_b64 s[18:19], exec
	s_waitcnt vmcnt(1)
	v_readfirstlane_b32 s20, v8
	v_readfirstlane_b32 s21, v9
	s_and_b64 s[20:21], s[16:17], s[20:21]
	s_mul_i32 s22, s21, 24
	s_mul_hi_u32 s23, s20, 24
	s_mul_i32 s24, s20, 24
	s_add_i32 s22, s23, s22
	v_mov_b32_e32 v4, s22
	s_waitcnt vmcnt(0)
	v_add_co_u32_e32 v32, vcc, s24, v24
	v_addc_co_u32_e32 v33, vcc, v25, v4, vcc
	s_and_saveexec_b64 s[22:23], s[4:5]
	s_cbranch_execz .LBB3_207
; %bb.206:                              ;   in Loop: Header=BB3_144 Depth=1
	v_pk_mov_b32 v[4:5], s[18:19], s[18:19] op_sel:[0,1]
	global_store_dwordx4 v[32:33], v[4:7], off offset:8
.LBB3_207:                              ;   in Loop: Header=BB3_144 Depth=1
	s_or_b64 exec, exec, s[22:23]
	s_lshl_b64 s[18:19], s[20:21], 12
	v_mov_b32_e32 v4, s19
	v_add_co_u32_e32 v26, vcc, s18, v26
	v_addc_co_u32_e32 v27, vcc, v27, v4, vcc
	v_or_b32_e32 v5, v2, v28
	v_cmp_gt_u64_e64 vcc, s[10:11], 56
	s_lshl_b32 s18, s14, 2
	v_cndmask_b32_e32 v2, v5, v2, vcc
	s_add_i32 s18, s18, 28
	v_or_b32_e32 v4, 0, v3
	s_and_b32 s18, s18, 0x1e0
	v_and_b32_e32 v2, 0xffffff1f, v2
	v_cndmask_b32_e32 v9, v4, v3, vcc
	v_or_b32_e32 v8, s18, v2
	v_readfirstlane_b32 s18, v26
	v_readfirstlane_b32 s19, v27
	s_nop 4
	global_store_dwordx4 v34, v[8:11], s[18:19]
	global_store_dwordx4 v34, v[12:15], s[18:19] offset:16
	global_store_dwordx4 v34, v[16:19], s[18:19] offset:32
	;; [unrolled: 1-line block ×3, first 2 shown]
	s_and_saveexec_b64 s[18:19], s[4:5]
	s_cbranch_execz .LBB3_215
; %bb.208:                              ;   in Loop: Header=BB3_144 Depth=1
	global_load_dwordx2 v[12:13], v31, s[6:7] offset:32 glc
	global_load_dwordx2 v[2:3], v31, s[6:7] offset:40
	v_mov_b32_e32 v10, s16
	v_mov_b32_e32 v11, s17
	s_waitcnt vmcnt(0)
	v_readfirstlane_b32 s20, v2
	v_readfirstlane_b32 s21, v3
	s_and_b64 s[20:21], s[20:21], s[16:17]
	s_mul_i32 s21, s21, 24
	s_mul_hi_u32 s22, s20, 24
	s_mul_i32 s20, s20, 24
	s_add_i32 s21, s22, s21
	v_mov_b32_e32 v2, s21
	v_add_co_u32_e32 v8, vcc, s20, v24
	v_addc_co_u32_e32 v9, vcc, v25, v2, vcc
	global_store_dwordx2 v[8:9], v[12:13], off
	buffer_wbl2
	s_waitcnt vmcnt(0)
	global_atomic_cmpswap_x2 v[4:5], v31, v[10:13], s[6:7] offset:32 glc
	s_waitcnt vmcnt(0)
	v_cmp_ne_u64_e32 vcc, v[4:5], v[12:13]
	s_and_saveexec_b64 s[20:21], vcc
	s_cbranch_execz .LBB3_211
; %bb.209:                              ;   in Loop: Header=BB3_144 Depth=1
	s_mov_b64 s[22:23], 0
.LBB3_210:                              ;   Parent Loop BB3_144 Depth=1
                                        ; =>  This Inner Loop Header: Depth=2
	s_sleep 1
	global_store_dwordx2 v[8:9], v[4:5], off
	v_mov_b32_e32 v2, s16
	v_mov_b32_e32 v3, s17
	buffer_wbl2
	s_waitcnt vmcnt(0)
	global_atomic_cmpswap_x2 v[2:3], v31, v[2:5], s[6:7] offset:32 glc
	s_waitcnt vmcnt(0)
	v_cmp_eq_u64_e32 vcc, v[2:3], v[4:5]
	s_or_b64 s[22:23], vcc, s[22:23]
	v_pk_mov_b32 v[4:5], v[2:3], v[2:3] op_sel:[0,1]
	s_andn2_b64 exec, exec, s[22:23]
	s_cbranch_execnz .LBB3_210
.LBB3_211:                              ;   in Loop: Header=BB3_144 Depth=1
	s_or_b64 exec, exec, s[20:21]
	global_load_dwordx2 v[2:3], v31, s[6:7] offset:16
	s_mov_b64 s[22:23], exec
	v_mbcnt_lo_u32_b32 v4, s22, 0
	v_mbcnt_hi_u32_b32 v4, s23, v4
	v_cmp_eq_u32_e32 vcc, 0, v4
	s_and_saveexec_b64 s[20:21], vcc
	s_cbranch_execz .LBB3_213
; %bb.212:                              ;   in Loop: Header=BB3_144 Depth=1
	s_bcnt1_i32_b64 s22, s[22:23]
	v_mov_b32_e32 v30, s22
	buffer_wbl2
	s_waitcnt vmcnt(0)
	global_atomic_add_x2 v[2:3], v[30:31], off offset:8
.LBB3_213:                              ;   in Loop: Header=BB3_144 Depth=1
	s_or_b64 exec, exec, s[20:21]
	s_waitcnt vmcnt(0)
	global_load_dwordx2 v[4:5], v[2:3], off offset:16
	s_waitcnt vmcnt(0)
	v_cmp_eq_u64_e32 vcc, 0, v[4:5]
	s_cbranch_vccnz .LBB3_215
; %bb.214:                              ;   in Loop: Header=BB3_144 Depth=1
	global_load_dword v30, v[2:3], off offset:24
	s_waitcnt vmcnt(0)
	v_and_b32_e32 v2, 0xffffff, v30
	v_readfirstlane_b32 m0, v2
	buffer_wbl2
	global_store_dwordx2 v[4:5], v[30:31], off
	s_sendmsg sendmsg(MSG_INTERRUPT)
.LBB3_215:                              ;   in Loop: Header=BB3_144 Depth=1
	s_or_b64 exec, exec, s[18:19]
	v_add_co_u32_e32 v2, vcc, v26, v34
	v_addc_co_u32_e32 v3, vcc, 0, v27, vcc
	s_branch .LBB3_219
.LBB3_216:                              ;   in Loop: Header=BB3_219 Depth=2
	s_or_b64 exec, exec, s[18:19]
	v_readfirstlane_b32 s18, v4
	s_cmp_eq_u32 s18, 0
	s_cbranch_scc1 .LBB3_218
; %bb.217:                              ;   in Loop: Header=BB3_219 Depth=2
	s_sleep 1
	s_cbranch_execnz .LBB3_219
	s_branch .LBB3_221
.LBB3_218:                              ;   in Loop: Header=BB3_144 Depth=1
	s_branch .LBB3_221
.LBB3_219:                              ;   Parent Loop BB3_144 Depth=1
                                        ; =>  This Inner Loop Header: Depth=2
	v_mov_b32_e32 v4, 1
	s_and_saveexec_b64 s[18:19], s[4:5]
	s_cbranch_execz .LBB3_216
; %bb.220:                              ;   in Loop: Header=BB3_219 Depth=2
	global_load_dword v4, v[32:33], off offset:20 glc
	s_waitcnt vmcnt(0)
	buffer_invl2
	buffer_wbinvl1_vol
	v_and_b32_e32 v4, 1, v4
	s_branch .LBB3_216
.LBB3_221:                              ;   in Loop: Header=BB3_144 Depth=1
	global_load_dwordx4 v[2:5], v[2:3], off
	s_and_saveexec_b64 s[18:19], s[4:5]
	s_cbranch_execz .LBB3_143
; %bb.222:                              ;   in Loop: Header=BB3_144 Depth=1
	global_load_dwordx2 v[4:5], v31, s[6:7] offset:40
	global_load_dwordx2 v[12:13], v31, s[6:7] offset:24 glc
	global_load_dwordx2 v[14:15], v31, s[6:7]
	v_mov_b32_e32 v9, s17
	s_waitcnt vmcnt(2)
	v_add_co_u32_e32 v11, vcc, 1, v4
	v_addc_co_u32_e32 v16, vcc, 0, v5, vcc
	v_add_co_u32_e32 v8, vcc, s16, v11
	v_addc_co_u32_e32 v9, vcc, v16, v9, vcc
	v_cmp_eq_u64_e32 vcc, 0, v[8:9]
	v_cndmask_b32_e32 v9, v9, v16, vcc
	v_cndmask_b32_e32 v8, v8, v11, vcc
	v_and_b32_e32 v5, v9, v5
	v_and_b32_e32 v4, v8, v4
	v_mul_lo_u32 v5, v5, 24
	v_mul_hi_u32 v11, v4, 24
	v_mul_lo_u32 v4, v4, 24
	v_add_u32_e32 v5, v11, v5
	s_waitcnt vmcnt(0)
	v_add_co_u32_e32 v4, vcc, v14, v4
	v_addc_co_u32_e32 v5, vcc, v15, v5, vcc
	v_mov_b32_e32 v10, v12
	global_store_dwordx2 v[4:5], v[12:13], off
	v_mov_b32_e32 v11, v13
	buffer_wbl2
	s_waitcnt vmcnt(0)
	global_atomic_cmpswap_x2 v[10:11], v31, v[8:11], s[6:7] offset:24 glc
	s_waitcnt vmcnt(0)
	v_cmp_ne_u64_e32 vcc, v[10:11], v[12:13]
	s_and_b64 exec, exec, vcc
	s_cbranch_execz .LBB3_143
; %bb.223:                              ;   in Loop: Header=BB3_144 Depth=1
	s_mov_b64 s[4:5], 0
.LBB3_224:                              ;   Parent Loop BB3_144 Depth=1
                                        ; =>  This Inner Loop Header: Depth=2
	s_sleep 1
	global_store_dwordx2 v[4:5], v[10:11], off
	buffer_wbl2
	s_waitcnt vmcnt(0)
	global_atomic_cmpswap_x2 v[12:13], v31, v[8:11], s[6:7] offset:24 glc
	s_waitcnt vmcnt(0)
	v_cmp_eq_u64_e32 vcc, v[12:13], v[10:11]
	s_or_b64 s[4:5], vcc, s[4:5]
	v_pk_mov_b32 v[10:11], v[12:13], v[12:13] op_sel:[0,1]
	s_andn2_b64 exec, exec, s[4:5]
	s_cbranch_execnz .LBB3_224
	s_branch .LBB3_143
.LBB3_225:
                                        ; implicit-def: $vgpr2_vgpr3
	s_cbranch_execnz .LBB3_227
	s_branch .LBB3_253
.LBB3_226:
	s_branch .LBB3_253
.LBB3_227:
	v_readfirstlane_b32 s4, v35
	v_cmp_eq_u32_e64 s[4:5], s4, v35
	v_pk_mov_b32 v[8:9], 0, 0
	s_and_saveexec_b64 s[10:11], s[4:5]
	s_cbranch_execz .LBB3_233
; %bb.228:
	s_waitcnt vmcnt(0)
	v_mov_b32_e32 v2, 0
	global_load_dwordx2 v[6:7], v2, s[6:7] offset:24 glc
	s_waitcnt vmcnt(0)
	buffer_invl2
	buffer_wbinvl1_vol
	global_load_dwordx2 v[4:5], v2, s[6:7] offset:40
	global_load_dwordx2 v[8:9], v2, s[6:7]
	s_waitcnt vmcnt(1)
	v_and_b32_e32 v3, v4, v6
	v_and_b32_e32 v4, v5, v7
	v_mul_lo_u32 v4, v4, 24
	v_mul_hi_u32 v5, v3, 24
	v_mul_lo_u32 v3, v3, 24
	v_add_u32_e32 v5, v5, v4
	s_waitcnt vmcnt(0)
	v_add_co_u32_e32 v4, vcc, v8, v3
	v_addc_co_u32_e32 v5, vcc, v9, v5, vcc
	global_load_dwordx2 v[4:5], v[4:5], off glc
	s_waitcnt vmcnt(0)
	global_atomic_cmpswap_x2 v[8:9], v2, v[4:7], s[6:7] offset:24 glc
	s_waitcnt vmcnt(0)
	buffer_invl2
	buffer_wbinvl1_vol
	v_cmp_ne_u64_e32 vcc, v[8:9], v[6:7]
	s_and_saveexec_b64 s[12:13], vcc
	s_cbranch_execz .LBB3_232
; %bb.229:
	s_mov_b64 s[14:15], 0
.LBB3_230:                              ; =>This Inner Loop Header: Depth=1
	s_sleep 1
	global_load_dwordx2 v[4:5], v2, s[6:7] offset:40
	global_load_dwordx2 v[10:11], v2, s[6:7]
	v_pk_mov_b32 v[6:7], v[8:9], v[8:9] op_sel:[0,1]
	s_waitcnt vmcnt(1)
	v_and_b32_e32 v4, v4, v6
	v_and_b32_e32 v3, v5, v7
	s_waitcnt vmcnt(0)
	v_mad_u64_u32 v[4:5], s[16:17], v4, 24, v[10:11]
	v_mov_b32_e32 v8, v5
	v_mad_u64_u32 v[8:9], s[16:17], v3, 24, v[8:9]
	v_mov_b32_e32 v5, v8
	global_load_dwordx2 v[4:5], v[4:5], off glc
	s_waitcnt vmcnt(0)
	global_atomic_cmpswap_x2 v[8:9], v2, v[4:7], s[6:7] offset:24 glc
	s_waitcnt vmcnt(0)
	buffer_invl2
	buffer_wbinvl1_vol
	v_cmp_eq_u64_e32 vcc, v[8:9], v[6:7]
	s_or_b64 s[14:15], vcc, s[14:15]
	s_andn2_b64 exec, exec, s[14:15]
	s_cbranch_execnz .LBB3_230
; %bb.231:
	s_or_b64 exec, exec, s[14:15]
.LBB3_232:
	s_or_b64 exec, exec, s[12:13]
.LBB3_233:
	s_or_b64 exec, exec, s[10:11]
	s_waitcnt vmcnt(0)
	v_mov_b32_e32 v2, 0
	global_load_dwordx2 v[10:11], v2, s[6:7] offset:40
	global_load_dwordx4 v[4:7], v2, s[6:7]
	v_readfirstlane_b32 s10, v8
	v_readfirstlane_b32 s11, v9
	s_mov_b64 s[12:13], exec
	s_waitcnt vmcnt(1)
	v_readfirstlane_b32 s14, v10
	v_readfirstlane_b32 s15, v11
	s_and_b64 s[14:15], s[10:11], s[14:15]
	s_mul_i32 s16, s15, 24
	s_mul_hi_u32 s17, s14, 24
	s_mul_i32 s18, s14, 24
	s_add_i32 s16, s17, s16
	v_mov_b32_e32 v3, s16
	s_waitcnt vmcnt(0)
	v_add_co_u32_e32 v8, vcc, s18, v4
	v_addc_co_u32_e32 v9, vcc, v5, v3, vcc
	s_and_saveexec_b64 s[16:17], s[4:5]
	s_cbranch_execz .LBB3_235
; %bb.234:
	v_pk_mov_b32 v[10:11], s[12:13], s[12:13] op_sel:[0,1]
	v_mov_b32_e32 v12, 2
	v_mov_b32_e32 v13, 1
	global_store_dwordx4 v[8:9], v[10:13], off offset:8
.LBB3_235:
	s_or_b64 exec, exec, s[16:17]
	s_lshl_b64 s[12:13], s[14:15], 12
	v_mov_b32_e32 v3, s13
	v_add_co_u32_e32 v10, vcc, s12, v6
	s_movk_i32 s12, 0xff1f
	v_addc_co_u32_e32 v11, vcc, v7, v3, vcc
	v_and_or_b32 v0, v0, s12, 32
	s_mov_b32 s12, 0
	v_mov_b32_e32 v3, v2
	v_readfirstlane_b32 s16, v10
	v_readfirstlane_b32 s17, v11
	s_mov_b32 s13, s12
	v_add_co_u32_e32 v6, vcc, v10, v34
	s_mov_b32 s14, s12
	s_mov_b32 s15, s12
	s_nop 0
	global_store_dwordx4 v34, v[0:3], s[16:17]
	v_addc_co_u32_e32 v7, vcc, 0, v11, vcc
	v_pk_mov_b32 v[0:1], s[12:13], s[12:13] op_sel:[0,1]
	v_pk_mov_b32 v[2:3], s[14:15], s[14:15] op_sel:[0,1]
	global_store_dwordx4 v34, v[0:3], s[16:17] offset:16
	global_store_dwordx4 v34, v[0:3], s[16:17] offset:32
	;; [unrolled: 1-line block ×3, first 2 shown]
	s_and_saveexec_b64 s[12:13], s[4:5]
	s_cbranch_execz .LBB3_243
; %bb.236:
	v_mov_b32_e32 v10, 0
	global_load_dwordx2 v[14:15], v10, s[6:7] offset:32 glc
	global_load_dwordx2 v[0:1], v10, s[6:7] offset:40
	v_mov_b32_e32 v12, s10
	v_mov_b32_e32 v13, s11
	s_waitcnt vmcnt(0)
	v_readfirstlane_b32 s14, v0
	v_readfirstlane_b32 s15, v1
	s_and_b64 s[14:15], s[14:15], s[10:11]
	s_mul_i32 s15, s15, 24
	s_mul_hi_u32 s16, s14, 24
	s_mul_i32 s14, s14, 24
	s_add_i32 s15, s16, s15
	v_mov_b32_e32 v0, s15
	v_add_co_u32_e32 v4, vcc, s14, v4
	v_addc_co_u32_e32 v5, vcc, v5, v0, vcc
	global_store_dwordx2 v[4:5], v[14:15], off
	buffer_wbl2
	s_waitcnt vmcnt(0)
	global_atomic_cmpswap_x2 v[2:3], v10, v[12:15], s[6:7] offset:32 glc
	s_waitcnt vmcnt(0)
	v_cmp_ne_u64_e32 vcc, v[2:3], v[14:15]
	s_and_saveexec_b64 s[14:15], vcc
	s_cbranch_execz .LBB3_239
; %bb.237:
	s_mov_b64 s[16:17], 0
.LBB3_238:                              ; =>This Inner Loop Header: Depth=1
	s_sleep 1
	global_store_dwordx2 v[4:5], v[2:3], off
	v_mov_b32_e32 v0, s10
	v_mov_b32_e32 v1, s11
	buffer_wbl2
	s_waitcnt vmcnt(0)
	global_atomic_cmpswap_x2 v[0:1], v10, v[0:3], s[6:7] offset:32 glc
	s_waitcnt vmcnt(0)
	v_cmp_eq_u64_e32 vcc, v[0:1], v[2:3]
	s_or_b64 s[16:17], vcc, s[16:17]
	v_pk_mov_b32 v[2:3], v[0:1], v[0:1] op_sel:[0,1]
	s_andn2_b64 exec, exec, s[16:17]
	s_cbranch_execnz .LBB3_238
.LBB3_239:
	s_or_b64 exec, exec, s[14:15]
	v_mov_b32_e32 v3, 0
	global_load_dwordx2 v[0:1], v3, s[6:7] offset:16
	s_mov_b64 s[14:15], exec
	v_mbcnt_lo_u32_b32 v2, s14, 0
	v_mbcnt_hi_u32_b32 v2, s15, v2
	v_cmp_eq_u32_e32 vcc, 0, v2
	s_and_saveexec_b64 s[16:17], vcc
	s_cbranch_execz .LBB3_241
; %bb.240:
	s_bcnt1_i32_b64 s14, s[14:15]
	v_mov_b32_e32 v2, s14
	buffer_wbl2
	s_waitcnt vmcnt(0)
	global_atomic_add_x2 v[0:1], v[2:3], off offset:8
.LBB3_241:
	s_or_b64 exec, exec, s[16:17]
	s_waitcnt vmcnt(0)
	global_load_dwordx2 v[2:3], v[0:1], off offset:16
	s_waitcnt vmcnt(0)
	v_cmp_eq_u64_e32 vcc, 0, v[2:3]
	s_cbranch_vccnz .LBB3_243
; %bb.242:
	global_load_dword v0, v[0:1], off offset:24
	v_mov_b32_e32 v1, 0
	buffer_wbl2
	s_waitcnt vmcnt(0)
	global_store_dwordx2 v[2:3], v[0:1], off
	v_and_b32_e32 v0, 0xffffff, v0
	v_readfirstlane_b32 m0, v0
	s_sendmsg sendmsg(MSG_INTERRUPT)
.LBB3_243:
	s_or_b64 exec, exec, s[12:13]
	s_branch .LBB3_247
.LBB3_244:                              ;   in Loop: Header=BB3_247 Depth=1
	s_or_b64 exec, exec, s[12:13]
	v_readfirstlane_b32 s12, v0
	s_cmp_eq_u32 s12, 0
	s_cbranch_scc1 .LBB3_246
; %bb.245:                              ;   in Loop: Header=BB3_247 Depth=1
	s_sleep 1
	s_cbranch_execnz .LBB3_247
	s_branch .LBB3_249
.LBB3_246:
	s_branch .LBB3_249
.LBB3_247:                              ; =>This Inner Loop Header: Depth=1
	v_mov_b32_e32 v0, 1
	s_and_saveexec_b64 s[12:13], s[4:5]
	s_cbranch_execz .LBB3_244
; %bb.248:                              ;   in Loop: Header=BB3_247 Depth=1
	global_load_dword v0, v[8:9], off offset:20 glc
	s_waitcnt vmcnt(0)
	buffer_invl2
	buffer_wbinvl1_vol
	v_and_b32_e32 v0, 1, v0
	s_branch .LBB3_244
.LBB3_249:
	global_load_dwordx2 v[2:3], v[6:7], off
	s_and_saveexec_b64 s[12:13], s[4:5]
	s_cbranch_execz .LBB3_252
; %bb.250:
	v_mov_b32_e32 v8, 0
	global_load_dwordx2 v[0:1], v8, s[6:7] offset:40
	global_load_dwordx2 v[10:11], v8, s[6:7] offset:24 glc
	global_load_dwordx2 v[12:13], v8, s[6:7]
	v_mov_b32_e32 v5, s11
	s_mov_b64 s[4:5], 0
	s_waitcnt vmcnt(2)
	v_add_co_u32_e32 v7, vcc, 1, v0
	v_addc_co_u32_e32 v9, vcc, 0, v1, vcc
	v_add_co_u32_e32 v4, vcc, s10, v7
	v_addc_co_u32_e32 v5, vcc, v9, v5, vcc
	v_cmp_eq_u64_e32 vcc, 0, v[4:5]
	v_cndmask_b32_e32 v5, v5, v9, vcc
	v_cndmask_b32_e32 v4, v4, v7, vcc
	v_and_b32_e32 v1, v5, v1
	v_and_b32_e32 v0, v4, v0
	v_mul_lo_u32 v1, v1, 24
	v_mul_hi_u32 v7, v0, 24
	v_mul_lo_u32 v0, v0, 24
	v_add_u32_e32 v1, v7, v1
	s_waitcnt vmcnt(0)
	v_add_co_u32_e32 v0, vcc, v12, v0
	v_addc_co_u32_e32 v1, vcc, v13, v1, vcc
	v_mov_b32_e32 v6, v10
	global_store_dwordx2 v[0:1], v[10:11], off
	v_mov_b32_e32 v7, v11
	buffer_wbl2
	s_waitcnt vmcnt(0)
	global_atomic_cmpswap_x2 v[6:7], v8, v[4:7], s[6:7] offset:24 glc
	s_waitcnt vmcnt(0)
	v_cmp_ne_u64_e32 vcc, v[6:7], v[10:11]
	s_and_b64 exec, exec, vcc
	s_cbranch_execz .LBB3_252
.LBB3_251:                              ; =>This Inner Loop Header: Depth=1
	s_sleep 1
	global_store_dwordx2 v[0:1], v[6:7], off
	buffer_wbl2
	s_waitcnt vmcnt(0)
	global_atomic_cmpswap_x2 v[10:11], v8, v[4:7], s[6:7] offset:24 glc
	s_waitcnt vmcnt(0)
	v_cmp_eq_u64_e32 vcc, v[10:11], v[6:7]
	s_or_b64 s[4:5], vcc, s[4:5]
	v_pk_mov_b32 v[6:7], v[10:11], v[10:11] op_sel:[0,1]
	s_andn2_b64 exec, exec, s[4:5]
	s_cbranch_execnz .LBB3_251
.LBB3_252:
	s_or_b64 exec, exec, s[12:13]
.LBB3_253:
	v_readfirstlane_b32 s4, v35
	v_cmp_eq_u32_e64 s[4:5], s4, v35
	s_waitcnt vmcnt(0)
	v_pk_mov_b32 v[0:1], 0, 0
	s_and_saveexec_b64 s[10:11], s[4:5]
	s_cbranch_execz .LBB3_259
; %bb.254:
	v_mov_b32_e32 v4, 0
	global_load_dwordx2 v[8:9], v4, s[6:7] offset:24 glc
	s_waitcnt vmcnt(0)
	buffer_invl2
	buffer_wbinvl1_vol
	global_load_dwordx2 v[0:1], v4, s[6:7] offset:40
	global_load_dwordx2 v[6:7], v4, s[6:7]
	s_waitcnt vmcnt(1)
	v_and_b32_e32 v0, v0, v8
	v_and_b32_e32 v1, v1, v9
	v_mul_lo_u32 v1, v1, 24
	v_mul_hi_u32 v5, v0, 24
	v_mul_lo_u32 v0, v0, 24
	v_add_u32_e32 v1, v5, v1
	s_waitcnt vmcnt(0)
	v_add_co_u32_e32 v0, vcc, v6, v0
	v_addc_co_u32_e32 v1, vcc, v7, v1, vcc
	global_load_dwordx2 v[6:7], v[0:1], off glc
	s_waitcnt vmcnt(0)
	global_atomic_cmpswap_x2 v[0:1], v4, v[6:9], s[6:7] offset:24 glc
	s_waitcnt vmcnt(0)
	buffer_invl2
	buffer_wbinvl1_vol
	v_cmp_ne_u64_e32 vcc, v[0:1], v[8:9]
	s_and_saveexec_b64 s[12:13], vcc
	s_cbranch_execz .LBB3_258
; %bb.255:
	s_mov_b64 s[14:15], 0
.LBB3_256:                              ; =>This Inner Loop Header: Depth=1
	s_sleep 1
	global_load_dwordx2 v[6:7], v4, s[6:7] offset:40
	global_load_dwordx2 v[10:11], v4, s[6:7]
	v_pk_mov_b32 v[8:9], v[0:1], v[0:1] op_sel:[0,1]
	s_waitcnt vmcnt(1)
	v_and_b32_e32 v0, v6, v8
	s_waitcnt vmcnt(0)
	v_mad_u64_u32 v[0:1], s[16:17], v0, 24, v[10:11]
	v_and_b32_e32 v5, v7, v9
	v_mov_b32_e32 v6, v1
	v_mad_u64_u32 v[6:7], s[16:17], v5, 24, v[6:7]
	v_mov_b32_e32 v1, v6
	global_load_dwordx2 v[6:7], v[0:1], off glc
	s_waitcnt vmcnt(0)
	global_atomic_cmpswap_x2 v[0:1], v4, v[6:9], s[6:7] offset:24 glc
	s_waitcnt vmcnt(0)
	buffer_invl2
	buffer_wbinvl1_vol
	v_cmp_eq_u64_e32 vcc, v[0:1], v[8:9]
	s_or_b64 s[14:15], vcc, s[14:15]
	s_andn2_b64 exec, exec, s[14:15]
	s_cbranch_execnz .LBB3_256
; %bb.257:
	s_or_b64 exec, exec, s[14:15]
.LBB3_258:
	s_or_b64 exec, exec, s[12:13]
.LBB3_259:
	s_or_b64 exec, exec, s[10:11]
	v_mov_b32_e32 v5, 0
	global_load_dwordx2 v[10:11], v5, s[6:7] offset:40
	global_load_dwordx4 v[6:9], v5, s[6:7]
	v_readfirstlane_b32 s10, v0
	v_readfirstlane_b32 s11, v1
	s_mov_b64 s[12:13], exec
	s_waitcnt vmcnt(1)
	v_readfirstlane_b32 s14, v10
	v_readfirstlane_b32 s15, v11
	s_and_b64 s[14:15], s[10:11], s[14:15]
	s_mul_i32 s16, s15, 24
	s_mul_hi_u32 s17, s14, 24
	s_mul_i32 s18, s14, 24
	s_add_i32 s16, s17, s16
	v_mov_b32_e32 v0, s16
	s_waitcnt vmcnt(0)
	v_add_co_u32_e32 v10, vcc, s18, v6
	v_addc_co_u32_e32 v11, vcc, v7, v0, vcc
	s_and_saveexec_b64 s[16:17], s[4:5]
	s_cbranch_execz .LBB3_261
; %bb.260:
	v_pk_mov_b32 v[12:13], s[12:13], s[12:13] op_sel:[0,1]
	v_mov_b32_e32 v14, 2
	v_mov_b32_e32 v15, 1
	global_store_dwordx4 v[10:11], v[12:15], off offset:8
.LBB3_261:
	s_or_b64 exec, exec, s[16:17]
	s_lshl_b64 s[12:13], s[14:15], 12
	v_mov_b32_e32 v1, s13
	v_add_co_u32_e32 v0, vcc, s12, v8
	s_movk_i32 s12, 0xff1f
	v_addc_co_u32_e32 v1, vcc, v9, v1, vcc
	v_and_or_b32 v2, v2, s12, 32
	s_mov_b32 s12, 0
	v_add_co_u32_e32 v8, vcc, v0, v34
	v_mov_b32_e32 v4, 0x6cc
	v_readfirstlane_b32 s16, v0
	v_readfirstlane_b32 s17, v1
	s_mov_b32 s13, s12
	v_addc_co_u32_e32 v9, vcc, 0, v1, vcc
	s_mov_b32 s14, s12
	s_mov_b32 s15, s12
	s_nop 0
	global_store_dwordx4 v34, v[2:5], s[16:17]
	v_pk_mov_b32 v[0:1], s[12:13], s[12:13] op_sel:[0,1]
	v_pk_mov_b32 v[2:3], s[14:15], s[14:15] op_sel:[0,1]
	global_store_dwordx4 v34, v[0:3], s[16:17] offset:16
	global_store_dwordx4 v34, v[0:3], s[16:17] offset:32
	;; [unrolled: 1-line block ×3, first 2 shown]
	s_and_saveexec_b64 s[12:13], s[4:5]
	s_cbranch_execz .LBB3_269
; %bb.262:
	v_mov_b32_e32 v12, 0
	global_load_dwordx2 v[16:17], v12, s[6:7] offset:32 glc
	global_load_dwordx2 v[0:1], v12, s[6:7] offset:40
	v_mov_b32_e32 v14, s10
	v_mov_b32_e32 v15, s11
	s_waitcnt vmcnt(0)
	v_readfirstlane_b32 s14, v0
	v_readfirstlane_b32 s15, v1
	s_and_b64 s[14:15], s[14:15], s[10:11]
	s_mul_i32 s15, s15, 24
	s_mul_hi_u32 s16, s14, 24
	s_mul_i32 s14, s14, 24
	s_add_i32 s15, s16, s15
	v_mov_b32_e32 v0, s15
	v_add_co_u32_e32 v4, vcc, s14, v6
	v_addc_co_u32_e32 v5, vcc, v7, v0, vcc
	global_store_dwordx2 v[4:5], v[16:17], off
	buffer_wbl2
	s_waitcnt vmcnt(0)
	global_atomic_cmpswap_x2 v[2:3], v12, v[14:17], s[6:7] offset:32 glc
	s_waitcnt vmcnt(0)
	v_cmp_ne_u64_e32 vcc, v[2:3], v[16:17]
	s_and_saveexec_b64 s[14:15], vcc
	s_cbranch_execz .LBB3_265
; %bb.263:
	s_mov_b64 s[16:17], 0
.LBB3_264:                              ; =>This Inner Loop Header: Depth=1
	s_sleep 1
	global_store_dwordx2 v[4:5], v[2:3], off
	v_mov_b32_e32 v0, s10
	v_mov_b32_e32 v1, s11
	buffer_wbl2
	s_waitcnt vmcnt(0)
	global_atomic_cmpswap_x2 v[0:1], v12, v[0:3], s[6:7] offset:32 glc
	s_waitcnt vmcnt(0)
	v_cmp_eq_u64_e32 vcc, v[0:1], v[2:3]
	s_or_b64 s[16:17], vcc, s[16:17]
	v_pk_mov_b32 v[2:3], v[0:1], v[0:1] op_sel:[0,1]
	s_andn2_b64 exec, exec, s[16:17]
	s_cbranch_execnz .LBB3_264
.LBB3_265:
	s_or_b64 exec, exec, s[14:15]
	v_mov_b32_e32 v3, 0
	global_load_dwordx2 v[0:1], v3, s[6:7] offset:16
	s_mov_b64 s[14:15], exec
	v_mbcnt_lo_u32_b32 v2, s14, 0
	v_mbcnt_hi_u32_b32 v2, s15, v2
	v_cmp_eq_u32_e32 vcc, 0, v2
	s_and_saveexec_b64 s[16:17], vcc
	s_cbranch_execz .LBB3_267
; %bb.266:
	s_bcnt1_i32_b64 s14, s[14:15]
	v_mov_b32_e32 v2, s14
	buffer_wbl2
	s_waitcnt vmcnt(0)
	global_atomic_add_x2 v[0:1], v[2:3], off offset:8
.LBB3_267:
	s_or_b64 exec, exec, s[16:17]
	s_waitcnt vmcnt(0)
	global_load_dwordx2 v[2:3], v[0:1], off offset:16
	s_waitcnt vmcnt(0)
	v_cmp_eq_u64_e32 vcc, 0, v[2:3]
	s_cbranch_vccnz .LBB3_269
; %bb.268:
	global_load_dword v0, v[0:1], off offset:24
	v_mov_b32_e32 v1, 0
	buffer_wbl2
	s_waitcnt vmcnt(0)
	global_store_dwordx2 v[2:3], v[0:1], off
	v_and_b32_e32 v0, 0xffffff, v0
	v_readfirstlane_b32 m0, v0
	s_sendmsg sendmsg(MSG_INTERRUPT)
.LBB3_269:
	s_or_b64 exec, exec, s[12:13]
	s_branch .LBB3_273
.LBB3_270:                              ;   in Loop: Header=BB3_273 Depth=1
	s_or_b64 exec, exec, s[12:13]
	v_readfirstlane_b32 s12, v0
	s_cmp_eq_u32 s12, 0
	s_cbranch_scc1 .LBB3_272
; %bb.271:                              ;   in Loop: Header=BB3_273 Depth=1
	s_sleep 1
	s_cbranch_execnz .LBB3_273
	s_branch .LBB3_275
.LBB3_272:
	s_branch .LBB3_275
.LBB3_273:                              ; =>This Inner Loop Header: Depth=1
	v_mov_b32_e32 v0, 1
	s_and_saveexec_b64 s[12:13], s[4:5]
	s_cbranch_execz .LBB3_270
; %bb.274:                              ;   in Loop: Header=BB3_273 Depth=1
	global_load_dword v0, v[10:11], off offset:20 glc
	s_waitcnt vmcnt(0)
	buffer_invl2
	buffer_wbinvl1_vol
	v_and_b32_e32 v0, 1, v0
	s_branch .LBB3_270
.LBB3_275:
	global_load_dwordx2 v[0:1], v[8:9], off
	s_and_saveexec_b64 s[12:13], s[4:5]
	s_cbranch_execz .LBB3_278
; %bb.276:
	v_mov_b32_e32 v8, 0
	global_load_dwordx2 v[6:7], v8, s[6:7] offset:40
	global_load_dwordx2 v[10:11], v8, s[6:7] offset:24 glc
	global_load_dwordx2 v[12:13], v8, s[6:7]
	v_mov_b32_e32 v3, s11
	s_mov_b64 s[4:5], 0
	s_waitcnt vmcnt(2)
	v_add_co_u32_e32 v5, vcc, 1, v6
	v_addc_co_u32_e32 v9, vcc, 0, v7, vcc
	v_add_co_u32_e32 v2, vcc, s10, v5
	v_addc_co_u32_e32 v3, vcc, v9, v3, vcc
	v_cmp_eq_u64_e32 vcc, 0, v[2:3]
	v_cndmask_b32_e32 v3, v3, v9, vcc
	v_cndmask_b32_e32 v2, v2, v5, vcc
	v_and_b32_e32 v5, v3, v7
	v_and_b32_e32 v6, v2, v6
	v_mul_lo_u32 v5, v5, 24
	v_mul_hi_u32 v7, v6, 24
	v_mul_lo_u32 v6, v6, 24
	v_add_u32_e32 v5, v7, v5
	s_waitcnt vmcnt(0)
	v_add_co_u32_e32 v6, vcc, v12, v6
	v_addc_co_u32_e32 v7, vcc, v13, v5, vcc
	v_mov_b32_e32 v4, v10
	global_store_dwordx2 v[6:7], v[10:11], off
	v_mov_b32_e32 v5, v11
	buffer_wbl2
	s_waitcnt vmcnt(0)
	global_atomic_cmpswap_x2 v[4:5], v8, v[2:5], s[6:7] offset:24 glc
	s_waitcnt vmcnt(0)
	v_cmp_ne_u64_e32 vcc, v[4:5], v[10:11]
	s_and_b64 exec, exec, vcc
	s_cbranch_execz .LBB3_278
.LBB3_277:                              ; =>This Inner Loop Header: Depth=1
	s_sleep 1
	global_store_dwordx2 v[6:7], v[4:5], off
	buffer_wbl2
	s_waitcnt vmcnt(0)
	global_atomic_cmpswap_x2 v[10:11], v8, v[2:5], s[6:7] offset:24 glc
	s_waitcnt vmcnt(0)
	v_cmp_eq_u64_e32 vcc, v[10:11], v[4:5]
	s_or_b64 s[4:5], vcc, s[4:5]
	v_pk_mov_b32 v[4:5], v[10:11], v[10:11] op_sel:[0,1]
	s_andn2_b64 exec, exec, s[4:5]
	s_cbranch_execnz .LBB3_277
.LBB3_278:
	s_or_b64 exec, exec, s[12:13]
	s_getpc_b64 s[4:5]
	s_add_u32 s4, s4, __FUNCTION__._ZL18flash_attn_ext_f16ILi64ELi64ELi16ELi1ELb1ELb0EEvPKcS1_S1_S1_S1_PKiPfP15HIP_vector_typeIfLj2EEffffjfiS5_IjLj3EEiiiiiiiiiiiliiliiiiil@rel32@lo+4
	s_addc_u32 s5, s5, __FUNCTION__._ZL18flash_attn_ext_f16ILi64ELi64ELi16ELi1ELb1ELb0EEvPKcS1_S1_S1_S1_PKiPfP15HIP_vector_typeIfLj2EEffffjfiS5_IjLj3EEiiiiiiiiiiiliiliiiiil@rel32@hi+12
	s_cmp_lg_u64 s[4:5], 0
	s_cselect_b32 s10, 19, 0
	s_mov_b64 s[8:9], s[26:27]
	v_mov_b32_e32 v2, s4
	v_mov_b32_e32 v3, s5
	;; [unrolled: 1-line block ×4, first 2 shown]
	s_getpc_b64 s[6:7]
	s_add_u32 s6, s6, __ockl_printf_append_string_n@rel32@lo+4
	s_addc_u32 s7, s7, __ockl_printf_append_string_n@rel32@hi+12
	s_swappc_b64 s[30:31], s[6:7]
	s_mov_b64 s[8:9], s[26:27]
	v_mov_b32_e32 v2, 0x514
	v_mov_b32_e32 v3, 0
	;; [unrolled: 1-line block ×3, first 2 shown]
	s_getpc_b64 s[4:5]
	s_add_u32 s4, s4, __ockl_printf_append_args@rel32@lo+4
	s_addc_u32 s5, s5, __ockl_printf_append_args@rel32@hi+12
	s_swappc_b64 s[30:31], s[4:5]
	s_trap 2
.Lfunc_end3:
	.size	_ZL14no_device_codePKciS0_iS0_, .Lfunc_end3-_ZL14no_device_codePKciS0_iS0_
                                        ; -- End function
	.section	.AMDGPU.csdata,"",@progbits
; Function info:
; codeLenInByte = 9988
; NumSgprs: 38
; NumVgprs: 39
; NumAgprs: 0
; TotalNumVgprs: 39
; ScratchSize: 16
; MemoryBound: 0
	.section	.text._ZL18flash_attn_ext_f16ILi64ELi64ELi16ELi1ELb1ELb0EEvPKcS1_S1_S1_S1_PKiPfP15HIP_vector_typeIfLj2EEffffjfiS5_IjLj3EEiiiiiiiiiiiliiliiiiil,"axG",@progbits,_ZL18flash_attn_ext_f16ILi64ELi64ELi16ELi1ELb1ELb0EEvPKcS1_S1_S1_S1_PKiPfP15HIP_vector_typeIfLj2EEffffjfiS5_IjLj3EEiiiiiiiiiiiliiliiiiil,comdat
	.globl	_ZL18flash_attn_ext_f16ILi64ELi64ELi16ELi1ELb1ELb0EEvPKcS1_S1_S1_S1_PKiPfP15HIP_vector_typeIfLj2EEffffjfiS5_IjLj3EEiiiiiiiiiiiliiliiiiil ; -- Begin function _ZL18flash_attn_ext_f16ILi64ELi64ELi16ELi1ELb1ELb0EEvPKcS1_S1_S1_S1_PKiPfP15HIP_vector_typeIfLj2EEffffjfiS5_IjLj3EEiiiiiiiiiiiliiliiiiil
	.p2align	8
	.type	_ZL18flash_attn_ext_f16ILi64ELi64ELi16ELi1ELb1ELb0EEvPKcS1_S1_S1_S1_PKiPfP15HIP_vector_typeIfLj2EEffffjfiS5_IjLj3EEiiiiiiiiiiiliiliiiiil,@function
_ZL18flash_attn_ext_f16ILi64ELi64ELi16ELi1ELb1ELb0EEvPKcS1_S1_S1_S1_PKiPfP15HIP_vector_typeIfLj2EEffffjfiS5_IjLj3EEiiiiiiiiiiiliiliiiiil: ; @_ZL18flash_attn_ext_f16ILi64ELi64ELi16ELi1ELb1ELb0EEvPKcS1_S1_S1_S1_PKiPfP15HIP_vector_typeIfLj2EEffffjfiS5_IjLj3EEiiiiiiiiiiiliiliiiiil
; %bb.0:
	s_add_u32 flat_scratch_lo, s6, s9
	s_addc_u32 flat_scratch_hi, s7, 0
	s_add_u32 s0, s0, s9
	s_addc_u32 s1, s1, 0
	s_add_u32 s8, s4, 0xd0
	s_addc_u32 s9, s5, 0
	s_mov_b32 s32, 0
	s_getpc_b64 s[4:5]
	s_add_u32 s4, s4, _ZL14no_device_codePKciS0_iS0_@rel32@lo+4
	s_addc_u32 s5, s5, _ZL14no_device_codePKciS0_iS0_@rel32@hi+12
	s_swappc_b64 s[30:31], s[4:5]
	.section	.rodata,"a",@progbits
	.p2align	6, 0x0
	.amdhsa_kernel _ZL18flash_attn_ext_f16ILi64ELi64ELi16ELi1ELb1ELb0EEvPKcS1_S1_S1_S1_PKiPfP15HIP_vector_typeIfLj2EEffffjfiS5_IjLj3EEiiiiiiiiiiiliiliiiiil
		.amdhsa_group_segment_fixed_size 0
		.amdhsa_private_segment_fixed_size 16
		.amdhsa_kernarg_size 464
		.amdhsa_user_sgpr_count 8
		.amdhsa_user_sgpr_private_segment_buffer 1
		.amdhsa_user_sgpr_dispatch_ptr 0
		.amdhsa_user_sgpr_queue_ptr 0
		.amdhsa_user_sgpr_kernarg_segment_ptr 1
		.amdhsa_user_sgpr_dispatch_id 0
		.amdhsa_user_sgpr_flat_scratch_init 1
		.amdhsa_user_sgpr_kernarg_preload_length 0
		.amdhsa_user_sgpr_kernarg_preload_offset 0
		.amdhsa_user_sgpr_private_segment_size 0
		.amdhsa_uses_dynamic_stack 0
		.amdhsa_system_sgpr_private_segment_wavefront_offset 1
		.amdhsa_system_sgpr_workgroup_id_x 1
		.amdhsa_system_sgpr_workgroup_id_y 0
		.amdhsa_system_sgpr_workgroup_id_z 0
		.amdhsa_system_sgpr_workgroup_info 0
		.amdhsa_system_vgpr_workitem_id 0
		.amdhsa_next_free_vgpr 39
		.amdhsa_next_free_sgpr 34
		.amdhsa_accum_offset 40
		.amdhsa_reserve_vcc 1
		.amdhsa_reserve_flat_scratch 1
		.amdhsa_float_round_mode_32 0
		.amdhsa_float_round_mode_16_64 0
		.amdhsa_float_denorm_mode_32 3
		.amdhsa_float_denorm_mode_16_64 3
		.amdhsa_dx10_clamp 1
		.amdhsa_ieee_mode 1
		.amdhsa_fp16_overflow 0
		.amdhsa_tg_split 0
		.amdhsa_exception_fp_ieee_invalid_op 0
		.amdhsa_exception_fp_denorm_src 0
		.amdhsa_exception_fp_ieee_div_zero 0
		.amdhsa_exception_fp_ieee_overflow 0
		.amdhsa_exception_fp_ieee_underflow 0
		.amdhsa_exception_fp_ieee_inexact 0
		.amdhsa_exception_int_div_zero 0
	.end_amdhsa_kernel
	.section	.text._ZL18flash_attn_ext_f16ILi64ELi64ELi16ELi1ELb1ELb0EEvPKcS1_S1_S1_S1_PKiPfP15HIP_vector_typeIfLj2EEffffjfiS5_IjLj3EEiiiiiiiiiiiliiliiiiil,"axG",@progbits,_ZL18flash_attn_ext_f16ILi64ELi64ELi16ELi1ELb1ELb0EEvPKcS1_S1_S1_S1_PKiPfP15HIP_vector_typeIfLj2EEffffjfiS5_IjLj3EEiiiiiiiiiiiliiliiiiil,comdat
.Lfunc_end4:
	.size	_ZL18flash_attn_ext_f16ILi64ELi64ELi16ELi1ELb1ELb0EEvPKcS1_S1_S1_S1_PKiPfP15HIP_vector_typeIfLj2EEffffjfiS5_IjLj3EEiiiiiiiiiiiliiliiiiil, .Lfunc_end4-_ZL18flash_attn_ext_f16ILi64ELi64ELi16ELi1ELb1ELb0EEvPKcS1_S1_S1_S1_PKiPfP15HIP_vector_typeIfLj2EEffffjfiS5_IjLj3EEiiiiiiiiiiiliiliiiiil
                                        ; -- End function
	.section	.AMDGPU.csdata,"",@progbits
; Kernel info:
; codeLenInByte = 56
; NumSgprs: 40
; NumVgprs: 39
; NumAgprs: 0
; TotalNumVgprs: 39
; ScratchSize: 16
; MemoryBound: 0
; FloatMode: 240
; IeeeMode: 1
; LDSByteSize: 0 bytes/workgroup (compile time only)
; SGPRBlocks: 4
; VGPRBlocks: 4
; NumSGPRsForWavesPerEU: 40
; NumVGPRsForWavesPerEU: 39
; AccumOffset: 40
; Occupancy: 8
; WaveLimiterHint : 1
; COMPUTE_PGM_RSRC2:SCRATCH_EN: 1
; COMPUTE_PGM_RSRC2:USER_SGPR: 8
; COMPUTE_PGM_RSRC2:TRAP_HANDLER: 0
; COMPUTE_PGM_RSRC2:TGID_X_EN: 1
; COMPUTE_PGM_RSRC2:TGID_Y_EN: 0
; COMPUTE_PGM_RSRC2:TGID_Z_EN: 0
; COMPUTE_PGM_RSRC2:TIDIG_COMP_CNT: 0
; COMPUTE_PGM_RSRC3_GFX90A:ACCUM_OFFSET: 9
; COMPUTE_PGM_RSRC3_GFX90A:TG_SPLIT: 0
	.section	.text._ZL25flash_attn_mask_to_KV_maxILi16EEvPK7__half2Piiii,"axG",@progbits,_ZL25flash_attn_mask_to_KV_maxILi16EEvPK7__half2Piiii,comdat
	.globl	_ZL25flash_attn_mask_to_KV_maxILi16EEvPK7__half2Piiii ; -- Begin function _ZL25flash_attn_mask_to_KV_maxILi16EEvPK7__half2Piiii
	.p2align	8
	.type	_ZL25flash_attn_mask_to_KV_maxILi16EEvPK7__half2Piiii,@function
_ZL25flash_attn_mask_to_KV_maxILi16EEvPK7__half2Piiii: ; @_ZL25flash_attn_mask_to_KV_maxILi16EEvPK7__half2Piiii
; %bb.0:
	s_load_dwordx4 s[8:11], s[4:5], 0x0
	v_cmp_gt_u32_e32 vcc, 32, v0
	s_and_saveexec_b64 s[0:1], vcc
	s_cbranch_execz .LBB5_2
; %bb.1:
	v_lshlrev_b32_e32 v1, 2, v0
	v_mov_b32_e32 v2, 1
	ds_write_b32 v1, v2
.LBB5_2:
	s_or_b64 exec, exec, s[0:1]
	s_load_dwordx4 s[12:15], s[4:5], 0x10
	s_load_dword s33, s[4:5], 0x20
	v_and_b32_e32 v2, 31, v0
	v_lshlrev_b32_e32 v6, 2, v2
	v_lshrrev_b32_e32 v1, 3, v0
	s_waitcnt lgkmcnt(0)
	s_mul_i32 s1, s6, s13
	s_mul_i32 s0, s7, s14
	s_lshl_b32 s1, s1, 4
	s_add_i32 s0, s0, s1
	s_ashr_i32 s1, s0, 31
	s_lshl_b64 s[0:1], s[0:1], 2
	s_add_u32 s74, s8, s0
	s_addc_u32 s75, s9, s1
	v_cmp_eq_u32_e64 s[0:1], 0, v2
	v_mbcnt_lo_u32_b32 v2, -1, 0
	s_lshl_b32 s12, s12, 8
	s_mov_b64 s[4:5], 0
	v_mov_b32_e32 v3, 0
	s_movk_i32 s76, 0x204
	s_movk_i32 s77, 0x7fff
	;; [unrolled: 1-line block ×3, first 2 shown]
	v_mbcnt_hi_u32_b32 v7, -1, v2
	s_barrier
	s_waitcnt lgkmcnt(0)
                                        ; implicit-def: $sgpr2_sgpr3
	s_branch .LBB5_5
.LBB5_3:                                ;   in Loop: Header=BB5_5 Depth=1
	s_or_b64 exec, exec, s[8:9]
	s_waitcnt lgkmcnt(0)
	s_barrier
	ds_read_b32 v10, v6
	s_waitcnt lgkmcnt(0)
	s_barrier
	ds_bpermute_b32 v2, v2, v10
	v_cmp_ne_u32_e32 vcc, 0, v10
	s_waitcnt lgkmcnt(0)
	v_cmp_ne_u32_e64 s[2:3], 0, v2
	s_and_b64 s[2:3], vcc, s[2:3]
	v_cndmask_b32_e64 v2, 0, 1, s[2:3]
	ds_bpermute_b32 v2, v4, v2
	s_waitcnt lgkmcnt(0)
	v_cmp_ne_u32_e32 vcc, 0, v2
	s_and_b64 s[2:3], vcc, s[2:3]
	v_cndmask_b32_e64 v2, 0, 1, s[2:3]
	ds_bpermute_b32 v2, v5, v2
	s_waitcnt lgkmcnt(0)
	v_cmp_ne_u32_e32 vcc, 0, v2
	;; [unrolled: 5-line block ×3, first 2 shown]
	s_and_b64 s[2:3], vcc, s[2:3]
	v_cndmask_b32_e64 v2, 0, 1, s[2:3]
	ds_bpermute_b32 v2, v9, v2
	s_xor_b64 s[2:3], s[2:3], -1
	s_waitcnt lgkmcnt(0)
	v_cmp_eq_u32_e32 vcc, 0, v2
	s_or_b64 s[2:3], vcc, s[2:3]
.LBB5_4:                                ;   in Loop: Header=BB5_5 Depth=1
	s_and_b64 s[8:9], exec, s[2:3]
	s_or_b64 s[4:5], s[8:9], s[4:5]
	v_mov_b32_e32 v2, s12
	s_mov_b32 s12, s79
	s_andn2_b64 exec, exec, s[4:5]
	s_cbranch_execz .LBB5_68
.LBB5_5:                                ; =>This Inner Loop Header: Depth=1
	s_add_i32 s79, s12, 0xffffff00
	s_or_b64 s[2:3], s[2:3], exec
	s_cmp_lt_i32 s79, 0
	s_cbranch_scc1 .LBB5_4
; %bb.6:                                ;   in Loop: Header=BB5_5 Depth=1
	s_lshr_b32 s2, s79, 1
	v_add_u32_e32 v2, s2, v0
	v_lshlrev_b64 v[4:5], 2, v[2:3]
	v_mov_b32_e32 v8, s75
	v_add_co_u32_e32 v4, vcc, s74, v4
	v_addc_co_u32_e32 v5, vcc, v8, v5, vcc
	global_load_dword v4, v[4:5], off
	s_mov_b64 s[8:9], 0
	s_waitcnt vmcnt(0)
	v_cmp_class_f16_e64 s[2:3], v4, s76
	v_and_b32_sdwa v4, s77, v4 dst_sel:DWORD dst_unused:UNUSED_PAD src0_sel:DWORD src1_sel:WORD_1
	v_cmp_eq_f16_e32 vcc, s78, v4
	s_and_b64 s[14:15], s[2:3], vcc
	s_and_saveexec_b64 s[2:3], s[14:15]
	s_cbranch_execz .LBB5_66
; %bb.7:                                ;   in Loop: Header=BB5_5 Depth=1
	v_add_u32_e32 v4, s13, v2
	v_ashrrev_i32_e32 v5, 31, v4
	v_lshlrev_b64 v[8:9], 2, v[4:5]
	v_mov_b32_e32 v2, s75
	v_add_co_u32_e32 v8, vcc, s74, v8
	v_addc_co_u32_e32 v9, vcc, v2, v9, vcc
	global_load_dword v2, v[8:9], off
	s_mov_b64 s[14:15], 0
	s_waitcnt vmcnt(0)
	v_cmp_class_f16_e64 s[16:17], v2, s76
	s_and_saveexec_b64 s[8:9], s[16:17]
	s_cbranch_execz .LBB5_65
; %bb.8:                                ;   in Loop: Header=BB5_5 Depth=1
	v_cmp_class_f16_sdwa s[18:19], v2, s76 src0_sel:WORD_1 src1_sel:DWORD
	s_mov_b64 s[16:17], 0
	s_and_saveexec_b64 s[14:15], s[18:19]
	s_cbranch_execz .LBB5_64
; %bb.9:                                ;   in Loop: Header=BB5_5 Depth=1
	v_add_u32_e32 v4, s13, v4
	v_ashrrev_i32_e32 v5, 31, v4
	v_lshlrev_b64 v[8:9], 2, v[4:5]
	v_mov_b32_e32 v2, s75
	v_add_co_u32_e32 v8, vcc, s74, v8
	v_addc_co_u32_e32 v9, vcc, v2, v9, vcc
	global_load_dword v2, v[8:9], off
	s_mov_b64 s[18:19], 0
	s_waitcnt vmcnt(0)
	v_cmp_class_f16_e64 s[20:21], v2, s76
	s_and_saveexec_b64 s[16:17], s[20:21]
	s_cbranch_execz .LBB5_63
; %bb.10:                               ;   in Loop: Header=BB5_5 Depth=1
	v_cmp_class_f16_sdwa s[22:23], v2, s76 src0_sel:WORD_1 src1_sel:DWORD
	s_mov_b64 s[20:21], 0
	s_and_saveexec_b64 s[18:19], s[22:23]
	s_cbranch_execz .LBB5_62
; %bb.11:                               ;   in Loop: Header=BB5_5 Depth=1
	v_add_u32_e32 v4, s13, v4
	v_ashrrev_i32_e32 v5, 31, v4
	v_lshlrev_b64 v[8:9], 2, v[4:5]
	v_mov_b32_e32 v2, s75
	v_add_co_u32_e32 v8, vcc, s74, v8
	v_addc_co_u32_e32 v9, vcc, v2, v9, vcc
	global_load_dword v2, v[8:9], off
	s_mov_b64 s[22:23], 0
	s_waitcnt vmcnt(0)
	v_cmp_class_f16_e64 s[24:25], v2, s76
	s_and_saveexec_b64 s[20:21], s[24:25]
	s_cbranch_execz .LBB5_61
; %bb.12:                               ;   in Loop: Header=BB5_5 Depth=1
	v_cmp_class_f16_sdwa s[26:27], v2, s76 src0_sel:WORD_1 src1_sel:DWORD
	s_mov_b64 s[24:25], 0
	s_and_saveexec_b64 s[22:23], s[26:27]
	s_cbranch_execz .LBB5_60
; %bb.13:                               ;   in Loop: Header=BB5_5 Depth=1
	;; [unrolled: 18-line block ×13, first 2 shown]
	v_add_u32_e32 v4, s13, v4
	v_ashrrev_i32_e32 v5, 31, v4
	v_lshlrev_b64 v[4:5], 2, v[4:5]
	v_mov_b32_e32 v2, s75
	v_add_co_u32_e32 v4, vcc, s74, v4
	v_addc_co_u32_e32 v5, vcc, v2, v5, vcc
	global_load_dword v2, v[4:5], off
	s_waitcnt vmcnt(0)
	v_cmp_class_f16_e64 s[80:81], v2, s76
	s_and_saveexec_b64 s[72:73], s[80:81]
; %bb.36:                               ;   in Loop: Header=BB5_5 Depth=1
	v_cmp_class_f16_sdwa s[70:71], v2, s76 src0_sel:WORD_1 src1_sel:DWORD
	s_and_b64 s[70:71], s[70:71], exec
; %bb.37:                               ;   in Loop: Header=BB5_5 Depth=1
	s_or_b64 exec, exec, s[72:73]
	s_and_b64 s[70:71], s[70:71], exec
.LBB5_38:                               ;   in Loop: Header=BB5_5 Depth=1
	s_or_b64 exec, exec, s[68:69]
	s_and_b64 s[68:69], s[70:71], exec
.LBB5_39:                               ;   in Loop: Header=BB5_5 Depth=1
	s_or_b64 exec, exec, s[66:67]
	s_and_b64 s[66:67], s[68:69], exec
.LBB5_40:                               ;   in Loop: Header=BB5_5 Depth=1
	s_or_b64 exec, exec, s[64:65]
	s_and_b64 s[64:65], s[66:67], exec
.LBB5_41:                               ;   in Loop: Header=BB5_5 Depth=1
	s_or_b64 exec, exec, s[62:63]
	s_and_b64 s[62:63], s[64:65], exec
.LBB5_42:                               ;   in Loop: Header=BB5_5 Depth=1
	s_or_b64 exec, exec, s[60:61]
	s_and_b64 s[60:61], s[62:63], exec
.LBB5_43:                               ;   in Loop: Header=BB5_5 Depth=1
	s_or_b64 exec, exec, s[58:59]
	s_and_b64 s[58:59], s[60:61], exec
.LBB5_44:                               ;   in Loop: Header=BB5_5 Depth=1
	s_or_b64 exec, exec, s[56:57]
	s_and_b64 s[56:57], s[58:59], exec
.LBB5_45:                               ;   in Loop: Header=BB5_5 Depth=1
	s_or_b64 exec, exec, s[54:55]
	s_and_b64 s[54:55], s[56:57], exec
.LBB5_46:                               ;   in Loop: Header=BB5_5 Depth=1
	s_or_b64 exec, exec, s[52:53]
	s_and_b64 s[52:53], s[54:55], exec
.LBB5_47:                               ;   in Loop: Header=BB5_5 Depth=1
	s_or_b64 exec, exec, s[50:51]
	s_and_b64 s[50:51], s[52:53], exec
.LBB5_48:                               ;   in Loop: Header=BB5_5 Depth=1
	s_or_b64 exec, exec, s[48:49]
	s_and_b64 s[48:49], s[50:51], exec
.LBB5_49:                               ;   in Loop: Header=BB5_5 Depth=1
	s_or_b64 exec, exec, s[46:47]
	s_and_b64 s[46:47], s[48:49], exec
.LBB5_50:                               ;   in Loop: Header=BB5_5 Depth=1
	s_or_b64 exec, exec, s[44:45]
	s_and_b64 s[44:45], s[46:47], exec
.LBB5_51:                               ;   in Loop: Header=BB5_5 Depth=1
	s_or_b64 exec, exec, s[42:43]
	s_and_b64 s[42:43], s[44:45], exec
.LBB5_52:                               ;   in Loop: Header=BB5_5 Depth=1
	s_or_b64 exec, exec, s[40:41]
	s_and_b64 s[40:41], s[42:43], exec
.LBB5_53:                               ;   in Loop: Header=BB5_5 Depth=1
	s_or_b64 exec, exec, s[38:39]
	s_and_b64 s[38:39], s[40:41], exec
.LBB5_54:                               ;   in Loop: Header=BB5_5 Depth=1
	s_or_b64 exec, exec, s[36:37]
	s_and_b64 s[36:37], s[38:39], exec
.LBB5_55:                               ;   in Loop: Header=BB5_5 Depth=1
	s_or_b64 exec, exec, s[34:35]
	s_and_b64 s[34:35], s[36:37], exec
.LBB5_56:                               ;   in Loop: Header=BB5_5 Depth=1
	s_or_b64 exec, exec, s[30:31]
	s_and_b64 s[30:31], s[34:35], exec
.LBB5_57:                               ;   in Loop: Header=BB5_5 Depth=1
	s_or_b64 exec, exec, s[28:29]
	s_and_b64 s[28:29], s[30:31], exec
.LBB5_58:                               ;   in Loop: Header=BB5_5 Depth=1
	s_or_b64 exec, exec, s[26:27]
	s_and_b64 s[26:27], s[28:29], exec
.LBB5_59:                               ;   in Loop: Header=BB5_5 Depth=1
	s_or_b64 exec, exec, s[24:25]
	s_and_b64 s[24:25], s[26:27], exec
.LBB5_60:                               ;   in Loop: Header=BB5_5 Depth=1
	s_or_b64 exec, exec, s[22:23]
	s_and_b64 s[22:23], s[24:25], exec
.LBB5_61:                               ;   in Loop: Header=BB5_5 Depth=1
	s_or_b64 exec, exec, s[20:21]
	s_and_b64 s[20:21], s[22:23], exec
.LBB5_62:                               ;   in Loop: Header=BB5_5 Depth=1
	s_or_b64 exec, exec, s[18:19]
	s_and_b64 s[18:19], s[20:21], exec
.LBB5_63:                               ;   in Loop: Header=BB5_5 Depth=1
	s_or_b64 exec, exec, s[16:17]
	s_and_b64 s[16:17], s[18:19], exec
.LBB5_64:                               ;   in Loop: Header=BB5_5 Depth=1
	s_or_b64 exec, exec, s[14:15]
	s_and_b64 s[14:15], s[16:17], exec
.LBB5_65:                               ;   in Loop: Header=BB5_5 Depth=1
	s_or_b64 exec, exec, s[8:9]
	s_and_b64 s[8:9], s[14:15], exec
.LBB5_66:                               ;   in Loop: Header=BB5_5 Depth=1
	s_or_b64 exec, exec, s[2:3]
	v_and_b32_e32 v2, 0x60, v7
	v_add_u32_e32 v9, 32, v2
	v_xor_b32_e32 v2, 16, v7
	v_cmp_lt_i32_e32 vcc, v2, v9
	v_cndmask_b32_e32 v2, v7, v2, vcc
	v_cndmask_b32_e64 v4, 0, 1, s[8:9]
	v_lshlrev_b32_e32 v2, 2, v2
	ds_bpermute_b32 v4, v2, v4
	v_xor_b32_e32 v11, 1, v7
	s_waitcnt lgkmcnt(0)
	v_cmp_ne_u32_e32 vcc, 0, v4
	v_xor_b32_e32 v4, 8, v7
	s_and_b64 s[2:3], s[8:9], vcc
	v_cmp_lt_i32_e32 vcc, v4, v9
	v_cndmask_b32_e32 v4, v7, v4, vcc
	v_cndmask_b32_e64 v5, 0, 1, s[2:3]
	v_lshlrev_b32_e32 v4, 2, v4
	ds_bpermute_b32 v5, v4, v5
	s_waitcnt lgkmcnt(0)
	v_cmp_ne_u32_e32 vcc, 0, v5
	v_xor_b32_e32 v5, 4, v7
	s_and_b64 s[2:3], vcc, s[2:3]
	v_cmp_lt_i32_e32 vcc, v5, v9
	v_cndmask_b32_e32 v5, v7, v5, vcc
	v_cndmask_b32_e64 v8, 0, 1, s[2:3]
	v_lshlrev_b32_e32 v5, 2, v5
	ds_bpermute_b32 v8, v5, v8
	s_waitcnt lgkmcnt(0)
	v_cmp_ne_u32_e32 vcc, 0, v8
	v_xor_b32_e32 v8, 2, v7
	s_and_b64 s[2:3], vcc, s[2:3]
	v_cmp_lt_i32_e32 vcc, v8, v9
	v_cndmask_b32_e32 v8, v7, v8, vcc
	v_cndmask_b32_e64 v10, 0, 1, s[2:3]
	v_lshlrev_b32_e32 v8, 2, v8
	ds_bpermute_b32 v10, v8, v10
	s_waitcnt lgkmcnt(0)
	v_cmp_ne_u32_e32 vcc, 0, v10
	s_and_b64 s[2:3], vcc, s[2:3]
	v_cmp_lt_i32_e32 vcc, v11, v9
	v_cndmask_b32_e32 v9, v7, v11, vcc
	v_cndmask_b32_e64 v10, 0, 1, s[2:3]
	v_lshlrev_b32_e32 v9, 2, v9
	ds_bpermute_b32 v10, v9, v10
	s_and_saveexec_b64 s[8:9], s[0:1]
	s_cbranch_execz .LBB5_3
; %bb.67:                               ;   in Loop: Header=BB5_5 Depth=1
	s_waitcnt lgkmcnt(0)
	v_cmp_ne_u32_e32 vcc, 0, v10
	s_and_b64 s[2:3], vcc, s[2:3]
	v_cndmask_b32_e64 v10, 0, 1, s[2:3]
	ds_write_b32 v1, v10
	s_branch .LBB5_3
.LBB5_68:
	s_or_b64 exec, exec, s[4:5]
	v_cmp_eq_u32_e32 vcc, 0, v0
	s_and_saveexec_b64 s[0:1], vcc
	s_cbranch_execz .LBB5_70
; %bb.69:
	s_mul_i32 s0, s33, s7
	s_add_i32 s0, s0, s6
	s_ashr_i32 s1, s0, 31
	s_lshl_b64 s[0:1], s[0:1], 2
	s_add_u32 s0, s10, s0
	s_addc_u32 s1, s11, s1
	v_mov_b32_e32 v0, 0
	global_store_dword v0, v2, s[0:1]
.LBB5_70:
	s_endpgm
	.section	.rodata,"a",@progbits
	.p2align	6, 0x0
	.amdhsa_kernel _ZL25flash_attn_mask_to_KV_maxILi16EEvPK7__half2Piiii
		.amdhsa_group_segment_fixed_size 128
		.amdhsa_private_segment_fixed_size 0
		.amdhsa_kernarg_size 288
		.amdhsa_user_sgpr_count 6
		.amdhsa_user_sgpr_private_segment_buffer 1
		.amdhsa_user_sgpr_dispatch_ptr 0
		.amdhsa_user_sgpr_queue_ptr 0
		.amdhsa_user_sgpr_kernarg_segment_ptr 1
		.amdhsa_user_sgpr_dispatch_id 0
		.amdhsa_user_sgpr_flat_scratch_init 0
		.amdhsa_user_sgpr_kernarg_preload_length 0
		.amdhsa_user_sgpr_kernarg_preload_offset 0
		.amdhsa_user_sgpr_private_segment_size 0
		.amdhsa_uses_dynamic_stack 0
		.amdhsa_system_sgpr_private_segment_wavefront_offset 0
		.amdhsa_system_sgpr_workgroup_id_x 1
		.amdhsa_system_sgpr_workgroup_id_y 1
		.amdhsa_system_sgpr_workgroup_id_z 0
		.amdhsa_system_sgpr_workgroup_info 0
		.amdhsa_system_vgpr_workitem_id 0
		.amdhsa_next_free_vgpr 12
		.amdhsa_next_free_sgpr 82
		.amdhsa_accum_offset 12
		.amdhsa_reserve_vcc 1
		.amdhsa_reserve_flat_scratch 0
		.amdhsa_float_round_mode_32 0
		.amdhsa_float_round_mode_16_64 0
		.amdhsa_float_denorm_mode_32 3
		.amdhsa_float_denorm_mode_16_64 3
		.amdhsa_dx10_clamp 1
		.amdhsa_ieee_mode 1
		.amdhsa_fp16_overflow 0
		.amdhsa_tg_split 0
		.amdhsa_exception_fp_ieee_invalid_op 0
		.amdhsa_exception_fp_denorm_src 0
		.amdhsa_exception_fp_ieee_div_zero 0
		.amdhsa_exception_fp_ieee_overflow 0
		.amdhsa_exception_fp_ieee_underflow 0
		.amdhsa_exception_fp_ieee_inexact 0
		.amdhsa_exception_int_div_zero 0
	.end_amdhsa_kernel
	.section	.text._ZL25flash_attn_mask_to_KV_maxILi16EEvPK7__half2Piiii,"axG",@progbits,_ZL25flash_attn_mask_to_KV_maxILi16EEvPK7__half2Piiii,comdat
.Lfunc_end5:
	.size	_ZL25flash_attn_mask_to_KV_maxILi16EEvPK7__half2Piiii, .Lfunc_end5-_ZL25flash_attn_mask_to_KV_maxILi16EEvPK7__half2Piiii
                                        ; -- End function
	.section	.AMDGPU.csdata,"",@progbits
; Kernel info:
; codeLenInByte = 2192
; NumSgprs: 86
; NumVgprs: 12
; NumAgprs: 0
; TotalNumVgprs: 12
; ScratchSize: 0
; MemoryBound: 0
; FloatMode: 240
; IeeeMode: 1
; LDSByteSize: 128 bytes/workgroup (compile time only)
; SGPRBlocks: 10
; VGPRBlocks: 1
; NumSGPRsForWavesPerEU: 86
; NumVGPRsForWavesPerEU: 12
; AccumOffset: 12
; Occupancy: 8
; WaveLimiterHint : 0
; COMPUTE_PGM_RSRC2:SCRATCH_EN: 0
; COMPUTE_PGM_RSRC2:USER_SGPR: 6
; COMPUTE_PGM_RSRC2:TRAP_HANDLER: 0
; COMPUTE_PGM_RSRC2:TGID_X_EN: 1
; COMPUTE_PGM_RSRC2:TGID_Y_EN: 1
; COMPUTE_PGM_RSRC2:TGID_Z_EN: 0
; COMPUTE_PGM_RSRC2:TIDIG_COMP_CNT: 0
; COMPUTE_PGM_RSRC3_GFX90A:ACCUM_OFFSET: 2
; COMPUTE_PGM_RSRC3_GFX90A:TG_SPLIT: 0
	.section	.text._ZL33flash_attn_stream_k_fixup_uniformILi64ELi16ELi1EEvPfPK15HIP_vector_typeIfLj2EEiiiiiiS1_IjLj3EES5_S5_,"axG",@progbits,_ZL33flash_attn_stream_k_fixup_uniformILi64ELi16ELi1EEvPfPK15HIP_vector_typeIfLj2EEiiiiiiS1_IjLj3EES5_S5_,comdat
	.globl	_ZL33flash_attn_stream_k_fixup_uniformILi64ELi16ELi1EEvPfPK15HIP_vector_typeIfLj2EEiiiiiiS1_IjLj3EES5_S5_ ; -- Begin function _ZL33flash_attn_stream_k_fixup_uniformILi64ELi16ELi1EEvPfPK15HIP_vector_typeIfLj2EEiiiiiiS1_IjLj3EES5_S5_
	.p2align	8
	.type	_ZL33flash_attn_stream_k_fixup_uniformILi64ELi16ELi1EEvPfPK15HIP_vector_typeIfLj2EEiiiiiiS1_IjLj3EES5_S5_,@function
_ZL33flash_attn_stream_k_fixup_uniformILi64ELi16ELi1EEvPfPK15HIP_vector_typeIfLj2EEiiiiiiS1_IjLj3EES5_S5_: ; @_ZL33flash_attn_stream_k_fixup_uniformILi64ELi16ELi1EEvPfPK15HIP_vector_typeIfLj2EEiiiiiiS1_IjLj3EES5_S5_
; %bb.0:
	s_load_dwordx8 s[12:19], s[4:5], 0x1c
	s_load_dwordx2 s[10:11], s[4:5], 0x10
	s_load_dwordx4 s[0:3], s[4:5], 0x3c
	s_waitcnt lgkmcnt(0)
	s_mul_hi_u32 s9, s15, s6
	s_add_i32 s9, s6, s9
	s_lshr_b32 s9, s9, s16
	s_mul_i32 s15, s9, s17
	s_sub_i32 s15, s6, s15
	s_mul_hi_u32 s16, s15, s18
	s_add_i32 s16, s15, s16
	s_lshr_b32 s16, s16, s19
	s_mul_i32 s0, s16, s0
	s_sub_i32 s0, s15, s0
	;; [unrolled: 5-line block ×3, first 2 shown]
	s_lshl_b32 s0, s17, 4
	s_add_i32 s0, s0, s7
	s_cmp_lt_i32 s0, s10
	s_cselect_b64 s[0:1], -1, 0
	s_add_i32 s2, s15, s8
	s_cmp_lt_i32 s2, s13
	s_cselect_b64 s[2:3], -1, 0
	s_and_b64 s[0:1], s[0:1], s[2:3]
	s_andn2_b64 vcc, exec, s[0:1]
	s_cbranch_vccnz .LBB6_6
; %bb.1:
	s_load_dwordx4 s[0:3], s[4:5], 0x0
	s_mul_i32 s4, s9, s10
	s_add_i32 s4, s4, s7
	s_mul_i32 s4, s4, s11
	s_mul_i32 s16, s16, s13
	s_add_i32 s4, s4, s8
	s_add_i32 s4, s4, s16
	s_mul_i32 s5, s11, s17
	s_add_i32 s4, s4, s15
	s_lshl_b32 s5, s5, 10
	s_lshl_b32 s4, s4, 6
	s_add_i32 s5, s5, s4
	v_or_b32_e32 v2, s5, v0
	v_ashrrev_i32_e32 v3, 31, v2
	v_lshlrev_b64 v[2:3], 2, v[2:3]
	s_waitcnt lgkmcnt(0)
	v_mov_b32_e32 v1, s1
	v_add_co_u32_e32 v2, vcc, s0, v2
	v_addc_co_u32_e32 v3, vcc, v1, v3, vcc
	global_load_dword v8, v[2:3], off
	s_add_i32 s4, s7, s8
	s_mul_i32 s7, s6, s14
	s_add_i32 s5, s7, s14
	s_lshl_b32 s0, s5, 4
	s_add_i32 s0, s4, s0
	s_add_i32 s0, s0, -16
	s_ashr_i32 s1, s0, 31
	s_lshl_b64 s[0:1], s[0:1], 3
	s_add_u32 s0, s2, s0
	s_addc_u32 s1, s3, s1
	s_load_dword s10, s[0:1], 0x4
	s_add_i32 s8, s5, -2
	s_cmp_lt_i32 s8, s7
	s_cbranch_scc1 .LBB6_4
; %bb.2:
	s_lshl_b32 s8, s12, 6
	s_ashr_i32 s9, s8, 31
	s_lshl_b64 s[8:9], s[8:9], 2
	s_add_u32 s8, s2, s8
	s_addc_u32 s11, s3, s9
	s_add_i32 s6, s6, 1
	s_add_i32 s9, s5, -1
	s_mul_i32 s5, s14, s6
	s_load_dword s0, s[0:1], 0x0
	s_lshl_b32 s1, s4, 6
	s_lshl_b32 s6, s5, 10
	s_add_i32 s1, s1, s6
	v_or_b32_e32 v0, s1, v0
	s_lshl_b32 s1, s5, 4
	s_add_i32 s1, s4, s1
	s_lshl_b32 s4, s12, 4
	s_add_i32 s1, s1, s4
	v_add_u32_e32 v0, 0xfffff800, v0
	s_sub_i32 s4, s1, 32
	s_waitcnt lgkmcnt(0)
	v_mov_b32_e32 v7, s10
	v_mov_b32_e32 v6, s0
	;; [unrolled: 1-line block ×3, first 2 shown]
	s_mov_b32 s6, 0x3fb8aa3b
	s_mov_b32 s10, 0xc2ce8ed0
	;; [unrolled: 1-line block ×3, first 2 shown]
	v_mov_b32_e32 v5, 0x7f800000
	s_mov_b32 s12, 0xc1a00000
.LBB6_3:                                ; =>This Inner Loop Header: Depth=1
	v_ashrrev_i32_e32 v1, 31, v0
	v_lshlrev_b64 v[10:11], 2, v[0:1]
	v_add_co_u32_e32 v10, vcc, s8, v10
	v_addc_co_u32_e32 v11, vcc, v4, v11, vcc
	global_load_dword v1, v[10:11], off
	s_ashr_i32 s5, s4, 31
	s_lshl_b64 s[0:1], s[4:5], 3
	s_add_u32 s0, s2, s0
	s_addc_u32 s1, s3, s1
	s_load_dwordx2 s[14:15], s[0:1], 0x0
	s_waitcnt vmcnt(1)
	v_mov_b32_e32 v9, v8
	v_max_f32_e32 v8, v6, v6
	v_mov_b32_e32 v10, v7
	s_add_i32 s9, s9, -1
	s_waitcnt lgkmcnt(0)
	v_max_f32_e64 v7, s14, s14
	v_max_f32_e32 v7, v8, v7
	v_sub_f32_e32 v11, s14, v7
	v_sub_f32_e32 v8, v6, v7
	v_mul_f32_e32 v12, 0x3fb8aa3b, v11
	v_mov_b32_e32 v6, v7
	v_mul_f32_e32 v7, 0x3fb8aa3b, v8
	v_fma_f32 v15, v11, s6, -v12
	v_rndne_f32_e32 v16, v12
	v_fma_f32 v13, v8, s6, -v7
	v_rndne_f32_e32 v14, v7
	v_fmac_f32_e32 v15, 0x32a5705f, v11
	v_sub_f32_e32 v12, v12, v16
	v_fmac_f32_e32 v13, 0x32a5705f, v8
	v_sub_f32_e32 v7, v7, v14
	v_add_f32_e32 v12, v12, v15
	v_cvt_i32_f32_e32 v16, v16
	v_add_f32_e32 v7, v7, v13
	v_exp_f32_e32 v12, v12
	v_cvt_i32_f32_e32 v14, v14
	v_exp_f32_e32 v7, v7
	v_cmp_ngt_f32_e32 vcc, s10, v11
	v_ldexp_f32 v12, v12, v16
	v_cmp_ngt_f32_e64 s[0:1], s10, v8
	v_ldexp_f32 v7, v7, v14
	v_cndmask_b32_e32 v12, 0, v12, vcc
	v_cmp_nlt_f32_e32 vcc, s11, v11
	v_cndmask_b32_e64 v7, 0, v7, s[0:1]
	v_cmp_nlt_f32_e64 s[0:1], s11, v8
	v_cndmask_b32_e32 v12, v5, v12, vcc
	v_cmp_le_f32_e32 vcc, s12, v11
	v_cndmask_b32_e64 v7, v5, v7, s[0:1]
	v_cmp_le_f32_e64 s[0:1], s12, v8
	v_cndmask_b32_e32 v8, 0, v12, vcc
	s_add_i32 s4, s4, -16
	v_cndmask_b32_e64 v11, 0, v7, s[0:1]
	v_mul_f32_e32 v7, s15, v8
	v_add_u32_e32 v0, 0xfffffc00, v0
	s_cmp_le_i32 s9, s7
	v_fmac_f32_e32 v7, v10, v11
	s_waitcnt vmcnt(0)
	v_mul_f32_e32 v8, v1, v8
	v_fmac_f32_e32 v8, v9, v11
	s_cbranch_scc0 .LBB6_3
	s_branch .LBB6_5
.LBB6_4:
	s_waitcnt lgkmcnt(0)
	v_mov_b32_e32 v7, s10
.LBB6_5:
	s_waitcnt vmcnt(0)
	v_div_scale_f32 v0, s[0:1], v7, v7, v8
	v_rcp_f32_e32 v1, v0
	v_div_scale_f32 v4, vcc, v8, v7, v8
	v_fma_f32 v5, -v0, v1, 1.0
	v_fmac_f32_e32 v1, v5, v1
	v_mul_f32_e32 v5, v4, v1
	v_fma_f32 v6, -v0, v5, v4
	v_fmac_f32_e32 v5, v6, v1
	v_fma_f32 v0, -v0, v5, v4
	v_div_fmas_f32 v0, v0, v1, v5
	v_div_fixup_f32 v0, v0, v7, v8
	global_store_dword v[2:3], v0, off
.LBB6_6:
	s_endpgm
	.section	.rodata,"a",@progbits
	.p2align	6, 0x0
	.amdhsa_kernel _ZL33flash_attn_stream_k_fixup_uniformILi64ELi16ELi1EEvPfPK15HIP_vector_typeIfLj2EEiiiiiiS1_IjLj3EES5_S5_
		.amdhsa_group_segment_fixed_size 0
		.amdhsa_private_segment_fixed_size 0
		.amdhsa_kernarg_size 76
		.amdhsa_user_sgpr_count 6
		.amdhsa_user_sgpr_private_segment_buffer 1
		.amdhsa_user_sgpr_dispatch_ptr 0
		.amdhsa_user_sgpr_queue_ptr 0
		.amdhsa_user_sgpr_kernarg_segment_ptr 1
		.amdhsa_user_sgpr_dispatch_id 0
		.amdhsa_user_sgpr_flat_scratch_init 0
		.amdhsa_user_sgpr_kernarg_preload_length 0
		.amdhsa_user_sgpr_kernarg_preload_offset 0
		.amdhsa_user_sgpr_private_segment_size 0
		.amdhsa_uses_dynamic_stack 0
		.amdhsa_system_sgpr_private_segment_wavefront_offset 0
		.amdhsa_system_sgpr_workgroup_id_x 1
		.amdhsa_system_sgpr_workgroup_id_y 1
		.amdhsa_system_sgpr_workgroup_id_z 1
		.amdhsa_system_sgpr_workgroup_info 0
		.amdhsa_system_vgpr_workitem_id 0
		.amdhsa_next_free_vgpr 17
		.amdhsa_next_free_sgpr 20
		.amdhsa_accum_offset 20
		.amdhsa_reserve_vcc 1
		.amdhsa_reserve_flat_scratch 0
		.amdhsa_float_round_mode_32 0
		.amdhsa_float_round_mode_16_64 0
		.amdhsa_float_denorm_mode_32 3
		.amdhsa_float_denorm_mode_16_64 3
		.amdhsa_dx10_clamp 1
		.amdhsa_ieee_mode 1
		.amdhsa_fp16_overflow 0
		.amdhsa_tg_split 0
		.amdhsa_exception_fp_ieee_invalid_op 0
		.amdhsa_exception_fp_denorm_src 0
		.amdhsa_exception_fp_ieee_div_zero 0
		.amdhsa_exception_fp_ieee_overflow 0
		.amdhsa_exception_fp_ieee_underflow 0
		.amdhsa_exception_fp_ieee_inexact 0
		.amdhsa_exception_int_div_zero 0
	.end_amdhsa_kernel
	.section	.text._ZL33flash_attn_stream_k_fixup_uniformILi64ELi16ELi1EEvPfPK15HIP_vector_typeIfLj2EEiiiiiiS1_IjLj3EES5_S5_,"axG",@progbits,_ZL33flash_attn_stream_k_fixup_uniformILi64ELi16ELi1EEvPfPK15HIP_vector_typeIfLj2EEiiiiiiS1_IjLj3EES5_S5_,comdat
.Lfunc_end6:
	.size	_ZL33flash_attn_stream_k_fixup_uniformILi64ELi16ELi1EEvPfPK15HIP_vector_typeIfLj2EEiiiiiiS1_IjLj3EES5_S5_, .Lfunc_end6-_ZL33flash_attn_stream_k_fixup_uniformILi64ELi16ELi1EEvPfPK15HIP_vector_typeIfLj2EEiiiiiiS1_IjLj3EES5_S5_
                                        ; -- End function
	.section	.AMDGPU.csdata,"",@progbits
; Kernel info:
; codeLenInByte = 836
; NumSgprs: 24
; NumVgprs: 17
; NumAgprs: 0
; TotalNumVgprs: 17
; ScratchSize: 0
; MemoryBound: 0
; FloatMode: 240
; IeeeMode: 1
; LDSByteSize: 0 bytes/workgroup (compile time only)
; SGPRBlocks: 2
; VGPRBlocks: 2
; NumSGPRsForWavesPerEU: 24
; NumVGPRsForWavesPerEU: 17
; AccumOffset: 20
; Occupancy: 8
; WaveLimiterHint : 0
; COMPUTE_PGM_RSRC2:SCRATCH_EN: 0
; COMPUTE_PGM_RSRC2:USER_SGPR: 6
; COMPUTE_PGM_RSRC2:TRAP_HANDLER: 0
; COMPUTE_PGM_RSRC2:TGID_X_EN: 1
; COMPUTE_PGM_RSRC2:TGID_Y_EN: 1
; COMPUTE_PGM_RSRC2:TGID_Z_EN: 1
; COMPUTE_PGM_RSRC2:TIDIG_COMP_CNT: 0
; COMPUTE_PGM_RSRC3_GFX90A:ACCUM_OFFSET: 4
; COMPUTE_PGM_RSRC3_GFX90A:TG_SPLIT: 0
	.section	.text._ZL33flash_attn_stream_k_fixup_generalILi64ELi16ELi1EEvPfPK15HIP_vector_typeIfLj2EEiiiiS1_IjLj3EES5_S5_S5_,"axG",@progbits,_ZL33flash_attn_stream_k_fixup_generalILi64ELi16ELi1EEvPfPK15HIP_vector_typeIfLj2EEiiiiS1_IjLj3EES5_S5_S5_,comdat
	.globl	_ZL33flash_attn_stream_k_fixup_generalILi64ELi16ELi1EEvPfPK15HIP_vector_typeIfLj2EEiiiiS1_IjLj3EES5_S5_S5_ ; -- Begin function _ZL33flash_attn_stream_k_fixup_generalILi64ELi16ELi1EEvPfPK15HIP_vector_typeIfLj2EEiiiiS1_IjLj3EES5_S5_S5_
	.p2align	8
	.type	_ZL33flash_attn_stream_k_fixup_generalILi64ELi16ELi1EEvPfPK15HIP_vector_typeIfLj2EEiiiiS1_IjLj3EES5_S5_S5_,@function
_ZL33flash_attn_stream_k_fixup_generalILi64ELi16ELi1EEvPfPK15HIP_vector_typeIfLj2EEiiiiS1_IjLj3EES5_S5_S5_: ; @_ZL33flash_attn_stream_k_fixup_generalILi64ELi16ELi1EEvPfPK15HIP_vector_typeIfLj2EEiiiiS1_IjLj3EES5_S5_S5_
; %bb.0:
	s_load_dwordx4 s[12:15], s[4:5], 0x10
	s_load_dword s9, s[4:5], 0x50
	s_mov_b32 s2, 0
	s_waitcnt lgkmcnt(0)
	s_mul_hi_i32 s3, s15, s6
	s_cmp_lg_u64 s[2:3], 0
	s_mul_i32 s2, s15, s6
	s_cbranch_scc0 .LBB7_21
; %bb.1:
	v_cvt_f32_u32_e32 v1, s9
	v_cvt_f32_ubyte0_e32 v2, 0
	s_sub_u32 s10, 0, s9
	s_subb_u32 s11, 0, 0
	v_madmk_f32 v1, v2, 0x4f800000, v1
	v_rcp_f32_e32 v1, v1
	v_mul_f32_e32 v1, 0x5f7ffffc, v1
	v_mul_f32_e32 v2, 0x2f800000, v1
	v_trunc_f32_e32 v2, v2
	v_madmk_f32 v1, v2, 0xcf800000, v1
	v_cvt_u32_f32_e32 v2, v2
	v_cvt_u32_f32_e32 v1, v1
	v_readfirstlane_b32 s16, v2
	v_readfirstlane_b32 s17, v1
	s_mul_i32 s18, s10, s16
	s_mul_hi_u32 s20, s10, s17
	s_mul_i32 s19, s11, s17
	s_add_i32 s18, s20, s18
	s_add_i32 s18, s18, s19
	s_mul_i32 s21, s10, s17
	s_mul_hi_u32 s19, s17, s18
	s_mul_i32 s20, s17, s18
	s_mul_hi_u32 s17, s17, s21
	s_add_u32 s17, s17, s20
	s_addc_u32 s19, 0, s19
	s_mul_hi_u32 s22, s16, s21
	s_mul_i32 s21, s16, s21
	s_add_u32 s17, s17, s21
	s_mul_hi_u32 s20, s16, s18
	s_addc_u32 s17, s19, s22
	s_addc_u32 s19, s20, 0
	s_mul_i32 s18, s16, s18
	s_add_u32 s17, s17, s18
	s_addc_u32 s18, 0, s19
	v_add_co_u32_e32 v1, vcc, s17, v1
	s_cmp_lg_u64 vcc, 0
	s_addc_u32 s16, s16, s18
	v_readfirstlane_b32 s18, v1
	s_mul_i32 s17, s10, s16
	s_mul_hi_u32 s19, s10, s18
	s_add_i32 s17, s19, s17
	s_mul_i32 s11, s11, s18
	s_add_i32 s17, s17, s11
	s_mul_i32 s10, s10, s18
	s_mul_hi_u32 s19, s16, s10
	s_mul_i32 s20, s16, s10
	s_mul_i32 s22, s18, s17
	s_mul_hi_u32 s10, s18, s10
	s_mul_hi_u32 s21, s18, s17
	s_add_u32 s10, s10, s22
	s_addc_u32 s18, 0, s21
	s_add_u32 s10, s10, s20
	s_mul_hi_u32 s11, s16, s17
	s_addc_u32 s10, s18, s19
	s_addc_u32 s11, s11, 0
	s_mul_i32 s17, s16, s17
	s_add_u32 s10, s10, s17
	s_addc_u32 s11, 0, s11
	v_add_co_u32_e32 v1, vcc, s10, v1
	s_cmp_lg_u64 vcc, 0
	s_addc_u32 s18, s16, s11
	s_ashr_i32 s10, s3, 31
	s_add_u32 s16, s2, s10
	s_mov_b32 s11, s10
	s_addc_u32 s17, s3, s10
	s_xor_b64 s[16:17], s[16:17], s[10:11]
	v_readfirstlane_b32 s20, v1
	s_mul_i32 s19, s16, s18
	s_mul_hi_u32 s21, s16, s20
	s_mul_hi_u32 s3, s16, s18
	s_add_u32 s19, s21, s19
	s_addc_u32 s3, 0, s3
	s_mul_hi_u32 s22, s17, s20
	s_mul_i32 s20, s17, s20
	s_add_u32 s19, s19, s20
	s_mul_hi_u32 s21, s17, s18
	s_addc_u32 s3, s3, s22
	s_addc_u32 s19, s21, 0
	s_mul_i32 s18, s17, s18
	s_add_u32 s3, s3, s18
	s_addc_u32 s18, 0, s19
	s_add_u32 s19, s3, 1
	s_addc_u32 s20, s18, 0
	s_add_u32 s21, s3, 2
	s_mul_i32 s23, s9, s18
	s_mul_hi_u32 s24, s9, s3
	s_addc_u32 s22, s18, 0
	s_add_i32 s24, s24, s23
	s_mul_i32 s23, s9, s3
	v_mov_b32_e32 v1, s23
	v_sub_co_u32_e32 v1, vcc, s16, v1
	s_cmp_lg_u64 vcc, 0
	s_subb_u32 s16, s17, s24
	v_subrev_co_u32_e32 v2, vcc, s9, v1
	s_cmp_lg_u64 vcc, 0
	s_subb_u32 s17, s16, 0
	v_readfirstlane_b32 s23, v2
	s_cmp_ge_u32 s23, s9
	s_cselect_b32 s23, -1, 0
	s_cmp_eq_u32 s17, 0
	s_cselect_b32 s17, s23, -1
	s_cmp_lg_u32 s17, 0
	s_cselect_b32 s17, s22, s20
	v_readfirstlane_b32 s20, v1
	s_cselect_b32 s19, s21, s19
	s_cmp_ge_u32 s20, s9
	s_cselect_b32 s20, -1, 0
	s_cmp_eq_u32 s16, 0
	s_cselect_b32 s16, s20, -1
	s_cmp_lg_u32 s16, 0
	s_cselect_b32 s17, s17, s18
	s_cselect_b32 s16, s19, s3
	s_xor_b64 s[16:17], s[16:17], s[10:11]
	s_sub_u32 s20, s16, s10
	s_load_dwordx4 s[16:19], s[4:5], 0x44
	s_cbranch_execnz .LBB7_3
.LBB7_2:
	v_cvt_f32_u32_e32 v1, s9
	s_sub_i32 s0, 0, s9
	v_rcp_iflag_f32_e32 v1, v1
	v_mul_f32_e32 v1, 0x4f7ffffe, v1
	v_cvt_u32_f32_e32 v1, v1
	v_readfirstlane_b32 s1, v1
	s_mul_i32 s0, s0, s1
	s_mul_hi_u32 s0, s1, s0
	s_add_i32 s1, s1, s0
	s_mul_hi_u32 s0, s2, s1
	s_mul_i32 s3, s0, s9
	s_sub_i32 s2, s2, s3
	s_add_i32 s1, s0, 1
	s_sub_i32 s3, s2, s9
	s_cmp_ge_u32 s2, s9
	s_cselect_b32 s0, s1, s0
	s_cselect_b32 s2, s3, s2
	s_add_i32 s1, s0, 1
	s_cmp_ge_u32 s2, s9
	s_cselect_b32 s20, s1, s0
.LBB7_3:
	s_add_i32 s0, s6, 1
	s_mul_hi_i32 s3, s15, s0
	s_mov_b32 s2, 0
	s_cmp_lg_u64 s[2:3], 0
	s_mul_i32 s2, s15, s0
	s_cbranch_scc0 .LBB7_22
; %bb.4:
	v_cvt_f32_u32_e32 v1, s9
	v_cvt_f32_ubyte0_e32 v2, 0
	s_sub_u32 s10, 0, s9
	s_subb_u32 s11, 0, 0
	v_madmk_f32 v1, v2, 0x4f800000, v1
	v_rcp_f32_e32 v1, v1
	v_mul_f32_e32 v1, 0x5f7ffffc, v1
	v_mul_f32_e32 v2, 0x2f800000, v1
	v_trunc_f32_e32 v2, v2
	v_madmk_f32 v1, v2, 0xcf800000, v1
	v_cvt_u32_f32_e32 v2, v2
	v_cvt_u32_f32_e32 v1, v1
	s_waitcnt lgkmcnt(0)
	v_readfirstlane_b32 s19, v2
	v_readfirstlane_b32 s21, v1
	s_mul_i32 s22, s10, s19
	s_mul_hi_u32 s24, s10, s21
	s_mul_i32 s23, s11, s21
	s_add_i32 s22, s24, s22
	s_add_i32 s22, s22, s23
	s_mul_i32 s25, s10, s21
	s_mul_hi_u32 s23, s21, s22
	s_mul_i32 s24, s21, s22
	s_mul_hi_u32 s21, s21, s25
	s_add_u32 s21, s21, s24
	s_addc_u32 s23, 0, s23
	s_mul_hi_u32 s26, s19, s25
	s_mul_i32 s25, s19, s25
	s_add_u32 s21, s21, s25
	s_mul_hi_u32 s24, s19, s22
	s_addc_u32 s21, s23, s26
	s_addc_u32 s23, s24, 0
	s_mul_i32 s22, s19, s22
	s_add_u32 s21, s21, s22
	s_addc_u32 s22, 0, s23
	v_add_co_u32_e32 v1, vcc, s21, v1
	s_cmp_lg_u64 vcc, 0
	s_addc_u32 s19, s19, s22
	v_readfirstlane_b32 s22, v1
	s_mul_i32 s21, s10, s19
	s_mul_hi_u32 s23, s10, s22
	s_add_i32 s21, s23, s21
	s_mul_i32 s11, s11, s22
	s_add_i32 s21, s21, s11
	s_mul_i32 s10, s10, s22
	s_mul_hi_u32 s23, s19, s10
	s_mul_i32 s24, s19, s10
	s_mul_i32 s26, s22, s21
	s_mul_hi_u32 s10, s22, s10
	s_mul_hi_u32 s25, s22, s21
	s_add_u32 s10, s10, s26
	s_addc_u32 s22, 0, s25
	s_add_u32 s10, s10, s24
	s_mul_hi_u32 s11, s19, s21
	s_addc_u32 s10, s22, s23
	s_addc_u32 s11, s11, 0
	s_mul_i32 s21, s19, s21
	s_add_u32 s10, s10, s21
	s_addc_u32 s11, 0, s11
	v_add_co_u32_e32 v1, vcc, s10, v1
	s_cmp_lg_u64 vcc, 0
	s_addc_u32 s19, s19, s11
	s_ashr_i32 s10, s3, 31
	s_add_u32 s22, s2, s10
	s_mov_b32 s11, s10
	s_addc_u32 s23, s3, s10
	s_xor_b64 s[22:23], s[22:23], s[10:11]
	v_readfirstlane_b32 s21, v1
	s_mul_i32 s11, s22, s19
	s_mul_hi_u32 s24, s22, s21
	s_mul_hi_u32 s3, s22, s19
	s_add_u32 s11, s24, s11
	s_addc_u32 s3, 0, s3
	s_mul_hi_u32 s25, s23, s21
	s_mul_i32 s21, s23, s21
	s_add_u32 s11, s11, s21
	s_mul_hi_u32 s24, s23, s19
	s_addc_u32 s3, s3, s25
	s_addc_u32 s11, s24, 0
	s_mul_i32 s19, s23, s19
	s_add_u32 s3, s3, s19
	s_addc_u32 s11, 0, s11
	s_mul_i32 s11, s9, s11
	s_mul_hi_u32 s24, s9, s3
	s_add_i32 s24, s24, s11
	s_mul_i32 s11, s9, s3
	v_mov_b32_e32 v1, s11
	s_add_u32 s19, s3, 1
	s_add_u32 s21, s3, 2
	v_sub_co_u32_e32 v1, vcc, s22, v1
	s_cmp_lg_u64 vcc, 0
	s_subb_u32 s11, s23, s24
	v_subrev_co_u32_e32 v2, vcc, s9, v1
	s_cmp_lg_u64 vcc, 0
	s_subb_u32 s22, s11, 0
	v_cmp_le_u32_e32 vcc, s9, v2
	s_cmp_eq_u32 s22, 0
	v_cndmask_b32_e64 v2, 0, -1, vcc
	s_cselect_b64 vcc, -1, 0
	v_cndmask_b32_e32 v2, -1, v2, vcc
	v_mov_b32_e32 v3, s19
	v_mov_b32_e32 v4, s21
	v_cmp_ne_u32_e32 vcc, 0, v2
	v_cndmask_b32_e32 v2, v3, v4, vcc
	v_cmp_le_u32_e32 vcc, s9, v1
	s_cmp_eq_u32 s11, 0
	v_cndmask_b32_e64 v1, 0, -1, vcc
	s_cselect_b64 vcc, -1, 0
	v_cndmask_b32_e32 v1, -1, v1, vcc
	v_mov_b32_e32 v3, s3
	v_cmp_ne_u32_e32 vcc, 0, v1
	v_cndmask_b32_e32 v1, v3, v2, vcc
	v_xor_b32_e32 v1, s10, v1
	v_subrev_co_u32_e32 v2, vcc, s10, v1
	s_cbranch_execnz .LBB7_6
.LBB7_5:
	v_cvt_f32_u32_e32 v1, s9
	s_sub_i32 s0, 0, s9
	s_mov_b32 s1, 0
	v_rcp_iflag_f32_e32 v1, v1
	v_mul_f32_e32 v1, 0x4f7ffffe, v1
	v_cvt_u32_f32_e32 v1, v1
	v_readfirstlane_b32 s3, v1
	s_mul_i32 s0, s0, s3
	s_mul_hi_u32 s0, s3, s0
	s_add_i32 s3, s3, s0
	s_mul_hi_u32 s0, s2, s3
	s_mul_i32 s10, s0, s9
	s_sub_i32 s2, s2, s10
	s_add_i32 s3, s0, 1
	s_sub_i32 s10, s2, s9
	s_cmp_ge_u32 s2, s9
	s_cselect_b32 s0, s3, s0
	s_cselect_b32 s2, s10, s2
	s_add_i32 s3, s0, 1
	s_cmp_ge_u32 s2, s9
	s_cselect_b32 s0, s3, s0
	v_pk_mov_b32 v[2:3], s[0:1], s[0:1] op_sel:[0,1]
.LBB7_6:
	s_waitcnt lgkmcnt(0)
	s_mul_hi_u32 s0, s20, s16
	s_add_i32 s0, s0, s20
	v_mul_hi_u32 v1, v2, s16
	s_lshr_b32 s19, s0, s17
	v_add_u32_e32 v1, v1, v2
	s_mul_i32 s0, s19, s18
	v_lshrrev_b32_e32 v1, s17, v1
	s_cmp_eq_u32 s0, s20
	v_cmp_eq_u32_e64 s[0:1], s19, v1
	v_mul_lo_u32 v1, v1, s18
	v_cmp_eq_u32_e32 vcc, s20, v2
	s_cselect_b64 s[10:11], -1, 0
	v_cmp_ne_u32_e64 s[2:3], v1, v2
	s_and_b64 s[0:1], s[0:1], s[2:3]
	s_or_b64 s[2:3], vcc, s[10:11]
	s_or_b64 s[0:1], s[2:3], s[0:1]
	s_and_b64 vcc, exec, s[0:1]
	s_cbranch_vccnz .LBB7_24
; %bb.7:
	s_load_dwordx8 s[24:31], s[4:5], 0x20
	s_load_dword s0, s[4:5], 0x40
	s_mov_b32 s10, 0
	s_waitcnt lgkmcnt(0)
	s_mul_hi_u32 s1, s20, s24
	s_add_i32 s1, s1, s20
	s_lshr_b32 s11, s1, s25
	s_mul_i32 s1, s11, s26
	s_sub_i32 s1, s20, s1
	s_mul_hi_u32 s2, s1, s27
	s_add_i32 s2, s1, s2
	s_lshr_b32 s25, s2, s28
	s_mul_i32 s2, s25, s29
	s_sub_i32 s1, s1, s2
	;; [unrolled: 5-line block ×3, first 2 shown]
	s_mul_hi_u32 s1, s0, s16
	s_add_i32 s0, s0, s1
	s_lshr_b32 s26, s0, s17
	s_lshl_b32 s0, s26, 4
	s_add_i32 s0, s0, s7
	s_cmp_lt_i32 s0, s12
	s_cselect_b64 s[0:1], -1, 0
	s_add_i32 s2, s24, s8
	s_cmp_lt_i32 s2, s14
	s_cselect_b64 s[2:3], -1, 0
	s_and_b64 s[0:1], s[0:1], s[2:3]
	s_andn2_b64 vcc, exec, s[0:1]
	s_cbranch_vccnz .LBB7_24
; %bb.8:
	s_load_dwordx4 s[0:3], s[4:5], 0x0
	s_lshl_b32 s4, s9, 6
	s_mov_b32 s5, s10
	s_add_i32 s21, s7, s8
	s_lshl_b64 s[4:5], s[4:5], 2
	s_waitcnt lgkmcnt(0)
	s_add_u32 s22, s2, s4
	s_mul_i32 s4, s11, s12
	s_addc_u32 s23, s3, s5
	s_add_i32 s4, s4, s7
	s_mul_i32 s4, s4, s13
	s_mul_i32 s25, s25, s14
	s_add_i32 s4, s4, s8
	s_add_i32 s4, s4, s25
	s_mul_i32 s5, s13, s26
	s_add_i32 s4, s4, s24
	s_lshl_b32 s5, s5, 10
	s_lshl_b32 s4, s4, 6
	s_add_i32 s5, s5, s4
	v_or_b32_e32 v2, s5, v0
	v_ashrrev_i32_e32 v3, 31, v2
	v_lshlrev_b64 v[2:3], 2, v[2:3]
	v_mov_b32_e32 v1, s1
	v_add_co_u32_e32 v2, vcc, s0, v2
	v_addc_co_u32_e32 v3, vcc, v1, v3, vcc
	global_load_dword v5, v[2:3], off
	v_lshl_or_b32 v4, s21, 6, v0
	v_cvt_f32_u32_e32 v0, s9
	v_cvt_f32_ubyte0_e32 v1, 0
	s_lshl_b32 s0, s6, 4
	s_add_i32 s0, s0, s21
	v_mac_f32_e32 v0, 0x4f800000, v1
	v_rcp_f32_e32 v0, v0
	v_cvt_f32_u32_e32 v1, s9
	s_ashr_i32 s1, s0, 31
	s_lshl_b64 s[0:1], s[0:1], 3
	v_mul_f32_e32 v0, 0x5f7ffffc, v0
	v_rcp_iflag_f32_e32 v1, v1
	s_add_u32 s0, s2, s0
	v_mul_f32_e32 v9, 0x2f800000, v0
	s_addc_u32 s1, s3, s1
	v_trunc_f32_e32 v10, v9
	s_load_dwordx2 s[0:1], s[0:1], 0x0
	v_mac_f32_e32 v0, 0xcf800000, v10
	v_cvt_u32_f32_e32 v9, v0
	v_mul_f32_e32 v0, 0x4f7ffffe, v1
	v_cvt_u32_f32_e32 v10, v10
	v_cvt_u32_f32_e32 v11, v0
	s_add_i32 s8, s6, -1
	s_waitcnt lgkmcnt(0)
	v_mov_b32_e32 v6, s1
	v_mov_b32_e32 v7, s0
	;; [unrolled: 1-line block ×3, first 2 shown]
	s_mov_b32 s6, 0x3fb8aa3b
	s_mov_b32 s7, 0xc2ce8ed0
	;; [unrolled: 1-line block ×4, first 2 shown]
	v_mov_b32_e32 v12, 0x7f800000
	s_mul_hi_i32 s11, s8, s15
	s_cmp_lg_u64 s[10:11], 0
	s_mul_i32 s4, s8, s15
	s_cbranch_scc0 .LBB7_15
.LBB7_9:
	s_sub_u32 s0, 0, s9
	v_readfirstlane_b32 s5, v9
	v_readfirstlane_b32 s24, v10
	s_subb_u32 s1, 0, 0
	s_mul_hi_u32 s20, s0, s5
	s_mul_i32 s25, s0, s24
	s_mul_i32 s14, s1, s5
	s_add_i32 s20, s20, s25
	s_add_i32 s20, s20, s14
	s_mul_i32 s26, s0, s5
	s_mul_hi_u32 s14, s5, s20
	s_mul_i32 s25, s5, s20
	s_mul_hi_u32 s5, s5, s26
	s_add_u32 s5, s5, s25
	s_addc_u32 s14, 0, s14
	s_mul_hi_u32 s27, s24, s26
	s_mul_i32 s26, s24, s26
	s_add_u32 s5, s5, s26
	s_mul_hi_u32 s25, s24, s20
	s_addc_u32 s5, s14, s27
	s_addc_u32 s14, s25, 0
	s_mul_i32 s20, s24, s20
	s_add_u32 s5, s5, s20
	s_addc_u32 s14, 0, s14
	v_add_co_u32_e32 v0, vcc, s5, v9
	s_cmp_lg_u64 vcc, 0
	s_addc_u32 s5, s24, s14
	v_readfirstlane_b32 s20, v0
	s_mul_i32 s14, s0, s5
	s_mul_hi_u32 s24, s0, s20
	s_add_i32 s14, s24, s14
	s_mul_i32 s1, s1, s20
	s_add_i32 s14, s14, s1
	s_mul_i32 s0, s0, s20
	s_mul_hi_u32 s24, s5, s0
	s_mul_i32 s25, s5, s0
	s_mul_i32 s27, s20, s14
	s_mul_hi_u32 s0, s20, s0
	s_mul_hi_u32 s26, s20, s14
	s_add_u32 s0, s0, s27
	s_addc_u32 s20, 0, s26
	s_add_u32 s0, s0, s25
	s_mul_hi_u32 s1, s5, s14
	s_addc_u32 s0, s20, s24
	s_addc_u32 s1, s1, 0
	s_mul_i32 s14, s5, s14
	s_add_u32 s0, s0, s14
	s_addc_u32 s1, 0, s1
	v_add_co_u32_e32 v0, vcc, s0, v0
	s_cmp_lg_u64 vcc, 0
	s_addc_u32 s5, s5, s1
	s_ashr_i32 s0, s11, 31
	s_add_u32 s24, s4, s0
	s_mov_b32 s1, s0
	s_addc_u32 s25, s11, s0
	s_xor_b64 s[24:25], s[24:25], s[0:1]
	v_readfirstlane_b32 s14, v0
	s_mul_i32 s11, s24, s5
	s_mul_hi_u32 s20, s24, s14
	s_mul_hi_u32 s1, s24, s5
	s_add_u32 s11, s20, s11
	s_addc_u32 s1, 0, s1
	s_mul_hi_u32 s26, s25, s14
	s_mul_i32 s14, s25, s14
	s_add_u32 s11, s11, s14
	s_mul_hi_u32 s20, s25, s5
	s_addc_u32 s1, s1, s26
	s_addc_u32 s11, s20, 0
	s_mul_i32 s5, s25, s5
	s_add_u32 s1, s1, s5
	s_addc_u32 s5, 0, s11
	s_mul_i32 s5, s9, s5
	s_mul_hi_u32 s20, s9, s1
	s_add_i32 s20, s20, s5
	s_mul_i32 s5, s9, s1
	v_mov_b32_e32 v0, s5
	s_add_u32 s11, s1, 1
	s_add_u32 s14, s1, 2
	v_sub_co_u32_e32 v0, vcc, s24, v0
	s_cmp_lg_u64 vcc, 0
	s_subb_u32 s5, s25, s20
	v_subrev_co_u32_e32 v1, vcc, s9, v0
	s_cmp_lg_u64 vcc, 0
	s_subb_u32 s20, s5, 0
	v_cmp_le_u32_e32 vcc, s9, v1
	s_cmp_eq_u32 s20, 0
	v_cndmask_b32_e64 v1, 0, -1, vcc
	s_cselect_b64 vcc, -1, 0
	v_cndmask_b32_e32 v1, -1, v1, vcc
	v_mov_b32_e32 v13, s11
	v_mov_b32_e32 v14, s14
	v_cmp_ne_u32_e32 vcc, 0, v1
	v_cndmask_b32_e32 v1, v13, v14, vcc
	v_cmp_le_u32_e32 vcc, s9, v0
	s_cmp_eq_u32 s5, 0
	v_cndmask_b32_e64 v0, 0, -1, vcc
	s_cselect_b64 vcc, -1, 0
	v_cndmask_b32_e32 v0, -1, v0, vcc
	v_mov_b32_e32 v13, s1
	v_cmp_ne_u32_e32 vcc, 0, v0
	v_cndmask_b32_e32 v0, v13, v1, vcc
	v_xor_b32_e32 v0, s0, v0
	v_subrev_co_u32_e32 v0, vcc, s0, v0
	s_cbranch_execnz .LBB7_11
.LBB7_10:
	s_sub_i32 s0, 0, s9
	v_mul_lo_u32 v0, s0, v11
	v_mul_hi_u32 v0, v11, v0
	v_add_u32_e32 v0, v11, v0
	v_mul_hi_u32 v0, s4, v0
	v_mul_lo_u32 v13, v0, s9
	v_sub_u32_e32 v13, s4, v13
	v_add_u32_e32 v1, 1, v0
	v_subrev_u32_e32 v14, s9, v13
	v_cmp_le_u32_e32 vcc, s9, v13
	v_cndmask_b32_e32 v13, v13, v14, vcc
	v_cndmask_b32_e32 v0, v0, v1, vcc
	v_add_u32_e32 v1, 1, v0
	v_cmp_le_u32_e32 vcc, s9, v13
	v_cndmask_b32_e32 v0, v0, v1, vcc
.LBB7_11:
	v_cmp_ne_u32_e32 vcc, v8, v0
	s_cbranch_vccz .LBB7_14
; %bb.12:
	s_add_i32 s0, s8, s9
	s_lshl_b32 s0, s0, 4
	v_mul_hi_u32 v1, v0, s16
	s_add_i32 s0, s0, s21
	s_mov_b32 s1, s10
	v_add_u32_e32 v1, v1, v0
	s_lshl_b64 s[0:1], s[0:1], 3
	v_lshrrev_b32_e32 v1, s17, v1
	s_add_u32 s4, s2, s0
	v_mul_lo_u32 v13, v1, s18
	s_addc_u32 s5, s3, s1
	v_cmp_eq_u32_e32 vcc, v13, v0
	v_cmp_gt_u32_e64 s[0:1], s19, v1
	s_or_b64 s[0:1], s[0:1], vcc
	s_and_b64 vcc, exec, s[0:1]
	s_cbranch_vccnz .LBB7_16
; %bb.13:
	s_add_i32 s11, s8, -1
	s_mov_b64 s[0:1], 0
	s_branch .LBB7_17
.LBB7_14:
                                        ; implicit-def: $sgpr0_sgpr1
                                        ; implicit-def: $vgpr14
                                        ; implicit-def: $vgpr1
                                        ; implicit-def: $vgpr13
                                        ; implicit-def: $sgpr11
                                        ; implicit-def: $vgpr0
	s_branch .LBB7_18
.LBB7_15:
                                        ; implicit-def: $vgpr0_vgpr1
	s_branch .LBB7_10
.LBB7_16:
	s_mov_b64 s[0:1], -1
	s_mov_b32 s11, s8
	v_mov_b32_e32 v0, v8
.LBB7_17:
	v_lshl_add_u32 v14, s8, 10, v4
	v_ashrrev_i32_e32 v15, 31, v14
	v_lshlrev_b64 v[14:15], 2, v[14:15]
	v_mov_b32_e32 v1, s23
	v_add_co_u32_e32 v14, vcc, s22, v14
	v_addc_co_u32_e32 v15, vcc, v1, v15, vcc
	global_load_dword v14, v[14:15], off
	s_load_dwordx2 s[4:5], s[4:5], 0x0
	v_max_f32_e32 v1, v7, v7
	s_waitcnt lgkmcnt(0)
	v_max_f32_e64 v13, s4, s4
	v_max_f32_e32 v1, v1, v13
	v_sub_f32_e32 v13, v7, v1
	v_sub_f32_e32 v15, s4, v1
	v_mul_f32_e32 v16, 0x3fb8aa3b, v13
	v_mul_f32_e32 v17, 0x3fb8aa3b, v15
	v_fma_f32 v18, v13, s6, -v16
	v_rndne_f32_e32 v19, v16
	v_fma_f32 v20, v15, s6, -v17
	v_rndne_f32_e32 v21, v17
	v_fmac_f32_e32 v18, 0x32a5705f, v13
	v_sub_f32_e32 v16, v16, v19
	v_fmac_f32_e32 v20, 0x32a5705f, v15
	v_sub_f32_e32 v17, v17, v21
	v_add_f32_e32 v16, v16, v18
	v_cvt_i32_f32_e32 v19, v19
	v_add_f32_e32 v17, v17, v20
	v_exp_f32_e32 v16, v16
	v_cvt_i32_f32_e32 v21, v21
	v_exp_f32_e32 v17, v17
	v_cmp_ngt_f32_e32 vcc, s7, v13
	v_ldexp_f32 v16, v16, v19
	v_cndmask_b32_e32 v16, 0, v16, vcc
	v_ldexp_f32 v17, v17, v21
	v_cmp_ngt_f32_e32 vcc, s7, v15
	v_cndmask_b32_e32 v17, 0, v17, vcc
	v_cmp_nlt_f32_e32 vcc, s12, v13
	v_cndmask_b32_e32 v16, v12, v16, vcc
	v_cmp_nlt_f32_e32 vcc, s12, v15
	v_cndmask_b32_e32 v17, v12, v17, vcc
	v_cmp_le_f32_e32 vcc, s13, v13
	v_cndmask_b32_e32 v16, 0, v16, vcc
	v_cmp_le_f32_e32 vcc, s13, v15
	v_cndmask_b32_e32 v15, 0, v17, vcc
	v_mul_f32_e32 v13, s5, v15
	v_fmac_f32_e32 v13, v6, v16
	s_waitcnt vmcnt(0)
	v_mul_f32_e32 v14, v14, v15
	v_fmac_f32_e32 v14, v5, v16
	s_cbranch_execnz .LBB7_19
.LBB7_18:
	s_add_i32 s11, s8, -1
	s_mov_b64 s[0:1], 0
	v_mov_b32_e32 v0, v8
	v_mov_b32_e32 v13, v6
	;; [unrolled: 1-line block ×3, first 2 shown]
	s_waitcnt vmcnt(0)
	v_mov_b32_e32 v14, v5
.LBB7_19:
	s_andn2_b64 vcc, exec, s[0:1]
	s_cbranch_vccz .LBB7_23
; %bb.20:
	v_mov_b32_e32 v8, v0
	s_mov_b32 s8, s11
	v_mov_b32_e32 v6, v13
	v_mov_b32_e32 v7, v1
	s_waitcnt vmcnt(0)
	v_mov_b32_e32 v5, v14
	s_mul_hi_i32 s11, s8, s15
	s_cmp_lg_u64 s[10:11], 0
	s_mul_i32 s4, s8, s15
	s_cbranch_scc1 .LBB7_9
	s_branch .LBB7_15
.LBB7_21:
                                        ; implicit-def: $sgpr20_sgpr21
	s_load_dwordx4 s[16:19], s[4:5], 0x44
	s_branch .LBB7_2
.LBB7_22:
                                        ; implicit-def: $vgpr2_vgpr3
	s_branch .LBB7_5
.LBB7_23:
	v_div_scale_f32 v0, s[0:1], v13, v13, v14
	v_rcp_f32_e32 v1, v0
	v_div_scale_f32 v4, vcc, v14, v13, v14
	s_waitcnt vmcnt(0)
	v_fma_f32 v5, -v0, v1, 1.0
	v_fmac_f32_e32 v1, v5, v1
	v_mul_f32_e32 v5, v4, v1
	v_fma_f32 v6, -v0, v5, v4
	v_fmac_f32_e32 v5, v6, v1
	v_fma_f32 v0, -v0, v5, v4
	v_div_fmas_f32 v0, v0, v1, v5
	v_div_fixup_f32 v0, v0, v13, v14
	global_store_dword v[2:3], v0, off
.LBB7_24:
	s_endpgm
	.section	.rodata,"a",@progbits
	.p2align	6, 0x0
	.amdhsa_kernel _ZL33flash_attn_stream_k_fixup_generalILi64ELi16ELi1EEvPfPK15HIP_vector_typeIfLj2EEiiiiS1_IjLj3EES5_S5_S5_
		.amdhsa_group_segment_fixed_size 0
		.amdhsa_private_segment_fixed_size 0
		.amdhsa_kernarg_size 336
		.amdhsa_user_sgpr_count 6
		.amdhsa_user_sgpr_private_segment_buffer 1
		.amdhsa_user_sgpr_dispatch_ptr 0
		.amdhsa_user_sgpr_queue_ptr 0
		.amdhsa_user_sgpr_kernarg_segment_ptr 1
		.amdhsa_user_sgpr_dispatch_id 0
		.amdhsa_user_sgpr_flat_scratch_init 0
		.amdhsa_user_sgpr_kernarg_preload_length 0
		.amdhsa_user_sgpr_kernarg_preload_offset 0
		.amdhsa_user_sgpr_private_segment_size 0
		.amdhsa_uses_dynamic_stack 0
		.amdhsa_system_sgpr_private_segment_wavefront_offset 0
		.amdhsa_system_sgpr_workgroup_id_x 1
		.amdhsa_system_sgpr_workgroup_id_y 1
		.amdhsa_system_sgpr_workgroup_id_z 1
		.amdhsa_system_sgpr_workgroup_info 0
		.amdhsa_system_vgpr_workitem_id 0
		.amdhsa_next_free_vgpr 22
		.amdhsa_next_free_sgpr 32
		.amdhsa_accum_offset 24
		.amdhsa_reserve_vcc 1
		.amdhsa_reserve_flat_scratch 0
		.amdhsa_float_round_mode_32 0
		.amdhsa_float_round_mode_16_64 0
		.amdhsa_float_denorm_mode_32 3
		.amdhsa_float_denorm_mode_16_64 3
		.amdhsa_dx10_clamp 1
		.amdhsa_ieee_mode 1
		.amdhsa_fp16_overflow 0
		.amdhsa_tg_split 0
		.amdhsa_exception_fp_ieee_invalid_op 0
		.amdhsa_exception_fp_denorm_src 0
		.amdhsa_exception_fp_ieee_div_zero 0
		.amdhsa_exception_fp_ieee_overflow 0
		.amdhsa_exception_fp_ieee_underflow 0
		.amdhsa_exception_fp_ieee_inexact 0
		.amdhsa_exception_int_div_zero 0
	.end_amdhsa_kernel
	.section	.text._ZL33flash_attn_stream_k_fixup_generalILi64ELi16ELi1EEvPfPK15HIP_vector_typeIfLj2EEiiiiS1_IjLj3EES5_S5_S5_,"axG",@progbits,_ZL33flash_attn_stream_k_fixup_generalILi64ELi16ELi1EEvPfPK15HIP_vector_typeIfLj2EEiiiiS1_IjLj3EES5_S5_S5_,comdat
.Lfunc_end7:
	.size	_ZL33flash_attn_stream_k_fixup_generalILi64ELi16ELi1EEvPfPK15HIP_vector_typeIfLj2EEiiiiS1_IjLj3EES5_S5_S5_, .Lfunc_end7-_ZL33flash_attn_stream_k_fixup_generalILi64ELi16ELi1EEvPfPK15HIP_vector_typeIfLj2EEiiiiS1_IjLj3EES5_S5_S5_
                                        ; -- End function
	.section	.AMDGPU.csdata,"",@progbits
; Kernel info:
; codeLenInByte = 2816
; NumSgprs: 36
; NumVgprs: 22
; NumAgprs: 0
; TotalNumVgprs: 22
; ScratchSize: 0
; MemoryBound: 0
; FloatMode: 240
; IeeeMode: 1
; LDSByteSize: 0 bytes/workgroup (compile time only)
; SGPRBlocks: 4
; VGPRBlocks: 2
; NumSGPRsForWavesPerEU: 36
; NumVGPRsForWavesPerEU: 22
; AccumOffset: 24
; Occupancy: 8
; WaveLimiterHint : 0
; COMPUTE_PGM_RSRC2:SCRATCH_EN: 0
; COMPUTE_PGM_RSRC2:USER_SGPR: 6
; COMPUTE_PGM_RSRC2:TRAP_HANDLER: 0
; COMPUTE_PGM_RSRC2:TGID_X_EN: 1
; COMPUTE_PGM_RSRC2:TGID_Y_EN: 1
; COMPUTE_PGM_RSRC2:TGID_Z_EN: 1
; COMPUTE_PGM_RSRC2:TIDIG_COMP_CNT: 0
; COMPUTE_PGM_RSRC3_GFX90A:ACCUM_OFFSET: 5
; COMPUTE_PGM_RSRC3_GFX90A:TG_SPLIT: 0
	.section	.text._ZL26flash_attn_combine_resultsILi64EEvPKfPK15HIP_vector_typeIfLj2EEPfi,"axG",@progbits,_ZL26flash_attn_combine_resultsILi64EEvPKfPK15HIP_vector_typeIfLj2EEPfi,comdat
	.globl	_ZL26flash_attn_combine_resultsILi64EEvPKfPK15HIP_vector_typeIfLj2EEPfi ; -- Begin function _ZL26flash_attn_combine_resultsILi64EEvPKfPK15HIP_vector_typeIfLj2EEPfi
	.p2align	8
	.type	_ZL26flash_attn_combine_resultsILi64EEvPKfPK15HIP_vector_typeIfLj2EEPfi,@function
_ZL26flash_attn_combine_resultsILi64EEvPKfPK15HIP_vector_typeIfLj2EEPfi: ; @_ZL26flash_attn_combine_resultsILi64EEvPKfPK15HIP_vector_typeIfLj2EEPfi
; %bb.0:
	s_load_dwordx2 s[10:11], s[4:5], 0x20
	s_load_dword s17, s[4:5], 0x18
	s_load_dwordx4 s[0:3], s[4:5], 0x0
	s_load_dwordx2 s[14:15], s[4:5], 0x10
	s_waitcnt lgkmcnt(0)
	s_mul_i32 s4, s10, s8
	s_add_i32 s4, s4, s6
	s_mul_i32 s16, s4, s11
	s_add_i32 s16, s16, s7
	s_lshl_b32 s18, s17, 1
	s_mul_i32 s4, s16, s17
	v_cmp_gt_i32_e32 vcc, s18, v0
	s_and_saveexec_b64 s[6:7], vcc
	s_cbranch_execz .LBB8_13
; %bb.1:
	v_xad_u32 v1, v0, -1, s18
	s_ashr_i32 s5, s4, 31
	v_cmp_lt_u32_e32 vcc, 63, v1
	s_mov_b64 s[10:11], -1
	v_mov_b32_e32 v2, v0
	s_and_saveexec_b64 s[8:9], vcc
	s_cbranch_execz .LBB8_10
; %bb.2:
	v_lshrrev_b32_e32 v6, 6, v1
	s_lshl_b64 s[10:11], s[4:5], 3
	v_add_u32_e32 v2, -1, v6
	s_add_u32 s19, s2, s10
	v_or_b32_e32 v1, 64, v0
	v_lshrrev_b32_e32 v3, 1, v2
	s_addc_u32 s20, s3, s11
	v_add_u32_e32 v7, 1, v3
	v_cmp_lt_u32_e32 vcc, 13, v2
	v_mov_b32_e32 v4, 0
	v_pk_mov_b32 v[2:3], v[0:1], v[0:1] op_sel:[0,1]
	s_and_saveexec_b64 s[10:11], vcc
	s_cbranch_execz .LBB8_6
; %bb.3:
	v_and_b32_e32 v8, -8, v7
	s_mov_b32 s21, 0
	v_lshl_add_u32 v9, v0, 2, 0
	s_mov_b64 s[12:13], 0
	v_mov_b32_e32 v10, s20
	v_mov_b32_e32 v5, 0
	v_pk_mov_b32 v[2:3], v[0:1], v[0:1] op_sel:[0,1]
.LBB8_4:                                ; =>This Inner Loop Header: Depth=1
	v_mov_b32_e32 v4, v2
	v_lshlrev_b64 v[26:27], 2, v[4:5]
	v_add_u32_e32 v12, 0x80, v3
	v_mov_b32_e32 v13, v5
	v_add_co_u32_e32 v26, vcc, s19, v26
	v_lshlrev_b64 v[12:13], 2, v[12:13]
	v_addc_co_u32_e32 v27, vcc, v10, v27, vcc
	v_add_u32_e32 v14, 0x100, v3
	v_mov_b32_e32 v15, v5
	v_add_co_u32_e32 v12, vcc, s19, v12
	v_lshlrev_b64 v[14:15], 2, v[14:15]
	v_addc_co_u32_e32 v13, vcc, v10, v13, vcc
	v_add_u32_e32 v16, 0x180, v3
	v_mov_b32_e32 v17, v5
	v_add_co_u32_e32 v14, vcc, s19, v14
	v_lshlrev_b64 v[16:17], 2, v[16:17]
	v_addc_co_u32_e32 v15, vcc, v10, v15, vcc
	v_add_u32_e32 v18, 0x200, v3
	v_mov_b32_e32 v19, v5
	v_add_co_u32_e32 v16, vcc, s19, v16
	v_lshlrev_b64 v[18:19], 2, v[18:19]
	v_addc_co_u32_e32 v17, vcc, v10, v17, vcc
	v_add_u32_e32 v20, 0x280, v3
	v_mov_b32_e32 v21, v5
	v_add_co_u32_e32 v18, vcc, s19, v18
	v_lshlrev_b64 v[20:21], 2, v[20:21]
	v_addc_co_u32_e32 v19, vcc, v10, v19, vcc
	v_add_u32_e32 v22, 0x300, v3
	v_mov_b32_e32 v23, v5
	v_add_co_u32_e32 v20, vcc, s19, v20
	v_lshlrev_b64 v[22:23], 2, v[22:23]
	v_addc_co_u32_e32 v21, vcc, v10, v21, vcc
	v_add_u32_e32 v24, 0x380, v3
	v_mov_b32_e32 v25, v5
	v_add_co_u32_e32 v22, vcc, s19, v22
	v_lshlrev_b64 v[24:25], 2, v[24:25]
	v_addc_co_u32_e32 v23, vcc, v10, v23, vcc
	v_mov_b32_e32 v4, v3
	v_add_co_u32_e32 v24, vcc, s19, v24
	v_lshlrev_b64 v[28:29], 2, v[4:5]
	v_addc_co_u32_e32 v25, vcc, v10, v25, vcc
	v_add_u32_e32 v4, 0x80, v2
	v_add_co_u32_e32 v28, vcc, s19, v28
	v_addc_co_u32_e32 v29, vcc, v10, v29, vcc
	global_load_dword v1, v[26:27], off
	v_lshlrev_b64 v[26:27], 2, v[4:5]
	v_add_u32_e32 v4, 0x100, v2
	v_add_co_u32_e32 v26, vcc, s19, v26
	v_addc_co_u32_e32 v27, vcc, v10, v27, vcc
	v_lshlrev_b64 v[30:31], 2, v[4:5]
	v_add_u32_e32 v4, 0x180, v2
	global_load_dword v11, v[28:29], off
	global_load_dword v32, v[26:27], off
	;; [unrolled: 1-line block ×3, first 2 shown]
	v_add_co_u32_e32 v12, vcc, s19, v30
	v_addc_co_u32_e32 v13, vcc, v10, v31, vcc
	v_lshlrev_b64 v[26:27], 2, v[4:5]
	v_add_u32_e32 v4, 0x200, v2
	v_add_co_u32_e32 v26, vcc, s19, v26
	v_addc_co_u32_e32 v27, vcc, v10, v27, vcc
	v_lshlrev_b64 v[28:29], 2, v[4:5]
	v_add_u32_e32 v4, 0x280, v2
	global_load_dword v30, v[12:13], off
	global_load_dword v31, v[14:15], off
	;; [unrolled: 1-line block ×4, first 2 shown]
	v_add_co_u32_e32 v12, vcc, s19, v28
	v_addc_co_u32_e32 v13, vcc, v10, v29, vcc
	v_lshlrev_b64 v[14:15], 2, v[4:5]
	v_add_u32_e32 v4, 0x300, v2
	v_add_co_u32_e32 v14, vcc, s19, v14
	v_addc_co_u32_e32 v15, vcc, v10, v15, vcc
	v_lshlrev_b64 v[16:17], 2, v[4:5]
	v_add_u32_e32 v4, 0x380, v2
	global_load_dword v26, v[12:13], off
	global_load_dword v27, v[18:19], off
	;; [unrolled: 1-line block ×4, first 2 shown]
	v_add_co_u32_e32 v12, vcc, s19, v16
	v_addc_co_u32_e32 v13, vcc, v10, v17, vcc
	v_lshlrev_b64 v[14:15], 2, v[4:5]
	v_add_co_u32_e32 v14, vcc, s19, v14
	v_addc_co_u32_e32 v15, vcc, v10, v15, vcc
	global_load_dword v16, v[12:13], off
	global_load_dword v17, v[22:23], off
	;; [unrolled: 1-line block ×4, first 2 shown]
	v_add_u32_e32 v8, -8, v8
	s_add_i32 s21, s21, 16
	v_cmp_eq_u32_e32 vcc, 0, v8
	v_add_u32_e32 v3, 0x400, v3
	v_mov_b32_e32 v4, s21
	s_or_b64 s[12:13], vcc, s[12:13]
	v_add_u32_e32 v2, 0x400, v2
	s_waitcnt vmcnt(14)
	ds_write2st64_b32 v9, v1, v11 offset1:1
	s_waitcnt vmcnt(12)
	ds_write2st64_b32 v9, v32, v33 offset0:2 offset1:3
	s_waitcnt vmcnt(10)
	ds_write2st64_b32 v9, v30, v31 offset0:4 offset1:5
	s_waitcnt vmcnt(8)
	ds_write2st64_b32 v9, v34, v35 offset0:6 offset1:7
	s_waitcnt vmcnt(6)
	ds_write2st64_b32 v9, v26, v27 offset0:8 offset1:9
	s_waitcnt vmcnt(4)
	ds_write2st64_b32 v9, v28, v29 offset0:10 offset1:11
	s_waitcnt vmcnt(2)
	ds_write2st64_b32 v9, v16, v17 offset0:12 offset1:13
	s_waitcnt vmcnt(0)
	ds_write2st64_b32 v9, v18, v19 offset0:14 offset1:15
	v_add_u32_e32 v9, 0x1000, v9
	s_andn2_b64 exec, exec, s[12:13]
	s_cbranch_execnz .LBB8_4
; %bb.5:
	s_or_b64 exec, exec, s[12:13]
.LBB8_6:
	s_or_b64 exec, exec, s[10:11]
	v_and_b32_e32 v1, 7, v7
	v_cmp_ne_u32_e32 vcc, 0, v1
	s_and_saveexec_b64 s[10:11], vcc
	s_cbranch_execz .LBB8_9
; %bb.7:
	v_lshlrev_b32_e32 v5, 2, v0
	v_lshl_or_b32 v4, v4, 8, v5
	v_add_u32_e32 v7, 0, v4
	s_mov_b64 s[12:13], 0
	v_mov_b32_e32 v8, s20
	v_mov_b32_e32 v5, 0
.LBB8_8:                                ; =>This Inner Loop Header: Depth=1
	v_mov_b32_e32 v4, v2
	v_lshlrev_b64 v[10:11], 2, v[4:5]
	v_mov_b32_e32 v4, v3
	v_add_co_u32_e32 v10, vcc, s19, v10
	v_addc_co_u32_e32 v11, vcc, v8, v11, vcc
	v_lshlrev_b64 v[12:13], 2, v[4:5]
	v_add_co_u32_e32 v12, vcc, s19, v12
	v_addc_co_u32_e32 v13, vcc, v8, v13, vcc
	global_load_dword v4, v[10:11], off
	global_load_dword v9, v[12:13], off
	v_add_u32_e32 v1, -1, v1
	v_cmp_eq_u32_e32 vcc, 0, v1
	v_add_u32_e32 v2, 0x80, v2
	v_add_u32_e32 v3, 0x80, v3
	s_or_b64 s[12:13], vcc, s[12:13]
	s_waitcnt vmcnt(0)
	ds_write2st64_b32 v7, v4, v9 offset1:1
	v_add_u32_e32 v7, 0x200, v7
	s_andn2_b64 exec, exec, s[12:13]
	s_cbranch_execnz .LBB8_8
.LBB8_9:
	s_or_b64 exec, exec, s[10:11]
	v_add_u32_e32 v1, 1, v6
	v_and_b32_e32 v3, 0x7fffffe, v1
	v_cmp_ne_u32_e32 vcc, v1, v3
	v_lshl_or_b32 v2, v3, 6, v0
	s_orn2_b64 s[10:11], vcc, exec
.LBB8_10:
	s_or_b64 exec, exec, s[8:9]
	s_and_b64 exec, exec, s[10:11]
	s_cbranch_execz .LBB8_13
; %bb.11:
	s_lshl_b64 s[8:9], s[4:5], 3
	v_mov_b32_e32 v3, 0
	s_add_u32 s2, s2, s8
	v_lshlrev_b64 v[4:5], 2, v[2:3]
	s_addc_u32 s3, s3, s9
	v_mov_b32_e32 v1, s3
	v_add_co_u32_e32 v4, vcc, s2, v4
	v_addc_co_u32_e32 v5, vcc, v1, v5, vcc
	v_lshl_add_u32 v1, v2, 2, 0
	s_mov_b64 s[2:3], 0
.LBB8_12:                               ; =>This Inner Loop Header: Depth=1
	global_load_dword v3, v[4:5], off
	v_add_co_u32_e32 v4, vcc, 0x100, v4
	v_add_u32_e32 v2, 64, v2
	v_addc_co_u32_e32 v5, vcc, 0, v5, vcc
	v_cmp_le_i32_e32 vcc, s18, v2
	s_or_b64 s[2:3], vcc, s[2:3]
	s_waitcnt vmcnt(0)
	ds_write_b32 v1, v3
	v_add_u32_e32 v1, 0x100, v1
	s_andn2_b64 exec, exec, s[2:3]
	s_cbranch_execnz .LBB8_12
.LBB8_13:
	s_or_b64 exec, exec, s[6:7]
	v_mov_b32_e32 v1, 0
	s_waitcnt lgkmcnt(0)
	; wave barrier
	s_waitcnt lgkmcnt(0)
	ds_read_b32 v1, v1
	s_cmp_lt_i32 s17, 2
	s_cbranch_scc1 .LBB8_21
; %bb.14:
	s_add_i32 s2, s17, -1
	s_add_i32 s3, s17, -2
	s_cmp_lt_u32 s3, 7
	s_cbranch_scc1 .LBB8_18
; %bb.15:
	s_mov_b32 s6, 0
	s_add_i32 s3, 0, 8
	s_and_b32 s5, s2, -8
.LBB8_16:                               ; =>This Inner Loop Header: Depth=1
	v_mov_b32_e32 v8, s3
	ds_read2_b32 v[2:3], v8 offset1:2
	ds_read2_b32 v[4:5], v8 offset0:4 offset1:6
	ds_read2_b32 v[6:7], v8 offset0:8 offset1:10
	;; [unrolled: 1-line block ×3, first 2 shown]
	s_mov_b32 s7, s6
	s_waitcnt lgkmcnt(3)
	v_max3_f32 v1, v1, v2, v3
	s_waitcnt lgkmcnt(2)
	v_max3_f32 v1, v1, v4, v5
	s_add_i32 s3, s3, 64
	s_add_i32 s6, s6, 8
	s_waitcnt lgkmcnt(1)
	v_max3_f32 v1, v1, v6, v7
	s_cmp_eq_u32 s5, s6
	s_waitcnt lgkmcnt(0)
	v_max3_f32 v1, v1, v8, v9
	s_cbranch_scc0 .LBB8_16
; %bb.17:
	s_add_i32 s3, s7, 9
	s_and_b32 s2, s2, 7
	s_cmp_eq_u32 s2, 0
	s_cbranch_scc0 .LBB8_19
	s_branch .LBB8_21
.LBB8_18:
	s_mov_b32 s3, 1
	s_and_b32 s2, s2, 7
	s_cmp_eq_u32 s2, 0
	s_cbranch_scc1 .LBB8_21
.LBB8_19:
	s_lshl_b32 s3, s3, 3
	s_add_i32 s3, s3, 0
.LBB8_20:                               ; =>This Inner Loop Header: Depth=1
	v_mov_b32_e32 v2, s3
	ds_read_b32 v2, v2
	s_waitcnt lgkmcnt(1)
	v_max_f32_e32 v1, v1, v1
	s_add_i32 s3, s3, 8
	s_add_i32 s2, s2, -1
	s_cmp_lg_u32 s2, 0
	s_waitcnt lgkmcnt(0)
	v_max_f32_e32 v2, v2, v2
	v_max_f32_e32 v1, v1, v2
	s_cbranch_scc1 .LBB8_20
.LBB8_21:
	s_cmp_lt_i32 s17, 1
	s_cbranch_scc1 .LBB8_26
; %bb.22:
	s_lshl_b32 s2, s4, 6
	s_ashr_i32 s3, s2, 31
	s_lshl_b64 s[2:3], s[2:3], 2
	s_add_u32 s18, s0, s2
	s_addc_u32 s19, s1, s3
	s_cmp_lt_u32 s17, 8
	v_mov_b32_e32 v6, 0
	s_cbranch_scc1 .LBB8_27
; %bb.23:
	s_and_b32 s20, s17, 0x7ffffff8
	v_or_b32_e32 v2, 0x1c0, v0
	s_mov_b32 s21, 0
	v_mov_b32_e32 v5, 0
	s_mov_b32 s22, 0x3fb8aa3b
	s_mov_b32 s23, 0xc2ce8ed0
	;; [unrolled: 1-line block ×3, first 2 shown]
	v_mov_b32_e32 v8, 0x7f800000
	v_mov_b32_e32 v9, s19
	s_mov_b32 s25, 0
	v_mov_b32_e32 v7, 0
	v_mov_b32_e32 v6, 0
.LBB8_24:                               ; =>This Inner Loop Header: Depth=1
	v_add_u32_e32 v4, 0xfffffe40, v2
	v_lshlrev_b64 v[26:27], 2, v[4:5]
	v_mov_b32_e32 v3, v5
	v_add_co_u32_e32 v26, vcc, s18, v26
	v_lshlrev_b64 v[28:29], 2, v[2:3]
	v_addc_co_u32_e32 v27, vcc, v9, v27, vcc
	v_add_u32_e32 v4, 0xfffffe80, v2
	v_add_co_u32_e32 v28, vcc, s18, v28
	v_mov_b32_e32 v22, s21
	v_lshlrev_b64 v[30:31], 2, v[4:5]
	v_addc_co_u32_e32 v29, vcc, v9, v29, vcc
	ds_read2_b64 v[10:13], v22 offset1:1
	ds_read2_b64 v[14:17], v22 offset0:2 offset1:3
	ds_read2_b64 v[18:21], v22 offset0:4 offset1:5
	;; [unrolled: 1-line block ×3, first 2 shown]
	v_add_u32_e32 v4, 0xfffffec0, v2
	global_load_dword v3, v[26:27], off
	v_add_co_u32_e32 v26, vcc, s18, v30
	v_addc_co_u32_e32 v27, vcc, v9, v31, vcc
	v_lshlrev_b64 v[30:31], 2, v[4:5]
	v_add_u32_e32 v4, 0xffffff00, v2
	v_add_co_u32_e32 v30, vcc, s18, v30
	v_addc_co_u32_e32 v31, vcc, v9, v31, vcc
	v_lshlrev_b64 v[32:33], 2, v[4:5]
	v_add_u32_e32 v4, 0xffffff40, v2
	global_load_dword v34, v[26:27], off
	global_load_dword v35, v[30:31], off
	v_add_co_u32_e32 v26, vcc, s18, v32
	v_addc_co_u32_e32 v27, vcc, v9, v33, vcc
	v_lshlrev_b64 v[30:31], 2, v[4:5]
	v_add_u32_e32 v4, 0xffffff80, v2
	v_add_co_u32_e32 v30, vcc, s18, v30
	v_addc_co_u32_e32 v31, vcc, v9, v31, vcc
	v_lshlrev_b64 v[32:33], 2, v[4:5]
	global_load_dword v36, v[26:27], off
	v_subrev_u32_e32 v4, 64, v2
	global_load_dword v28, v[28:29], off
	v_add_co_u32_e32 v26, vcc, s18, v32
	v_addc_co_u32_e32 v27, vcc, v9, v33, vcc
	global_load_dword v42, v[30:31], off
	s_waitcnt lgkmcnt(3)
	v_sub_f32_e32 v12, v12, v1
	global_load_dword v26, v[26:27], off
	v_lshlrev_b64 v[30:31], 2, v[4:5]
	v_add_co_u32_e32 v30, vcc, s18, v30
	v_addc_co_u32_e32 v31, vcc, v9, v31, vcc
	global_load_dword v30, v[30:31], off
	s_waitcnt lgkmcnt(2)
	v_sub_f32_e32 v14, v14, v1
	v_sub_f32_e32 v10, v10, v1
	v_mul_f32_e32 v38, 0x3fb8aa3b, v12
	v_mul_f32_e32 v39, 0x3fb8aa3b, v14
	s_waitcnt lgkmcnt(1)
	v_sub_f32_e32 v18, v18, v1
	s_waitcnt lgkmcnt(0)
	v_sub_f32_e32 v22, v22, v1
	v_mul_f32_e32 v37, 0x3fb8aa3b, v10
	v_fma_f32 v45, v12, s22, -v38
	v_rndne_f32_e32 v46, v38
	v_fma_f32 v47, v14, s22, -v39
	v_rndne_f32_e32 v48, v39
	v_sub_f32_e32 v16, v16, v1
	v_sub_f32_e32 v20, v20, v1
	v_mul_f32_e32 v41, 0x3fb8aa3b, v18
	v_mul_f32_e32 v32, 0x3fb8aa3b, v22
	v_fma_f32 v33, v10, s22, -v37
	v_rndne_f32_e32 v44, v37
	v_fmac_f32_e32 v45, 0x32a5705f, v12
	v_sub_f32_e32 v38, v38, v46
	v_fmac_f32_e32 v47, 0x32a5705f, v14
	v_sub_f32_e32 v39, v39, v48
	v_mul_f32_e32 v40, 0x3fb8aa3b, v16
	v_mul_f32_e32 v43, 0x3fb8aa3b, v20
	v_fma_f32 v27, v18, s22, -v41
	v_rndne_f32_e32 v31, v41
	v_fmac_f32_e32 v33, 0x32a5705f, v10
	v_sub_f32_e32 v37, v37, v44
	v_add_f32_e32 v38, v38, v45
	v_fma_f32 v45, v22, s22, -v32
	v_add_f32_e32 v39, v39, v47
	v_rndne_f32_e32 v47, v32
	v_fma_f32 v49, v16, s22, -v40
	v_rndne_f32_e32 v50, v40
	v_fma_f32 v29, v20, s22, -v43
	v_add_f32_e32 v33, v37, v33
	v_rndne_f32_e32 v37, v43
	v_fmac_f32_e32 v27, 0x32a5705f, v18
	v_sub_f32_e32 v41, v41, v31
	v_fmac_f32_e32 v45, 0x32a5705f, v22
	v_sub_f32_e32 v32, v32, v47
	;; [unrolled: 2-line block ×3, first 2 shown]
	v_add_f32_e32 v27, v41, v27
	v_cvt_i32_f32_e32 v44, v44
	v_fmac_f32_e32 v29, 0x32a5705f, v20
	v_sub_f32_e32 v43, v43, v37
	v_add_f32_e32 v32, v32, v45
	v_exp_f32_e32 v33, v33
	v_add_f32_e32 v40, v40, v49
	v_cvt_i32_f32_e32 v46, v46
	v_cvt_i32_f32_e32 v31, v31
	;; [unrolled: 1-line block ×3, first 2 shown]
	v_add_f32_e32 v29, v43, v29
	v_exp_f32_e32 v38, v38
	v_exp_f32_e32 v27, v27
	v_exp_f32_e32 v32, v32
	v_sub_f32_e32 v24, v24, v1
	v_cvt_i32_f32_e32 v48, v48
	v_cvt_i32_f32_e32 v50, v50
	;; [unrolled: 1-line block ×3, first 2 shown]
	v_exp_f32_e32 v39, v39
	v_exp_f32_e32 v40, v40
	;; [unrolled: 1-line block ×3, first 2 shown]
	v_mul_f32_e32 v4, 0x3fb8aa3b, v24
	v_fma_f32 v49, v24, s22, -v4
	v_rndne_f32_e32 v41, v4
	v_ldexp_f32 v33, v33, v44
	v_cmp_ngt_f32_e64 s[12:13], s23, v10
	v_fmac_f32_e32 v49, 0x32a5705f, v24
	v_sub_f32_e32 v4, v4, v41
	v_ldexp_f32 v38, v38, v46
	v_cmp_ngt_f32_e32 vcc, s23, v12
	v_ldexp_f32 v27, v27, v31
	v_ldexp_f32 v31, v32, v47
	v_cndmask_b32_e64 v32, 0, v33, s[12:13]
	v_cmp_nlt_f32_e64 s[12:13], s24, v10
	v_add_f32_e32 v4, v4, v49
	v_ldexp_f32 v39, v39, v48
	v_cmp_ngt_f32_e64 s[0:1], s23, v14
	v_ldexp_f32 v40, v40, v50
	v_cmp_ngt_f32_e64 s[2:3], s23, v16
	v_cmp_ngt_f32_e64 s[4:5], s23, v18
	v_ldexp_f32 v29, v29, v37
	v_cmp_ngt_f32_e64 s[6:7], s23, v20
	v_cmp_ngt_f32_e64 s[8:9], s23, v22
	v_cndmask_b32_e32 v33, 0, v38, vcc
	v_cmp_nlt_f32_e32 vcc, s24, v12
	v_cndmask_b32_e64 v10, v8, v32, s[12:13]
	v_cvt_i32_f32_e32 v41, v41
	v_exp_f32_e32 v4, v4
	v_cndmask_b32_e64 v12, 0, v39, s[0:1]
	v_cmp_nlt_f32_e64 s[0:1], s24, v14
	v_cndmask_b32_e64 v14, 0, v40, s[2:3]
	v_cmp_nlt_f32_e64 s[2:3], s24, v16
	;; [unrolled: 2-line block ×5, first 2 shown]
	v_cndmask_b32_e32 v22, v8, v33, vcc
	v_fmac_f32_e32 v7, v10, v11
	s_waitcnt vmcnt(7)
	v_fmac_f32_e32 v6, v3, v10
	v_cndmask_b32_e64 v12, v8, v12, s[0:1]
	v_fmac_f32_e32 v7, v22, v13
	s_waitcnt vmcnt(6)
	v_fmac_f32_e32 v6, v34, v22
	v_cndmask_b32_e64 v14, v8, v14, s[2:3]
	;; [unrolled: 4-line block ×3, first 2 shown]
	v_fmac_f32_e32 v7, v14, v17
	s_waitcnt vmcnt(4)
	v_fmac_f32_e32 v6, v36, v14
	v_ldexp_f32 v4, v4, v41
	v_cmp_ngt_f32_e64 s[10:11], s23, v24
	v_cndmask_b32_e64 v18, v8, v18, s[6:7]
	v_fmac_f32_e32 v7, v16, v19
	s_waitcnt vmcnt(2)
	v_fmac_f32_e32 v6, v42, v16
	v_cndmask_b32_e64 v4, 0, v4, s[10:11]
	v_cmp_nlt_f32_e64 s[10:11], s24, v24
	v_cndmask_b32_e64 v20, v8, v20, s[8:9]
	v_fmac_f32_e32 v7, v18, v21
	s_waitcnt vmcnt(1)
	v_fmac_f32_e32 v6, v26, v18
	s_add_i32 s25, s25, 8
	s_add_i32 s21, s21, 64
	v_cndmask_b32_e64 v4, v8, v4, s[10:11]
	v_fmac_f32_e32 v7, v20, v23
	s_waitcnt vmcnt(0)
	v_fmac_f32_e32 v6, v30, v20
	s_cmp_eq_u32 s20, s25
	v_add_u32_e32 v2, 0x200, v2
	v_fmac_f32_e32 v7, v4, v25
	v_fmac_f32_e32 v6, v28, v4
	s_cbranch_scc0 .LBB8_24
; %bb.25:
	s_and_b32 s0, s17, 7
	s_cmp_eq_u32 s0, 0
	s_cbranch_scc0 .LBB8_28
	s_branch .LBB8_30
.LBB8_26:
	s_waitcnt lgkmcnt(0)
	v_mov_b32_e32 v1, 0x7fc00000
	s_branch .LBB8_31
.LBB8_27:
	s_mov_b32 s20, 0
	v_mov_b32_e32 v7, 0
	s_and_b32 s0, s17, 7
	s_cmp_eq_u32 s0, 0
	s_cbranch_scc1 .LBB8_30
.LBB8_28:
	s_lshl_b32 s1, s20, 3
	v_lshl_or_b32 v2, s20, 6, v0
	s_add_i32 s1, s1, 0
	s_mov_b32 s2, 0x3fb8aa3b
	s_mov_b32 s3, 0xc2ce8ed0
	;; [unrolled: 1-line block ×3, first 2 shown]
	v_mov_b32_e32 v4, 0x7f800000
	v_mov_b32_e32 v3, 0
	;; [unrolled: 1-line block ×3, first 2 shown]
.LBB8_29:                               ; =>This Inner Loop Header: Depth=1
	v_lshlrev_b64 v[8:9], 2, v[2:3]
	v_add_co_u32_e32 v8, vcc, s18, v8
	v_addc_co_u32_e32 v9, vcc, v5, v9, vcc
	global_load_dword v10, v[8:9], off
	v_mov_b32_e32 v8, s1
	ds_read_b64 v[8:9], v8
	s_add_i32 s1, s1, 8
	s_add_i32 s0, s0, -1
	v_add_u32_e32 v2, 64, v2
	s_cmp_lg_u32 s0, 0
	s_waitcnt lgkmcnt(0)
	v_sub_f32_e32 v8, v8, v1
	v_mul_f32_e32 v11, 0x3fb8aa3b, v8
	v_fma_f32 v12, v8, s2, -v11
	v_rndne_f32_e32 v13, v11
	v_fmac_f32_e32 v12, 0x32a5705f, v8
	v_sub_f32_e32 v11, v11, v13
	v_add_f32_e32 v11, v11, v12
	v_cvt_i32_f32_e32 v13, v13
	v_exp_f32_e32 v11, v11
	v_cmp_ngt_f32_e32 vcc, s3, v8
	v_ldexp_f32 v11, v11, v13
	v_cndmask_b32_e32 v11, 0, v11, vcc
	v_cmp_nlt_f32_e32 vcc, s4, v8
	v_cndmask_b32_e32 v8, v4, v11, vcc
	v_fmac_f32_e32 v7, v8, v9
	s_waitcnt vmcnt(0)
	v_fmac_f32_e32 v6, v10, v8
	s_cbranch_scc1 .LBB8_29
.LBB8_30:
	s_waitcnt lgkmcnt(0)
	v_div_scale_f32 v1, s[0:1], v7, v7, v6
	v_rcp_f32_e32 v2, v1
	v_div_scale_f32 v3, vcc, v6, v7, v6
	v_fma_f32 v4, -v1, v2, 1.0
	v_fmac_f32_e32 v2, v4, v2
	v_mul_f32_e32 v4, v3, v2
	v_fma_f32 v5, -v1, v4, v3
	v_fmac_f32_e32 v4, v5, v2
	v_fma_f32 v1, -v1, v4, v3
	v_div_fmas_f32 v1, v1, v2, v4
	v_div_fixup_f32 v1, v1, v7, v6
.LBB8_31:
	s_lshl_b32 s0, s16, 6
	s_ashr_i32 s1, s0, 31
	s_lshl_b64 s[0:1], s[0:1], 2
	s_add_u32 s0, s14, s0
	s_addc_u32 s1, s15, s1
	v_lshlrev_b32_e32 v0, 2, v0
	global_store_dword v0, v1, s[0:1]
	s_endpgm
	.section	.rodata,"a",@progbits
	.p2align	6, 0x0
	.amdhsa_kernel _ZL26flash_attn_combine_resultsILi64EEvPKfPK15HIP_vector_typeIfLj2EEPfi
		.amdhsa_group_segment_fixed_size 0
		.amdhsa_private_segment_fixed_size 0
		.amdhsa_kernarg_size 288
		.amdhsa_user_sgpr_count 6
		.amdhsa_user_sgpr_private_segment_buffer 1
		.amdhsa_user_sgpr_dispatch_ptr 0
		.amdhsa_user_sgpr_queue_ptr 0
		.amdhsa_user_sgpr_kernarg_segment_ptr 1
		.amdhsa_user_sgpr_dispatch_id 0
		.amdhsa_user_sgpr_flat_scratch_init 0
		.amdhsa_user_sgpr_kernarg_preload_length 0
		.amdhsa_user_sgpr_kernarg_preload_offset 0
		.amdhsa_user_sgpr_private_segment_size 0
		.amdhsa_uses_dynamic_stack 0
		.amdhsa_system_sgpr_private_segment_wavefront_offset 0
		.amdhsa_system_sgpr_workgroup_id_x 1
		.amdhsa_system_sgpr_workgroup_id_y 1
		.amdhsa_system_sgpr_workgroup_id_z 1
		.amdhsa_system_sgpr_workgroup_info 0
		.amdhsa_system_vgpr_workitem_id 0
		.amdhsa_next_free_vgpr 51
		.amdhsa_next_free_sgpr 26
		.amdhsa_accum_offset 52
		.amdhsa_reserve_vcc 1
		.amdhsa_reserve_flat_scratch 0
		.amdhsa_float_round_mode_32 0
		.amdhsa_float_round_mode_16_64 0
		.amdhsa_float_denorm_mode_32 3
		.amdhsa_float_denorm_mode_16_64 3
		.amdhsa_dx10_clamp 1
		.amdhsa_ieee_mode 1
		.amdhsa_fp16_overflow 0
		.amdhsa_tg_split 0
		.amdhsa_exception_fp_ieee_invalid_op 0
		.amdhsa_exception_fp_denorm_src 0
		.amdhsa_exception_fp_ieee_div_zero 0
		.amdhsa_exception_fp_ieee_overflow 0
		.amdhsa_exception_fp_ieee_underflow 0
		.amdhsa_exception_fp_ieee_inexact 0
		.amdhsa_exception_int_div_zero 0
	.end_amdhsa_kernel
	.section	.text._ZL26flash_attn_combine_resultsILi64EEvPKfPK15HIP_vector_typeIfLj2EEPfi,"axG",@progbits,_ZL26flash_attn_combine_resultsILi64EEvPKfPK15HIP_vector_typeIfLj2EEPfi,comdat
.Lfunc_end8:
	.size	_ZL26flash_attn_combine_resultsILi64EEvPKfPK15HIP_vector_typeIfLj2EEPfi, .Lfunc_end8-_ZL26flash_attn_combine_resultsILi64EEvPKfPK15HIP_vector_typeIfLj2EEPfi
                                        ; -- End function
	.section	.AMDGPU.csdata,"",@progbits
; Kernel info:
; codeLenInByte = 3028
; NumSgprs: 30
; NumVgprs: 51
; NumAgprs: 0
; TotalNumVgprs: 51
; ScratchSize: 0
; MemoryBound: 0
; FloatMode: 240
; IeeeMode: 1
; LDSByteSize: 0 bytes/workgroup (compile time only)
; SGPRBlocks: 3
; VGPRBlocks: 6
; NumSGPRsForWavesPerEU: 30
; NumVGPRsForWavesPerEU: 51
; AccumOffset: 52
; Occupancy: 8
; WaveLimiterHint : 0
; COMPUTE_PGM_RSRC2:SCRATCH_EN: 0
; COMPUTE_PGM_RSRC2:USER_SGPR: 6
; COMPUTE_PGM_RSRC2:TRAP_HANDLER: 0
; COMPUTE_PGM_RSRC2:TGID_X_EN: 1
; COMPUTE_PGM_RSRC2:TGID_Y_EN: 1
; COMPUTE_PGM_RSRC2:TGID_Z_EN: 1
; COMPUTE_PGM_RSRC2:TIDIG_COMP_CNT: 0
; COMPUTE_PGM_RSRC3_GFX90A:ACCUM_OFFSET: 12
; COMPUTE_PGM_RSRC3_GFX90A:TG_SPLIT: 0
	.section	.text._ZL18flash_attn_ext_f16ILi80ELi80ELi16ELi1ELb0ELb0EEvPKcS1_S1_S1_S1_PKiPfP15HIP_vector_typeIfLj2EEffffjfiS5_IjLj3EEiiiiiiiiiiiliiliiiiil,"axG",@progbits,_ZL18flash_attn_ext_f16ILi80ELi80ELi16ELi1ELb0ELb0EEvPKcS1_S1_S1_S1_PKiPfP15HIP_vector_typeIfLj2EEffffjfiS5_IjLj3EEiiiiiiiiiiiliiliiiiil,comdat
	.globl	_ZL18flash_attn_ext_f16ILi80ELi80ELi16ELi1ELb0ELb0EEvPKcS1_S1_S1_S1_PKiPfP15HIP_vector_typeIfLj2EEffffjfiS5_IjLj3EEiiiiiiiiiiiliiliiiiil ; -- Begin function _ZL18flash_attn_ext_f16ILi80ELi80ELi16ELi1ELb0ELb0EEvPKcS1_S1_S1_S1_PKiPfP15HIP_vector_typeIfLj2EEffffjfiS5_IjLj3EEiiiiiiiiiiiliiliiiiil
	.p2align	8
	.type	_ZL18flash_attn_ext_f16ILi80ELi80ELi16ELi1ELb0ELb0EEvPKcS1_S1_S1_S1_PKiPfP15HIP_vector_typeIfLj2EEffffjfiS5_IjLj3EEiiiiiiiiiiiliiliiiiil,@function
_ZL18flash_attn_ext_f16ILi80ELi80ELi16ELi1ELb0ELb0EEvPKcS1_S1_S1_S1_PKiPfP15HIP_vector_typeIfLj2EEffffjfiS5_IjLj3EEiiiiiiiiiiiliiliiiiil: ; @_ZL18flash_attn_ext_f16ILi80ELi80ELi16ELi1ELb0ELb0EEvPKcS1_S1_S1_S1_PKiPfP15HIP_vector_typeIfLj2EEffffjfiS5_IjLj3EEiiiiiiiiiiiliiliiiiil
; %bb.0:
	s_load_dwordx2 s[14:15], s[4:5], 0x80
	s_load_dwordx4 s[24:27], s[4:5], 0x64
	s_add_u32 flat_scratch_lo, s6, s9
	s_addc_u32 flat_scratch_hi, s7, 0
	s_add_u32 s0, s0, s9
	s_addc_u32 s1, s1, 0
	s_waitcnt lgkmcnt(0)
	s_abs_i32 s6, s15
	v_cvt_f32_u32_e32 v1, s6
	s_sub_i32 s10, 0, s6
	s_abs_i32 s9, s25
	s_xor_b32 s7, s25, s15
	v_rcp_iflag_f32_e32 v1, v1
	s_ashr_i32 s7, s7, 31
                                        ; implicit-def: $vgpr169 : SGPR spill to VGPR lane
	s_load_dword s65, s[4:5], 0xd0
	s_mov_b32 s64, s8
	v_mul_f32_e32 v1, 0x4f7ffffe, v1
	v_cvt_u32_f32_e32 v1, v1
	s_mov_b32 s8, 0
	s_waitcnt lgkmcnt(0)
	v_cvt_f32_u32_e32 v2, s65
	v_cvt_f32_ubyte0_e32 v3, 0
	v_readfirstlane_b32 s11, v1
	s_mul_i32 s10, s10, s11
	s_mul_hi_u32 s10, s11, s10
	s_add_i32 s11, s11, s10
	s_mul_hi_u32 s10, s9, s11
	s_mul_i32 s11, s10, s6
	s_sub_i32 s9, s9, s11
	s_add_i32 s12, s10, 1
	s_sub_i32 s11, s9, s6
	s_cmp_ge_u32 s9, s6
	s_cselect_b32 s10, s12, s10
	s_cselect_b32 s9, s11, s9
	s_add_i32 s11, s10, 1
	s_cmp_ge_u32 s9, s6
	s_cselect_b32 s6, s11, s10
	s_add_i32 s9, s14, 63
	s_xor_b32 s6, s6, s7
	s_ashr_i32 s10, s9, 31
	s_sub_i32 s7, s6, s7
	s_lshr_b32 s6, s10, 26
	s_add_i32 s9, s9, s6
	s_add_i32 s6, s24, 15
	s_lshr_b32 s6, s6, 4
	s_ashr_i32 s9, s9, 6
	v_writelane_b32 v169, s6, 0
	v_writelane_b32 v169, s9, 1
	s_mul_i32 s6, s6, s9
	v_writelane_b32 v169, s7, 2
	v_writelane_b32 v169, s6, 3
	s_mul_i32 s7, s6, s7
	s_mov_b32 s6, s14
	v_writelane_b32 v169, s6, 4
	v_writelane_b32 v169, s7, 5
	s_mul_i32 s6, s7, s15
	s_mul_i32 s10, s6, s26
	v_writelane_b32 v169, s7, 6
	s_ashr_i32 s11, s10, 31
	v_writelane_b32 v169, s6, 7
	s_mul_i32 s6, s11, s64
	s_mul_hi_u32 s7, s10, s64
	s_add_i32 s9, s7, s6
	s_mul_i32 s12, s10, s64
	s_cmp_lg_u64 s[8:9], 0
	s_cbranch_scc0 .LBB9_2
; %bb.1:
	v_madmk_f32 v1, v3, 0x4f800000, v2
	v_rcp_f32_e32 v1, v1
	s_sub_u32 s8, 0, s65
	s_subb_u32 s13, 0, 0
	s_mov_b64 s[6:7], 0
	v_mul_f32_e32 v1, 0x5f7ffffc, v1
	v_mul_f32_e32 v4, 0x2f800000, v1
	v_trunc_f32_e32 v4, v4
	v_madmk_f32 v1, v4, 0xcf800000, v1
	v_cvt_u32_f32_e32 v4, v4
	v_cvt_u32_f32_e32 v1, v1
	v_readfirstlane_b32 s14, v4
	v_readfirstlane_b32 s15, v1
	s_mul_hi_u32 s17, s8, s15
	s_mul_i32 s18, s8, s14
	s_mul_i32 s16, s13, s15
	s_add_i32 s17, s17, s18
	s_add_i32 s17, s17, s16
	s_mul_i32 s19, s8, s15
	s_mul_hi_u32 s16, s15, s17
	s_mul_i32 s18, s15, s17
	s_mul_hi_u32 s15, s15, s19
	s_add_u32 s15, s15, s18
	s_addc_u32 s16, 0, s16
	s_mul_hi_u32 s20, s14, s19
	s_mul_i32 s19, s14, s19
	s_add_u32 s15, s15, s19
	s_mul_hi_u32 s18, s14, s17
	s_addc_u32 s15, s16, s20
	s_addc_u32 s16, s18, 0
	s_mul_i32 s17, s14, s17
	s_add_u32 s15, s15, s17
	s_addc_u32 s16, 0, s16
	v_add_co_u32_e32 v1, vcc, s15, v1
	s_cmp_lg_u64 vcc, 0
	s_addc_u32 s14, s14, s16
	v_readfirstlane_b32 s16, v1
	s_mul_i32 s15, s8, s14
	s_mul_hi_u32 s17, s8, s16
	s_add_i32 s15, s17, s15
	s_mul_i32 s13, s13, s16
	s_add_i32 s15, s15, s13
	s_mul_i32 s8, s8, s16
	s_mul_hi_u32 s17, s14, s8
	s_mul_i32 s18, s14, s8
	s_mul_i32 s20, s16, s15
	s_mul_hi_u32 s8, s16, s8
	s_mul_hi_u32 s19, s16, s15
	s_add_u32 s8, s8, s20
	s_addc_u32 s16, 0, s19
	s_add_u32 s8, s8, s18
	s_mul_hi_u32 s13, s14, s15
	s_addc_u32 s8, s16, s17
	s_addc_u32 s13, s13, 0
	s_mul_i32 s15, s14, s15
	s_add_u32 s8, s8, s15
	s_addc_u32 s13, 0, s13
	v_add_co_u32_e32 v1, vcc, s8, v1
	s_cmp_lg_u64 vcc, 0
	s_addc_u32 s13, s14, s13
	s_ashr_i32 s14, s9, 31
	s_add_u32 s8, s12, s14
	s_mov_b32 s15, s14
	s_addc_u32 s9, s9, s14
	s_xor_b64 s[8:9], s[8:9], s[14:15]
	v_readfirstlane_b32 s18, v1
	s_mul_i32 s17, s8, s13
	s_mul_hi_u32 s19, s8, s18
	s_mul_hi_u32 s16, s8, s13
	s_add_u32 s17, s19, s17
	s_addc_u32 s16, 0, s16
	s_mul_hi_u32 s20, s9, s18
	s_mul_i32 s18, s9, s18
	s_add_u32 s17, s17, s18
	s_mul_hi_u32 s19, s9, s13
	s_addc_u32 s16, s16, s20
	s_addc_u32 s17, s19, 0
	s_mul_i32 s13, s9, s13
	s_add_u32 s13, s16, s13
	s_addc_u32 s16, 0, s17
	s_add_u32 s17, s13, 1
	s_addc_u32 s18, s16, 0
	s_add_u32 s19, s13, 2
	s_mul_i32 s21, s65, s16
	s_mul_hi_u32 s22, s65, s13
	s_addc_u32 s20, s16, 0
	s_add_i32 s22, s22, s21
	s_mul_i32 s21, s65, s13
	v_mov_b32_e32 v1, s21
	v_sub_co_u32_e32 v1, vcc, s8, v1
	s_cmp_lg_u64 vcc, 0
	s_subb_u32 s8, s9, s22
	v_subrev_co_u32_e32 v4, vcc, s65, v1
	s_cmp_lg_u64 vcc, 0
	s_subb_u32 s9, s8, 0
	v_readfirstlane_b32 s21, v4
	s_cmp_ge_u32 s21, s65
	s_cselect_b32 s21, -1, 0
	s_cmp_eq_u32 s9, 0
	s_cselect_b32 s9, s21, -1
	s_cmp_lg_u32 s9, 0
	s_cselect_b32 s9, s20, s18
	v_readfirstlane_b32 s18, v1
	s_cselect_b32 s17, s19, s17
	s_cmp_ge_u32 s18, s65
	s_cselect_b32 s18, -1, 0
	s_cmp_eq_u32 s8, 0
	s_cselect_b32 s8, s18, -1
	s_cmp_lg_u32 s8, 0
	s_cselect_b32 s9, s9, s16
	s_cselect_b32 s8, s17, s13
	s_xor_b64 s[8:9], s[8:9], s[14:15]
	s_sub_u32 s86, s8, s14
	s_branch .LBB9_3
.LBB9_2:
	s_mov_b64 s[6:7], -1
                                        ; implicit-def: $sgpr86_sgpr87
.LBB9_3:
	s_load_dwordx2 s[8:9], s[4:5], 0x74
	v_cvt_f32_u32_e32 v1, s65
	s_andn2_b64 vcc, exec, s[6:7]
	s_waitcnt lgkmcnt(0)
	v_writelane_b32 v169, s8, 8
	v_writelane_b32 v169, s9, 9
	s_cbranch_vccnz .LBB9_5
; %bb.4:
	v_rcp_iflag_f32_e32 v4, v1
	s_sub_i32 s6, 0, s65
	v_mul_f32_e32 v4, 0x4f7ffffe, v4
	v_cvt_u32_f32_e32 v4, v4
	v_readfirstlane_b32 s7, v4
	s_mul_i32 s6, s6, s7
	s_mul_hi_u32 s6, s7, s6
	s_add_i32 s7, s7, s6
	s_mul_hi_u32 s6, s12, s7
	s_mul_i32 s8, s6, s65
	s_sub_i32 s8, s12, s8
	s_add_i32 s7, s6, 1
	s_sub_i32 s9, s8, s65
	s_cmp_ge_u32 s8, s65
	s_cselect_b32 s6, s7, s6
	s_cselect_b32 s8, s9, s8
	s_add_i32 s7, s6, 1
	s_cmp_ge_u32 s8, s65
	s_cselect_b32 s86, s7, s6
.LBB9_5:
	s_add_i32 s6, s64, 1
	s_mul_i32 s7, s11, s6
	s_mul_hi_u32 s8, s10, s6
	s_add_i32 s9, s8, s7
	s_mov_b32 s8, 0
	s_cmp_lg_u64 s[8:9], 0
	s_mul_i32 s8, s10, s6
	s_cbranch_scc0 .LBB9_7
; %bb.6:
	v_madmk_f32 v2, v3, 0x4f800000, v2
	v_rcp_f32_e32 v2, v2
	s_sub_u32 s10, 0, s65
	s_subb_u32 s11, 0, 0
	s_mov_b64 s[6:7], 0
	v_mul_f32_e32 v2, 0x5f7ffffc, v2
	v_mul_f32_e32 v3, 0x2f800000, v2
	v_trunc_f32_e32 v3, v3
	v_madmk_f32 v2, v3, 0xcf800000, v2
	v_cvt_u32_f32_e32 v3, v3
	v_cvt_u32_f32_e32 v2, v2
	v_readfirstlane_b32 s12, v3
	v_readfirstlane_b32 s13, v2
	s_mul_hi_u32 s15, s10, s13
	s_mul_i32 s16, s10, s12
	s_mul_i32 s14, s11, s13
	s_add_i32 s15, s15, s16
	s_add_i32 s15, s15, s14
	s_mul_i32 s17, s10, s13
	s_mul_hi_u32 s14, s13, s15
	s_mul_i32 s16, s13, s15
	s_mul_hi_u32 s13, s13, s17
	s_add_u32 s13, s13, s16
	s_addc_u32 s14, 0, s14
	s_mul_hi_u32 s18, s12, s17
	s_mul_i32 s17, s12, s17
	s_add_u32 s13, s13, s17
	s_mul_hi_u32 s16, s12, s15
	s_addc_u32 s13, s14, s18
	s_addc_u32 s14, s16, 0
	s_mul_i32 s15, s12, s15
	s_add_u32 s13, s13, s15
	s_addc_u32 s14, 0, s14
	v_add_co_u32_e32 v2, vcc, s13, v2
	s_cmp_lg_u64 vcc, 0
	s_addc_u32 s12, s12, s14
	v_readfirstlane_b32 s14, v2
	s_mul_i32 s13, s10, s12
	s_mul_hi_u32 s15, s10, s14
	s_add_i32 s13, s15, s13
	s_mul_i32 s11, s11, s14
	s_add_i32 s13, s13, s11
	s_mul_i32 s10, s10, s14
	s_mul_hi_u32 s15, s12, s10
	s_mul_i32 s16, s12, s10
	s_mul_i32 s18, s14, s13
	s_mul_hi_u32 s10, s14, s10
	s_mul_hi_u32 s17, s14, s13
	s_add_u32 s10, s10, s18
	s_addc_u32 s14, 0, s17
	s_add_u32 s10, s10, s16
	s_mul_hi_u32 s11, s12, s13
	s_addc_u32 s10, s14, s15
	s_addc_u32 s11, s11, 0
	s_mul_i32 s13, s12, s13
	s_add_u32 s10, s10, s13
	s_addc_u32 s11, 0, s11
	v_add_co_u32_e32 v2, vcc, s10, v2
	s_cmp_lg_u64 vcc, 0
	s_addc_u32 s14, s12, s11
	s_ashr_i32 s10, s9, 31
	s_add_u32 s12, s8, s10
	s_mov_b32 s11, s10
	s_addc_u32 s13, s9, s10
	s_xor_b64 s[12:13], s[12:13], s[10:11]
	v_readfirstlane_b32 s16, v2
	s_mul_i32 s15, s12, s14
	s_mul_hi_u32 s17, s12, s16
	s_mul_hi_u32 s9, s12, s14
	s_add_u32 s15, s17, s15
	s_addc_u32 s9, 0, s9
	s_mul_hi_u32 s18, s13, s16
	s_mul_i32 s16, s13, s16
	s_add_u32 s15, s15, s16
	s_mul_hi_u32 s17, s13, s14
	s_addc_u32 s9, s9, s18
	s_addc_u32 s15, s17, 0
	s_mul_i32 s14, s13, s14
	s_add_u32 s9, s9, s14
	s_addc_u32 s14, 0, s15
	s_add_u32 s15, s9, 1
	s_addc_u32 s16, s14, 0
	s_add_u32 s17, s9, 2
	s_mul_i32 s19, s65, s14
	s_mul_hi_u32 s20, s65, s9
	s_addc_u32 s18, s14, 0
	s_add_i32 s20, s20, s19
	s_mul_i32 s19, s65, s9
	v_mov_b32_e32 v2, s19
	v_sub_co_u32_e32 v2, vcc, s12, v2
	s_cmp_lg_u64 vcc, 0
	s_subb_u32 s12, s13, s20
	v_subrev_co_u32_e32 v3, vcc, s65, v2
	s_cmp_lg_u64 vcc, 0
	s_subb_u32 s13, s12, 0
	v_readfirstlane_b32 s19, v3
	s_cmp_ge_u32 s19, s65
	s_cselect_b32 s19, -1, 0
	s_cmp_eq_u32 s13, 0
	s_cselect_b32 s13, s19, -1
	s_cmp_lg_u32 s13, 0
	s_cselect_b32 s13, s18, s16
	v_readfirstlane_b32 s16, v2
	s_cselect_b32 s15, s17, s15
	s_cmp_ge_u32 s16, s65
	s_cselect_b32 s16, -1, 0
	s_cmp_eq_u32 s12, 0
	s_cselect_b32 s12, s16, -1
	s_cmp_lg_u32 s12, 0
	s_cselect_b32 s13, s13, s14
	s_cselect_b32 s12, s15, s9
	s_xor_b64 s[12:13], s[12:13], s[10:11]
	s_sub_u32 s10, s12, s10
	v_writelane_b32 v169, s10, 16
	v_writelane_b32 v169, s11, 17
	s_branch .LBB9_8
.LBB9_7:
	s_mov_b64 s[6:7], -1
                                        ; implicit-def: $sgpr10_sgpr11
                                        ; kill: killed $sgpr10_sgpr11
.LBB9_8:
	s_load_dwordx2 s[10:11], s[4:5], 0x5c
	v_writelane_b32 v169, s24, 10
	v_writelane_b32 v169, s25, 11
	;; [unrolled: 1-line block ×4, first 2 shown]
	s_waitcnt lgkmcnt(0)
	v_writelane_b32 v169, s10, 14
	s_andn2_b64 vcc, exec, s[6:7]
	v_writelane_b32 v169, s11, 15
	s_cbranch_vccnz .LBB9_10
; %bb.9:
	v_rcp_iflag_f32_e32 v1, v1
	s_sub_i32 s6, 0, s65
	v_mul_f32_e32 v1, 0x4f7ffffe, v1
	v_cvt_u32_f32_e32 v1, v1
	v_readfirstlane_b32 s7, v1
	s_mul_i32 s6, s6, s7
	s_mul_hi_u32 s6, s7, s6
	s_add_i32 s7, s7, s6
	s_mul_hi_u32 s6, s8, s7
	s_mul_i32 s9, s6, s65
	s_sub_i32 s8, s8, s9
	s_add_i32 s7, s6, 1
	s_sub_i32 s9, s8, s65
	s_cmp_ge_u32 s8, s65
	s_cselect_b32 s6, s7, s6
	s_cselect_b32 s8, s9, s8
	s_add_i32 s7, s6, 1
	s_cmp_ge_u32 s8, s65
	s_cselect_b32 s6, s7, s6
	v_writelane_b32 v169, s6, 16
	v_writelane_b32 v169, s7, 17
.LBB9_10:
	s_load_dwordx16 s[44:59], s[4:5], 0x0
	s_load_dwordx4 s[20:23], s[4:5], 0x40
	s_load_dword s6, s[4:5], 0x50
	v_bfe_u32 v59, v0, 10, 10
	s_mov_b32 s95, 0
	v_lshlrev_b32_e32 v21, 1, v59
	v_lshlrev_b32_e32 v65, 2, v59
	s_waitcnt lgkmcnt(0)
	v_writelane_b32 v169, s6, 18
	s_load_dwordx2 s[6:7], s[4:5], 0x8c
	s_load_dwordx4 s[8:11], s[4:5], 0x98
	s_load_dwordx2 s[12:13], s[4:5], 0xa8
	s_load_dwordx2 s[18:19], s[4:5], 0xb8
	s_nop 0
	s_load_dwordx2 s[4:5], s[4:5], 0xc8
	v_lshlrev_b32_e32 v61, 4, v59
	s_waitcnt lgkmcnt(0)
	s_ashr_i32 s80, s6, 2
	s_ashr_i32 s62, s10, 2
	v_writelane_b32 v169, s12, 19
	v_writelane_b32 v169, s13, 20
	;; [unrolled: 1-line block ×4, first 2 shown]
	v_readlane_b32 s12, v169, 1
	s_abs_i32 s85, s12
	v_cvt_f32_u32_e32 v1, s85
	v_readlane_b32 s36, v169, 10
	v_readlane_b32 s39, v169, 13
	s_ashr_i32 s4, s39, 3
	v_rcp_iflag_f32_e32 v1, v1
	v_readlane_b32 s37, v169, 11
	v_readlane_b32 s38, v169, 12
	v_writelane_b32 v169, s4, 23
	s_mov_b32 s5, s7
	v_writelane_b32 v169, s4, 24
	v_mul_f32_e32 v1, 0x4f7ffffe, v1
	v_writelane_b32 v169, s5, 25
	s_mov_b64 s[4:5], s[8:9]
	s_mov_b32 s7, s11
	v_cvt_u32_f32_e32 v1, v1
	v_writelane_b32 v169, s4, 26
	v_writelane_b32 v169, s5, 27
	;; [unrolled: 1-line block ×4, first 2 shown]
	s_sub_i32 s6, 0, s85
	v_readfirstlane_b32 s7, v1
	s_mul_i32 s6, s6, s7
	s_ashr_i32 s5, s12, 31
	s_mul_hi_u32 s6, s7, s6
	v_writelane_b32 v169, s5, 30
	s_abs_i32 s5, s86
	s_add_i32 s39, s7, s6
	s_mul_hi_u32 s6, s5, s39
	s_mul_i32 s6, s6, s85
	s_sub_i32 s5, s5, s6
	s_ashr_i32 s70, s19, 1
	s_ashr_i32 s4, s86, 31
	s_sub_i32 s6, s5, s85
	s_cmp_ge_u32 s5, s85
	s_cselect_b32 s5, s6, s5
	s_sub_i32 s6, s5, s85
	s_cmp_ge_u32 s5, s85
	s_cselect_b32 s5, s6, s5
	s_xor_b32 s5, s5, s4
	s_sub_i32 s38, s5, s4
	v_readlane_b32 s4, v169, 16
	v_readlane_b32 s5, v169, 17
	v_writelane_b32 v169, s44, 31
	v_writelane_b32 v169, s45, 32
	;; [unrolled: 1-line block ×6, first 2 shown]
	s_mov_b32 s8, s4
	s_sub_i32 s4, s4, s86
	v_writelane_b32 v169, s50, 37
	s_add_i32 s6, s4, s38
	v_writelane_b32 v169, s51, 38
	s_min_i32 s27, s12, s6
	v_writelane_b32 v169, s52, 39
	s_cmp_gt_i32 s8, s86
	v_writelane_b32 v169, s53, 40
	s_cselect_b64 s[28:29], -1, 0
	s_cmp_le_i32 s8, s86
	v_cvt_f16_f32_e32 v1, s20
	v_writelane_b32 v169, s54, 41
	s_cselect_b64 s[4:5], -1, 0
	s_cmp_gt_i32 s12, s6
	v_writelane_b32 v169, s55, 42
	s_cselect_b64 s[6:7], -1, 0
	v_writelane_b32 v169, s56, 43
	s_or_b64 s[4:5], s[6:7], s[4:5]
	v_writelane_b32 v169, s57, 44
	s_and_b64 vcc, exec, s[4:5]
	v_pack_b32_f16 v29, v1, v1
	v_and_b32_e32 v67, 3, v59
	v_mbcnt_lo_u32_b32 v68, -1, 0
	v_writelane_b32 v169, s58, 45
	v_writelane_b32 v169, s59, 46
	s_cbranch_vccnz .LBB9_211
; %bb.11:
	s_cmp_lg_u64 s[50:51], 0
	v_writelane_b32 v169, s65, 47
	s_cselect_b64 s[4:5], -1, 0
	v_writelane_b32 v169, s4, 48
	v_writelane_b32 v169, s5, 49
	s_mul_i32 s4, s36, s37
	s_cmp_eq_u64 s[52:53], 0
	v_writelane_b32 v169, s4, 50
	s_cselect_b64 s[4:5], -1, 0
	v_writelane_b32 v169, s4, 51
	v_writelane_b32 v169, s5, 52
	s_mov_b64 s[6:7], s[22:23]
	s_mov_b32 s5, s21
	v_writelane_b32 v169, s4, 53
	v_writelane_b32 v169, s5, 54
	;; [unrolled: 1-line block ×4, first 2 shown]
	v_cmp_nle_f32_e64 s[4:5], s21, 0
	v_writelane_b32 v169, s4, 57
	s_cmp_lg_u64 s[54:55], 0
	v_and_b32_e32 v14, 0x3ff, v0
	v_writelane_b32 v169, s5, 58
	s_cselect_b64 s[4:5], -1, 0
	v_lshrrev_b32_e32 v6, 3, v14
	v_writelane_b32 v169, s4, 59
	v_lshl_add_u32 v41, v59, 3, v6
	v_writelane_b32 v169, s5, 60
	v_cmp_gt_u32_e64 s[4:5], 16, v41
	v_writelane_b32 v169, s4, 61
	v_and_b32_e32 v16, 7, v14
	v_writelane_b32 v169, s5, 62
	v_mad_u32_u24 v2, v41, 44, v16
	v_and_b32_e32 v4, 0x3f0, v65
	s_movk_i32 s4, 0xb0
	v_and_b32_e32 v7, 15, v14
	v_and_b32_e32 v8, 30, v6
	v_lshl_add_u32 v69, v2, 2, 0
	v_mad_u32_u24 v2, v4, s4, 0
	v_mul_u32_u24_e32 v5, 0xb0, v7
	v_lshlrev_b32_e32 v9, 2, v8
	v_add3_u32 v70, v2, v5, v9
	v_lshrrev_b32_e32 v2, 1, v14
	v_lshlrev_b32_e32 v11, 2, v14
	v_lshl_add_u32 v71, v59, 5, v2
	v_and_b32_e32 v18, 4, v11
	v_mad_u32_u24 v10, v71, s4, 0
	v_lshlrev_b32_e32 v12, 2, v18
	s_movk_i32 s82, 0x80
	v_add3_u32 v72, v10, v12, s82
	v_and_b32_e32 v12, 48, v61
	v_mad_u32_u24 v13, v12, s4, 0
	v_add3_u32 v73, v13, v5, v9
	v_lshrrev_b32_e32 v9, 2, v14
	v_and_b32_e32 v15, 60, v9
	v_add_u32_e32 v74, v12, v15
	v_add_u16_e32 v5, v12, v15
	v_mul_u32_u24_e32 v12, 0x58, v15
	v_or_b32_e32 v9, 3, v9
	v_or_b32_e32 v12, v12, v7
	v_mul_u32_u24_e32 v9, 0xb0, v9
	v_lshl_add_u32 v76, v12, 1, v13
	v_lshlrev_b32_e32 v12, 1, v7
	v_and_b32_e32 v20, 28, v11
	s_lshl_b32 s94, s64, 4
	s_ashr_i32 s71, s70, 31
	s_ashr_i32 s81, s80, 31
	;; [unrolled: 1-line block ×3, first 2 shown]
	v_mul_u32_u24_e32 v10, 0xb0, v41
	v_add3_u32 v78, v13, v9, v12
	v_lshlrev_b32_e32 v9, 2, v20
	s_lshl_b64 s[4:5], s[94:95], 3
	v_add3_u32 v79, 0, v10, v9
	s_add_u32 s4, s58, s4
	v_or_b32_e32 v9, v65, v14
	s_addc_u32 s5, s59, s5
	v_lshlrev_b32_e32 v9, 3, v9
	v_or_b32_e32 v4, v4, v7
	v_mov_b32_e32 v10, s5
	v_add_co_u32_e32 v22, vcc, s4, v9
	v_or_b32_e32 v7, v61, v7
	v_lshrrev_b32_e32 v1, 5, v14
	v_addc_co_u32_e32 v23, vcc, 0, v10, vcc
	v_mad_u32_u24 v10, v7, 44, v8
	v_lshrrev_b32_e32 v7, 1, v59
	v_add_u32_e32 v80, v1, v7
	v_add_u32_e32 v31, v1, v21
	;; [unrolled: 1-line block ×3, first 2 shown]
	v_lshlrev_b32_e32 v1, 2, v80
	v_and_b32_e32 v6, 15, v80
	s_movk_i32 s4, 0x3c0
	v_add_u32_e32 v82, 2, v80
	v_and_or_b32 v1, v1, s4, v6
	v_lshlrev_b32_e32 v6, 2, v82
	v_and_b32_e32 v7, 15, v82
	s_movk_i32 s4, 0x7c0
	v_add_u32_e32 v83, 4, v80
	v_mul_u32_u24_e32 v15, 0xb0, v15
	v_and_or_b32 v11, v6, s4, v7
	v_lshlrev_b32_e32 v6, 2, v83
	v_and_b32_e32 v7, 15, v83
	v_add_u32_e32 v84, 6, v80
	v_add3_u32 v77, v13, v15, v12
	v_and_or_b32 v12, v6, s4, v7
	v_lshlrev_b32_e32 v6, 2, v84
	v_and_b32_e32 v7, 15, v84
	v_add_u32_e32 v85, 8, v80
	v_and_or_b32 v13, v6, s4, v7
	v_lshlrev_b32_e32 v6, 2, v85
	v_and_b32_e32 v7, 15, v85
	v_add_u32_e32 v86, 10, v80
	;; [unrolled: 4-line block ×3, first 2 shown]
	v_writelane_b32 v169, s64, 63
	v_and_or_b32 v17, v6, s4, v7
	v_lshlrev_b32_e32 v6, 2, v87
	v_and_b32_e32 v7, 15, v87
	v_add_u32_e32 v88, 14, v80
	v_and_or_b32 v19, v6, s4, v7
	v_lshlrev_b32_e32 v6, 2, v88
	v_and_b32_e32 v7, 15, v88
	v_readlane_b32 s16, v169, 7
	v_and_or_b32 v32, v6, s4, v7
	v_lshlrev_b32_e32 v6, 2, v81
	v_and_b32_e32 v7, 15, v81
	s_movk_i32 s4, 0xfc0
	s_abs_i32 s17, s16
	v_and_or_b32 v33, v6, s4, v7
	v_cvt_f32_u32_e32 v6, s17
	v_readlane_b32 s7, v169, 6
	s_abs_i32 s60, s7
	v_cvt_f32_u32_e32 v9, s60
	v_rcp_iflag_f32_e32 v6, v6
	v_add_u32_e32 v89, 8, v81
	v_lshlrev_b32_e32 v7, 2, v89
	v_and_b32_e32 v8, 15, v89
	s_movk_i32 s4, 0x1fc0
	v_mul_f32_e32 v6, 0x4f7ffffe, v6
	v_readlane_b32 s6, v169, 3
	v_and_or_b32 v34, v7, s4, v8
	v_rcp_iflag_f32_e32 v7, v9
	s_abs_i32 s83, s6
	s_mov_b32 s4, s18
                                        ; implicit-def: $vgpr168 : SGPR spill to VGPR lane
	v_cvt_u32_f32_e32 v6, v6
	v_cvt_f32_u32_e32 v8, s83
	v_writelane_b32 v168, s4, 0
	v_writelane_b32 v168, s5, 1
	s_mul_i32 s19, s37, 40
	s_abs_i32 s18, s18
	v_writelane_b32 v168, s19, 2
	s_ashr_i32 s16, s16, 31
	v_lshrrev_b16_e32 v5, 1, v5
	v_cvt_f32_u32_e32 v9, s18
	v_mul_f32_e32 v7, 0x4f7ffffe, v7
	v_readfirstlane_b32 s4, v6
	v_writelane_b32 v168, s16, 3
	s_sub_i32 s16, 0, s17
	v_mul_u32_u24_e32 v4, 0x90, v4
	v_lshlrev_b32_e32 v5, 2, v5
	v_rcp_iflag_f32_e32 v8, v8
	v_cvt_u32_f32_e32 v7, v7
	s_mul_i32 s16, s16, s4
	v_add3_u32 v75, 0, v4, v5
	v_mul_lo_u32 v4, s62, v71
	s_mul_hi_u32 s16, s4, s16
	v_ashrrev_i32_e32 v5, 31, v4
	v_and_b32_e32 v6, 1, v14
	v_add_u32_e32 v30, v61, v14
	v_writelane_b32 v168, s17, 4
	s_add_i32 s4, s4, s16
	v_rcp_iflag_f32_e32 v9, v9
	v_lshlrev_b32_e32 v6, 4, v6
	v_lshlrev_b64 v[24:25], 2, v[4:5]
	v_mul_u32_u24_e32 v92, 0xb0, v30
	v_and_b32_e32 v30, 31, v14
	v_writelane_b32 v168, s4, 5
	s_ashr_i32 s4, s7, 31
	v_mul_f32_e32 v8, 0x4f7ffffe, v8
	v_readfirstlane_b32 s5, v7
	v_add_co_u32_e32 v4, vcc, v6, v24
	v_mul_u32_u24_e32 v95, 0xb0, v1
	v_mad_u32_u24 v1, v1, 44, v30
	v_writelane_b32 v168, s4, 6
	s_sub_i32 s4, 0, s60
	v_mul_lo_u32 v2, s80, v71
	v_cvt_u32_f32_e32 v8, v8
	v_addc_co_u32_e32 v5, vcc, 0, v25, vcc
	v_lshl_add_u32 v96, v1, 2, 0
	v_mad_u32_u24 v1, v11, 44, v30
	s_mul_i32 s4, s4, s5
	v_ashrrev_i32_e32 v3, 31, v2
	v_mov_b32_e32 v7, s49
	v_add_co_u32_e32 v35, vcc, s48, v4
	v_lshl_add_u32 v98, v1, 2, 0
	v_mad_u32_u24 v1, v12, 44, v30
	s_mul_hi_u32 s4, s5, s4
	v_mul_f32_e32 v9, 0x4f7ffffe, v9
	v_addc_co_u32_e32 v36, vcc, v5, v7, vcc
	v_lshlrev_b64 v[26:27], 2, v[2:3]
	v_lshl_add_u32 v100, v1, 2, 0
	v_mad_u32_u24 v1, v13, 44, v30
	s_add_i32 s4, s5, s4
	v_cvt_u32_f32_e32 v9, v9
	v_add_co_u32_e32 v2, vcc, v6, v26
	v_lshl_add_u32 v102, v1, 2, 0
	v_mad_u32_u24 v1, v15, 44, v30
	v_writelane_b32 v168, s4, 7
	s_ashr_i32 s4, s6, 31
	v_readfirstlane_b32 s14, v8
	v_addc_co_u32_e32 v3, vcc, 0, v27, vcc
	v_lshl_add_u32 v104, v1, 2, 0
	v_mad_u32_u24 v1, v17, 44, v30
	v_writelane_b32 v168, s4, 8
	s_sub_i32 s4, 0, s83
	v_mov_b32_e32 v4, s47
	v_add_co_u32_e32 v37, vcc, s46, v2
	v_lshl_add_u32 v106, v1, 2, 0
	v_mad_u32_u24 v1, v19, 44, v30
	s_mul_i32 s4, s4, s14
	v_addc_co_u32_e32 v38, vcc, v3, v4, vcc
	v_mul_lo_u32 v8, s62, v41
	v_lshl_add_u32 v108, v1, 2, 0
	v_mad_u32_u24 v1, v32, 44, v30
	s_mul_hi_u32 s4, s14, s4
	v_readfirstlane_b32 s15, v9
	v_add_u32_e32 v91, 32, v41
	v_ashrrev_i32_e32 v9, 31, v8
	v_lshl_add_u32 v110, v1, 2, 0
	v_mad_u32_u24 v1, v33, 44, v16
	s_add_i32 s4, s14, s4
	v_add_co_u32_e32 v115, vcc, s82, v35
	v_mul_lo_u32 v6, s62, v91
	v_mul_u32_u24_e32 v109, 0xb0, v32
	v_mul_u32_u24_e32 v111, 0xb0, v33
	v_lshl_add_u32 v112, v1, 2, 0
	v_mad_u32_u24 v1, v34, 44, v16
	v_writelane_b32 v168, s4, 9
	s_sub_i32 s4, 0, s18
	v_addc_co_u32_e32 v116, vcc, 0, v36, vcc
	v_lshlrev_b64 v[32:33], 2, v[8:9]
	v_ashrrev_i32_e32 v7, 31, v6
	v_lshl_add_u32 v114, v1, 2, 0
	s_mul_i32 s4, s4, s15
	v_mov_b32_e32 v1, s49
	v_add_co_u32_e32 v117, vcc, s48, v32
	v_mul_u32_u24_e32 v113, 0xb0, v34
	s_mul_hi_u32 s4, s15, s4
	v_addc_co_u32_e32 v118, vcc, v1, v33, vcc
	v_lshlrev_b64 v[34:35], 2, v[6:7]
	v_mul_u32_u24_e32 v2, 0x90, v59
	v_lshlrev_b32_e32 v28, 1, v14
	v_writelane_b32 v168, s18, 10
	s_add_i32 s4, s15, s4
	v_add_co_u32_e32 v119, vcc, s48, v34
	v_add3_u32 v90, 0, v2, v28
	v_mul_lo_u32 v2, s80, v41
	v_writelane_b32 v168, s4, 11
	v_addc_co_u32_e32 v120, vcc, v1, v35, vcc
	v_cmp_ne_u32_e64 s[6:7], 0, v67
	v_ashrrev_i32_e32 v3, 31, v2
	v_add_co_u32_e32 v121, vcc, s82, v37
	v_writelane_b32 v168, s6, 12
	v_lshl_add_u32 v4, s80, 5, v2
	v_addc_co_u32_e32 v122, vcc, 0, v38, vcc
	v_lshlrev_b64 v[36:37], 2, v[2:3]
	v_writelane_b32 v168, s7, 13
	s_mov_b32 s22, s70
	v_ashrrev_i32_e32 v5, 31, v4
	v_mov_b32_e32 v1, s47
	v_add_co_u32_e32 v123, vcc, s46, v36
	v_writelane_b32 v168, s22, 14
	v_addc_co_u32_e32 v124, vcc, v1, v37, vcc
	v_lshlrev_b64 v[38:39], 2, v[4:5]
	v_writelane_b32 v168, s23, 15
	s_lshl_b64 s[6:7], s[70:71], 1
	s_mov_b64 s[8:9], src_private_base
	v_lshl_add_u32 v93, v10, 2, 0
	v_mad_u32_u24 v10, v31, 44, v30
	v_add_co_u32_e32 v125, vcc, s46, v38
	v_writelane_b32 v168, s6, 16
	v_cmp_gt_u32_e64 s[52:53], 64, v14
	s_mov_b32 s8, 0
	v_cmp_gt_u32_e64 s[42:43], 64, v71
	v_cmp_gt_u32_e64 s[10:11], 64, v41
	;; [unrolled: 1-line block ×3, first 2 shown]
	v_lshl_add_u32 v94, v10, 2, 0
	v_mul_u32_u24_e32 v97, 0xb0, v11
	v_mul_u32_u24_e32 v99, 0xb0, v12
	v_mul_u32_u24_e32 v101, 0xb0, v13
	v_mul_u32_u24_e32 v103, 0xb0, v15
	v_mul_u32_u24_e32 v105, 0xb0, v17
	v_mul_u32_u24_e32 v107, 0xb0, v19
	v_addc_co_u32_e32 v126, vcc, v1, v39, vcc
	s_mov_b32 s61, 0x42b17218
	s_mov_b32 s33, 0x3fb8aa3b
	;; [unrolled: 1-line block ×5, first 2 shown]
	v_mov_b32_e32 v127, 0
	v_add_u32_e32 v128, 4, v59
	v_add_u32_e32 v129, 0x240, v90
	;; [unrolled: 1-line block ×11, first 2 shown]
	v_or_b32_e32 v139, 1, v74
	v_or_b32_e32 v140, 2, v74
	;; [unrolled: 1-line block ×3, first 2 shown]
	v_add_u32_e32 v142, 8, v31
	v_mov_b32_e32 v143, 0x37000000
	v_mov_b32_e32 v144, 0x7f800000
	;; [unrolled: 1-line block ×3, first 2 shown]
	v_mbcnt_hi_u32_b32 v146, -1, v68
	v_lshlrev_b32_e32 v40, 4, v16
	s_movk_i32 s51, 0x47
	v_cmp_gt_u32_e64 s[14:15], 64, v74
	v_cmp_gt_u32_e64 s[16:17], 63, v74
	;; [unrolled: 1-line block ×4, first 2 shown]
	v_cmp_eq_u32_e64 s[54:55], 0, v67
	v_cmp_gt_u32_e64 s[58:59], 16, v14
	v_writelane_b32 v168, s7, 17
	s_lshl_b64 s[92:93], s[62:63], 8
	s_lshl_b64 s[6:7], s[80:81], 8
	s_mov_b32 s56, s36
	v_readlane_b32 s57, v169, 23
	v_writelane_b32 v168, s39, 18
	s_branch .LBB9_14
.LBB9_12:                               ;   in Loop: Header=BB9_14 Depth=1
	s_or_b64 exec, exec, s[28:29]
	s_barrier
.LBB9_13:                               ;   in Loop: Header=BB9_14 Depth=1
	v_readlane_b32 s30, v169, 1
	s_add_i32 s22, s86, s30
	s_abs_i32 s25, s22
	v_readlane_b32 s39, v168, 18
	s_mul_hi_u32 s26, s25, s39
	s_mul_i32 s26, s26, s85
	s_sub_i32 s25, s25, s26
	s_ashr_i32 s23, s22, 31
	s_sub_i32 s26, s25, s85
	s_cmp_ge_u32 s25, s85
	s_cselect_b32 s25, s26, s25
	s_sub_i32 s26, s25, s85
	s_cmp_ge_u32 s25, s85
	s_cselect_b32 s25, s26, s25
	s_xor_b32 s25, s25, s23
	s_sub_i32 s23, s23, s25
	s_add_i32 s86, s22, s23
	v_readlane_b32 s22, v169, 16
	s_mov_b32 s26, s22
	s_sub_i32 s22, s22, s86
	s_min_i32 s27, s30, s22
	s_cmp_gt_i32 s26, s86
	v_readlane_b32 s23, v169, 17
	s_cselect_b64 s[28:29], -1, 0
	s_cmp_le_i32 s30, s22
	s_cselect_b64 s[22:23], -1, 0
	s_and_b64 s[22:23], s[22:23], s[28:29]
	s_mov_b32 s38, 0
	s_and_b64 vcc, exec, s[22:23]
	s_cbranch_vccz .LBB9_213
.LBB9_14:                               ; =>This Loop Header: Depth=1
                                        ;     Child Loop BB9_137 Depth 2
                                        ;     Child Loop BB9_37 Depth 2
	s_ashr_i32 s22, s86, 31
	v_readlane_b32 s23, v168, 3
	s_xor_b32 s22, s22, s23
	s_abs_i32 s23, s86
	v_readlane_b32 s25, v168, 5
	s_mul_hi_u32 s25, s23, s25
	v_readlane_b32 s29, v168, 4
	s_mul_i32 s26, s25, s29
	s_sub_i32 s23, s23, s26
	s_add_i32 s26, s25, 1
	s_sub_i32 s28, s23, s29
	s_cmp_ge_u32 s23, s29
	s_cselect_b32 s25, s26, s25
	s_cselect_b32 s23, s28, s23
	s_add_i32 s26, s25, 1
	s_cmp_ge_u32 s23, s29
	s_cselect_b32 s23, s26, s25
	s_xor_b32 s23, s23, s22
	v_readlane_b32 s28, v169, 48
	s_sub_i32 s22, s23, s22
	v_readlane_b32 s29, v169, 49
	s_ashr_i32 s25, s22, 31
	s_andn2_b64 vcc, exec, s[28:29]
	s_mov_b64 s[96:97], 0
	s_cbranch_vccnz .LBB9_16
; %bb.15:                               ;   in Loop: Header=BB9_14 Depth=1
	s_abs_i32 s23, s22
	v_readlane_b32 s26, v168, 11
	s_mul_hi_u32 s26, s23, s26
	v_readlane_b32 s28, v168, 10
	s_mul_i32 s26, s26, s28
	s_sub_i32 s23, s23, s26
	s_sub_i32 s26, s23, s28
	s_cmp_ge_u32 s23, s28
	s_cselect_b32 s23, s26, s23
	s_sub_i32 s26, s23, s28
	s_cmp_ge_u32 s23, s28
	s_cselect_b32 s23, s26, s23
	s_xor_b32 s23, s23, s25
	s_sub_i32 s23, s23, s25
	v_readlane_b32 s30, v169, 21
	s_ashr_i32 s26, s23, 31
	v_readlane_b32 s31, v169, 22
	s_mul_i32 s28, s23, s31
	s_mul_hi_u32 s29, s23, s30
	s_mul_i32 s26, s26, s30
	s_mul_i32 s23, s23, s30
	s_mov_b64 s[30:31], s[52:53]
	s_mov_b64 s[34:35], s[54:55]
	;; [unrolled: 1-line block ×3, first 2 shown]
	v_readlane_b32 s44, v169, 31
	s_add_i32 s28, s29, s28
	v_readlane_b32 s56, v169, 43
	v_readlane_b32 s57, v169, 44
	;; [unrolled: 1-line block ×4, first 2 shown]
	s_add_i32 s28, s28, s26
	v_readlane_b32 s50, v169, 37
	v_readlane_b32 s56, v169, 10
	;; [unrolled: 1-line block ×10, first 2 shown]
	s_add_u32 s96, s50, s23
	s_mov_b64 s[54:55], s[34:35]
	s_mov_b64 s[52:53], s[30:31]
	;; [unrolled: 1-line block ×3, first 2 shown]
	v_readlane_b32 s57, v169, 23
	s_addc_u32 s97, s51, s28
	s_movk_i32 s51, 0x47
	v_readlane_b32 s45, v169, 32
	v_readlane_b32 s46, v169, 33
	;; [unrolled: 1-line block ×5, first 2 shown]
.LBB9_16:                               ;   in Loop: Header=BB9_14 Depth=1
	v_readlane_b32 s23, v169, 7
	s_mul_i32 s23, s22, s23
	s_sub_i32 s23, s86, s23
	s_ashr_i32 s26, s23, 31
	v_readlane_b32 s28, v168, 6
	s_xor_b32 s26, s26, s28
	s_abs_i32 s28, s23
	v_readlane_b32 s29, v168, 7
	s_mul_hi_u32 s29, s28, s29
	s_mul_i32 s30, s29, s60
	s_sub_i32 s28, s28, s30
	s_add_i32 s30, s29, 1
	s_sub_i32 s31, s28, s60
	s_cmp_ge_u32 s28, s60
	s_cselect_b32 s29, s30, s29
	s_cselect_b32 s28, s31, s28
	s_add_i32 s30, s29, 1
	s_cmp_ge_u32 s28, s60
	s_cselect_b32 s28, s30, s29
	s_xor_b32 s28, s28, s26
	s_sub_i32 s26, s28, s26
	v_readlane_b32 s28, v169, 6
	s_mul_i32 s28, s26, s28
	s_sub_i32 s23, s23, s28
	s_ashr_i32 s28, s23, 31
	v_readlane_b32 s29, v168, 8
	s_xor_b32 s28, s28, s29
	s_abs_i32 s29, s23
	v_readlane_b32 s30, v168, 9
	s_mul_hi_u32 s30, s29, s30
	s_mul_i32 s31, s30, s83
	s_sub_i32 s29, s29, s31
	s_add_i32 s31, s30, 1
	s_sub_i32 s34, s29, s83
	s_cmp_ge_u32 s29, s83
	s_cselect_b32 s30, s31, s30
	s_cselect_b32 s29, s34, s29
	s_add_i32 s31, s30, 1
	s_cmp_ge_u32 s29, s83
	s_cselect_b32 s29, s31, s30
	s_xor_b32 s29, s29, s28
	s_sub_i32 s37, s29, s28
	v_readlane_b32 s28, v169, 2
	s_mul_i32 s28, s26, s28
	s_add_i32 s36, s28, s37
	v_readlane_b32 s28, v169, 57
	v_readlane_b32 s29, v169, 58
	s_andn2_b64 vcc, exec, s[28:29]
	v_mov_b32_e32 v42, 1.0
	s_cbranch_vccnz .LBB9_18
; %bb.17:                               ;   in Loop: Header=BB9_14 Depth=1
	v_readlane_b32 s29, v169, 18
	s_sub_i32 s28, s36, s29
	s_lshl_b32 s28, s28, 1
	s_add_i32 s30, s36, 1
	s_or_b32 s31, s28, 1
	s_cmp_lt_u32 s36, s29
	v_readlane_b32 s44, v169, 53
	s_cselect_b64 vcc, -1, 0
	v_readlane_b32 s46, v169, 55
	v_readlane_b32 s47, v169, 56
	s_and_b64 s[28:29], vcc, exec
	v_mov_b32_e32 v1, s47
	v_mov_b32_e32 v2, s46
	s_cselect_b32 s28, s30, s31
	v_cndmask_b32_e32 v15, v1, v2, vcc
	v_cvt_f32_i32_e32 v1, s28
	v_cmp_neq_f32_e32 vcc, 1.0, v15
	s_mov_b32 s28, 0x3f2aaaab
	s_movk_i32 s30, 0x204
	v_cndmask_b32_e32 v17, 1.0, v1, vcc
	v_cmp_eq_f32_e32 vcc, 0, v17
	v_cndmask_b32_e64 v19, |v15|, 1.0, vcc
	v_frexp_mant_f32_e32 v1, v19
	v_cmp_gt_f32_e64 s[28:29], s28, v1
	v_cndmask_b32_e64 v2, 1.0, 2.0, s[28:29]
	v_mul_f32_e32 v1, v1, v2
	v_add_f32_e32 v2, 1.0, v1
	v_rcp_f32_e32 v10, v2
	v_add_f32_e32 v3, -1.0, v2
	v_sub_f32_e32 v5, v1, v3
	v_add_f32_e32 v3, -1.0, v1
	v_mul_f32_e32 v1, v3, v10
	v_mul_f32_e32 v4, v2, v1
	v_fma_f32 v6, v1, v2, -v4
	v_fmac_f32_e32 v6, v1, v5
	v_add_f32_e32 v2, v4, v6
	v_sub_f32_e32 v5, v3, v2
	v_pk_add_f32 v[8:9], v[2:3], v[4:5] neg_lo:[0,1] neg_hi:[0,1]
	v_mov_b32_e32 v7, v2
	v_pk_add_f32 v[2:3], v[8:9], v[6:7] neg_lo:[0,1] neg_hi:[0,1]
	v_add_f32_e32 v2, v2, v3
	v_add_f32_e32 v2, v5, v2
	v_mul_f32_e32 v3, v10, v2
	v_add_f32_e32 v2, v1, v3
	v_sub_f32_e32 v1, v2, v1
	v_sub_f32_e32 v1, v3, v1
	v_mul_f32_e32 v3, v2, v2
	v_fma_f32 v5, v2, v2, -v3
	v_add_f32_e32 v4, v1, v1
	v_fmac_f32_e32 v5, v2, v4
	v_add_f32_e32 v4, v3, v5
	v_mov_b32_e32 v6, 0x3e91f4c4
	v_fmac_f32_e32 v6, 0x3e76c4e1, v4
	v_mov_b32_e32 v7, 0x3ecccdef
	v_fma_f32 v6, v4, v6, v7
	v_sub_f32_e32 v3, v4, v3
	v_sub_f32_e32 v12, v5, v3
	v_mul_f32_e32 v3, v4, v6
	v_fma_f32 v5, v4, v6, -v3
	v_fmac_f32_e32 v5, v12, v6
	v_add_f32_e32 v6, v3, v5
	v_add_f32_e32 v7, 0x3f2aaaaa, v6
	v_sub_f32_e32 v3, v6, v3
	v_sub_f32_e32 v3, v5, v3
	v_add_f32_e32 v5, 0xbf2aaaaa, v7
	v_add_f32_e32 v3, 0x31739010, v3
	v_sub_f32_e32 v5, v6, v5
	v_pk_mul_f32 v[8:9], v[2:3], v[4:5]
	v_fma_f32 v6, v4, v2, -v8
	v_pk_add_f32 v[10:11], v[2:3], v[4:5]
	v_fmac_f32_e32 v6, v4, v1
	v_mov_b32_e32 v9, v11
	v_fmac_f32_e32 v6, v12, v2
	v_pk_add_f32 v[4:5], v[8:9], v[6:7]
	v_sub_f32_e32 v3, v4, v8
	v_sub_f32_e32 v3, v6, v3
	;; [unrolled: 1-line block ×3, first 2 shown]
	v_add_f32_e32 v10, v11, v6
	v_mov_b32_e32 v6, v5
	v_pk_mul_f32 v[6:7], v[4:5], v[6:7]
	v_cvt_f64_f32_e32 v[8:9], v19
	v_frexp_exp_i32_f64_e32 v7, v[8:9]
	v_subbrev_co_u32_e64 v7, s[28:29], 0, v7, s[28:29]
	v_cvt_f32_i32_e32 v7, v7
	v_fma_f32 v8, v4, v5, -v6
	v_fmac_f32_e32 v8, v4, v10
	s_mov_b32 s28, 0x3f317218
	v_mul_f32_e32 v4, 0x3f317218, v7
	v_fmac_f32_e32 v8, v3, v5
	v_fma_f32 v10, v7, s28, -v4
	v_fmac_f32_e32 v10, 0xb102e308, v7
	v_ldexp_f32 v11, v2, 1
	v_add_f32_e32 v5, v6, v8
	v_pk_add_f32 v[2:3], v[4:5], v[10:11]
	v_mov_b32_e32 v12, v5
	v_mov_b32_e32 v13, v3
	;; [unrolled: 1-line block ×3, first 2 shown]
	v_pk_add_f32 v[6:7], v[12:13], v[6:7] neg_lo:[0,1] neg_hi:[0,1]
	v_mov_b32_e32 v9, v5
	v_ldexp_f32 v1, v1, 1
	v_pk_add_f32 v[6:7], v[8:9], v[6:7] neg_lo:[0,1] neg_hi:[0,1]
	v_add_f32_e32 v1, v1, v6
	v_add_f32_e32 v5, v1, v7
	v_pk_add_f32 v[6:7], v[2:3], v[4:5] neg_lo:[0,1] neg_hi:[0,1]
	v_pk_add_f32 v[8:9], v[2:3], v[4:5]
	v_mov_b32_e32 v12, v6
	v_mov_b32_e32 v13, v9
	;; [unrolled: 1-line block ×3, first 2 shown]
	v_pk_add_f32 v[12:13], v[10:11], v[12:13]
	v_mov_b32_e32 v4, v13
	v_pk_add_f32 v[42:43], v[4:5], v[2:3] neg_lo:[0,1] neg_hi:[0,1]
	v_mov_b32_e32 v1, v42
	v_mov_b32_e32 v12, v9
	;; [unrolled: 1-line block ×4, first 2 shown]
	v_pk_add_f32 v[6:7], v[10:11], v[6:7] neg_lo:[0,1] neg_hi:[0,1]
	v_pk_add_f32 v[44:45], v[8:9], v[0:1] neg_lo:[0,1] neg_hi:[0,1]
	;; [unrolled: 1-line block ×3, first 2 shown]
	v_mov_b32_e32 v10, v5
	v_pk_add_f32 v[2:3], v[10:11], v[2:3] neg_lo:[0,1] neg_hi:[0,1]
	v_mov_b32_e32 v44, v6
	v_pk_add_f32 v[8:9], v[44:45], v[2:3]
	v_mov_b32_e32 v10, v9
	v_pk_add_f32 v[10:11], v[8:9], v[10:11]
	v_pk_add_f32 v[4:5], v[4:5], v[10:11]
	v_mov_b32_e32 v7, v13
	v_mov_b32_e32 v9, v4
	v_pk_add_f32 v[12:13], v[8:9], v[6:7] neg_lo:[0,1] neg_hi:[0,1]
	v_mov_b32_e32 v3, v10
	v_sub_f32_e32 v1, v8, v12
	v_pk_add_f32 v[2:3], v[2:3], v[12:13] neg_lo:[0,1] neg_hi:[0,1]
	v_sub_f32_e32 v1, v6, v1
	v_add_f32_e32 v1, v2, v1
	v_add_f32_e32 v1, v1, v3
	;; [unrolled: 1-line block ×3, first 2 shown]
	v_sub_f32_e32 v3, v2, v4
	v_sub_f32_e32 v1, v1, v3
	v_mul_f32_e32 v3, v17, v2
	v_fma_f32 v2, v17, v2, -v3
	v_fmac_f32_e32 v2, v17, v1
	v_add_f32_e32 v1, v3, v2
	v_cmp_class_f32_e64 s[28:29], v3, s30
	v_sub_f32_e32 v4, v1, v3
	v_cndmask_b32_e64 v1, v1, v3, s[28:29]
	v_cmp_eq_f32_e64 s[28:29], s61, v1
	v_cndmask_b32_e64 v3, 0, v143, s[28:29]
	v_sub_f32_e32 v2, v2, v4
	v_sub_f32_e32 v4, v1, v3
	v_mul_f32_e32 v5, 0x3fb8aa3b, v4
	v_fma_f32 v6, v4, s33, -v5
	v_rndne_f32_e32 v7, v5
	v_fmac_f32_e32 v6, 0x32a5705f, v4
	v_sub_f32_e32 v5, v5, v7
	v_add_f32_e32 v5, v5, v6
	v_exp_f32_e32 v5, v5
	v_cvt_i32_f32_e32 v6, v7
	s_mov_b32 s31, 0x7f800000
	v_cmp_neq_f32_e64 s[28:29], |v1|, s31
	v_cndmask_b32_e64 v1, 0, v2, s[28:29]
	v_ldexp_f32 v2, v5, v6
	v_cmp_ngt_f32_e64 s[28:29], s4, v4
	v_cndmask_b32_e64 v2, 0, v2, s[28:29]
	v_cmp_nlt_f32_e64 s[28:29], s61, v4
	v_add_f32_e32 v1, v3, v1
	v_cndmask_b32_e64 v2, v144, v2, s[28:29]
	v_fma_f32 v1, v2, v1, v2
	v_cmp_class_f32_e64 s[28:29], v2, s30
	v_trunc_f32_e32 v3, v17
	v_cndmask_b32_e64 v1, v1, v2, s[28:29]
	v_cndmask_b32_e64 v2, v15, 1.0, vcc
	v_cmp_eq_f32_e32 vcc, v3, v17
	v_mul_f32_e32 v3, 0.5, v17
	v_trunc_f32_e32 v4, v3
	v_cmp_neq_f32_e64 s[28:29], v4, v3
	s_and_b64 s[28:29], vcc, s[28:29]
	v_cndmask_b32_e64 v3, 1.0, v2, s[28:29]
	s_brev_b32 s40, -2
	v_bfi_b32 v1, s40, v1, v3
	v_cndmask_b32_e32 v3, v145, v1, vcc
	v_cmp_gt_f32_e32 vcc, 0, v2
	v_cndmask_b32_e32 v1, v1, v3, vcc
	v_cmp_eq_f32_e32 vcc, s31, v19
	v_cmp_eq_f32_e64 s[30:31], 0, v2
	v_cmp_gt_f32_e64 s[34:35], 0, v17
	s_xor_b64 s[34:35], s[34:35], s[30:31]
	v_cndmask_b32_e64 v3, v144, 0, s[34:35]
	v_cndmask_b32_e64 v4, 0, v2, s[28:29]
	v_bfi_b32 v3, s40, v3, v4
	s_or_b64 vcc, vcc, s[30:31]
	v_cndmask_b32_e32 v1, v1, v3, vcc
	v_cmp_o_f32_e32 vcc, v2, v2
	v_cndmask_b32_e32 v42, v145, v1, vcc
	v_readlane_b32 s45, v169, 54
.LBB9_18:                               ;   in Loop: Header=BB9_14 Depth=1
	v_readlane_b32 s28, v169, 3
	s_mul_i32 s37, s37, s28
	s_sub_i32 s23, s23, s37
	s_ashr_i32 s28, s23, 31
	v_readlane_b32 s29, v169, 30
	s_abs_i32 s23, s23
	s_xor_b32 s28, s28, s29
	s_mul_hi_u32 s29, s23, s39
	s_mul_i32 s30, s29, s85
	s_sub_i32 s23, s23, s30
	s_add_i32 s30, s29, 1
	s_sub_i32 s31, s23, s85
	s_cmp_ge_u32 s23, s85
	s_cselect_b32 s29, s30, s29
	s_cselect_b32 s23, s31, s23
	s_add_i32 s30, s29, 1
	s_cmp_ge_u32 s23, s85
	s_cselect_b32 s23, s30, s29
	v_readlane_b32 s30, v169, 59
	s_xor_b32 s23, s23, s28
	v_readlane_b32 s31, v169, 60
	s_andn2_b64 vcc, exec, s[30:31]
	s_sub_i32 s50, s23, s28
	s_cbranch_vccnz .LBB9_20
; %bb.19:                               ;   in Loop: Header=BB9_14 Depth=1
	v_readlane_b32 s23, v169, 0
	s_mul_i32 s23, s22, s23
	s_add_i32 s28, s50, s23
	s_ashr_i32 s29, s28, 31
	v_readlane_b32 s64, v169, 31
	s_lshl_b64 s[28:29], s[28:29], 2
	v_readlane_b32 s74, v169, 41
	v_readlane_b32 s75, v169, 42
	s_add_u32 s28, s74, s28
	s_addc_u32 s29, s75, s29
	global_load_dword v1, v127, s[28:29]
	v_readlane_b32 s65, v169, 32
	v_readlane_b32 s66, v169, 33
	;; [unrolled: 1-line block ×13, first 2 shown]
	s_waitcnt vmcnt(0)
	v_readfirstlane_b32 s23, v1
	s_ashr_i32 s28, s23, 31
	s_lshr_b32 s28, s28, 26
	s_add_i32 s23, s23, s28
	s_ashr_i32 s23, s23, 6
	s_min_i32 s27, s27, s23
	s_branch .LBB9_21
.LBB9_20:                               ;   in Loop: Header=BB9_14 Depth=1
	v_readlane_b32 s64, v169, 31
	v_readlane_b32 s65, v169, 32
	;; [unrolled: 1-line block ×16, first 2 shown]
.LBB9_21:                               ;   in Loop: Header=BB9_14 Depth=1
	v_readlane_b32 s23, v169, 50
	s_mul_i32 s23, s23, s22
	s_add_i32 s23, s36, s23
	s_mul_i32 s94, s23, 40
	v_readlane_b32 s30, v169, 19
	s_lshl_b64 s[28:29], s[94:95], 3
	v_readlane_b32 s31, v169, 20
	s_add_u32 s70, s76, s28
	s_mul_i32 s23, s22, s31
	s_mul_hi_u32 s28, s22, s30
	s_addc_u32 s71, s77, s29
	s_add_i32 s23, s28, s23
	s_mul_i32 s28, s25, s30
	v_readlane_b32 s88, v169, 26
	s_add_i32 s94, s23, s28
	s_mul_i32 s74, s22, s30
	v_readlane_b32 s91, v169, 29
	s_add_u32 s23, s68, s74
	s_mul_i32 s48, s26, s91
	s_addc_u32 s28, s69, s94
	v_readlane_b32 s89, v169, 27
	s_ashr_i32 s91, s48, 31
	s_mov_b64 s[44:45], s[88:89]
	s_add_u32 s88, s23, s48
	s_addc_u32 s89, s28, s91
	s_ashr_i32 s37, s36, 31
	s_lshl_b64 s[28:29], s[36:37], 2
	s_add_u32 s23, s72, s28
	s_addc_u32 s30, s73, s29
	v_readlane_b32 s28, v169, 51
	v_readlane_b32 s29, v169, 52
	s_and_b64 s[28:29], s[28:29], exec
	s_cselect_b32 s47, 0, s30
	v_readlane_b32 s30, v169, 8
	v_readlane_b32 s31, v169, 9
	s_cselect_b32 s46, 0, s23
	s_mul_i32 s23, s22, s31
	s_ashr_i32 s28, s23, 31
	s_add_u32 s23, s64, s23
	s_mul_i32 s29, s36, s30
	s_addc_u32 s28, s65, s28
	s_ashr_i32 s30, s29, 31
	s_add_u32 s23, s23, s29
	s_addc_u32 s49, s28, s30
	s_mul_i32 s28, s22, s45
	s_mul_hi_u32 s29, s22, s44
	s_add_i32 s28, s29, s28
	s_mul_i32 s25, s25, s44
	v_readlane_b32 s30, v169, 24
	s_add_i32 s45, s28, s25
	s_mul_i32 s64, s22, s44
	v_readlane_b32 s31, v169, 25
	s_add_u32 s25, s66, s64
	s_mul_i32 s44, s26, s31
	s_addc_u32 s28, s67, s45
	s_ashr_i32 s22, s44, 31
	s_add_u32 s87, s25, s44
	s_addc_u32 s26, s28, s22
	s_cmp_lg_u32 s38, 0
	v_readlane_b32 s90, v169, 28
	s_cbranch_scc0 .LBB9_49
; %bb.22:                               ;   in Loop: Header=BB9_14 Depth=1
	s_lshl_b32 s67, s50, 4
	v_add_u32_e32 v1, s67, v31
	v_cmp_le_i32_e32 vcc, s56, v1
	s_and_saveexec_b64 s[28:29], vcc
	s_xor_b64 s[28:29], exec, s[28:29]
	s_cbranch_execz .LBB9_24
; %bb.23:                               ;   in Loop: Header=BB9_14 Depth=1
	ds_write_b32 v94, v127
                                        ; implicit-def: $vgpr1
.LBB9_24:                               ;   in Loop: Header=BB9_14 Depth=1
	s_andn2_saveexec_b64 s[28:29], s[28:29]
	s_cbranch_execz .LBB9_26
; %bb.25:                               ;   in Loop: Header=BB9_14 Depth=1
	v_mad_u64_u32 v[2:3], s[30:31], v1, s57, v[30:31]
	v_ashrrev_i32_e32 v3, 31, v2
	v_lshlrev_b64 v[2:3], 3, v[2:3]
	v_mov_b32_e32 v1, s49
	v_add_co_u32_e32 v2, vcc, s23, v2
	v_addc_co_u32_e32 v3, vcc, v1, v3, vcc
	global_load_dwordx2 v[2:3], v[2:3], off
	s_waitcnt vmcnt(0)
	v_cvt_f16_f32_e32 v1, v2
	v_cvt_f16_f32_e32 v2, v3
	v_pack_b32_f16 v1, v1, v2
	v_pk_mul_f16 v1, v29, v1
	ds_write_b32 v94, v1
.LBB9_26:                               ;   in Loop: Header=BB9_14 Depth=1
	s_or_b64 exec, exec, s[28:29]
	v_add_u32_e32 v1, s67, v142
	v_cmp_le_i32_e32 vcc, s56, v1
	s_and_saveexec_b64 s[28:29], vcc
	s_xor_b64 s[28:29], exec, s[28:29]
	s_cbranch_execz .LBB9_28
; %bb.27:                               ;   in Loop: Header=BB9_14 Depth=1
	ds_write_b32 v94, v127 offset:1408
                                        ; implicit-def: $vgpr1
.LBB9_28:                               ;   in Loop: Header=BB9_14 Depth=1
	s_andn2_saveexec_b64 s[28:29], s[28:29]
	s_cbranch_execz .LBB9_30
; %bb.29:                               ;   in Loop: Header=BB9_14 Depth=1
	v_mad_u64_u32 v[2:3], s[30:31], v1, s57, v[30:31]
	v_ashrrev_i32_e32 v3, 31, v2
	v_lshlrev_b64 v[2:3], 3, v[2:3]
	v_mov_b32_e32 v1, s49
	v_add_co_u32_e32 v2, vcc, s23, v2
	v_addc_co_u32_e32 v3, vcc, v1, v3, vcc
	global_load_dwordx2 v[2:3], v[2:3], off
	s_waitcnt vmcnt(0)
	v_cvt_f16_f32_e32 v1, v2
	v_cvt_f16_f32_e32 v2, v3
	v_pack_b32_f16 v1, v1, v2
	v_pk_mul_f16 v1, v29, v1
	ds_write_b32 v94, v1 offset:1408
.LBB9_30:                               ;   in Loop: Header=BB9_14 Depth=1
	s_or_b64 exec, exec, s[28:29]
	s_mov_b64 s[28:29], exec
	v_readlane_b32 s30, v169, 61
	v_readlane_b32 s31, v169, 62
	s_and_b64 s[30:31], s[28:29], s[30:31]
	s_mov_b64 exec, s[30:31]
	s_cbranch_execz .LBB9_35
; %bb.31:                               ;   in Loop: Header=BB9_14 Depth=1
	v_or_b32_e32 v1, s67, v41
	v_cmp_le_i32_e32 vcc, s56, v1
	s_and_saveexec_b64 s[30:31], vcc
	s_xor_b64 s[30:31], exec, s[30:31]
	s_cbranch_execz .LBB9_33
; %bb.32:                               ;   in Loop: Header=BB9_14 Depth=1
	ds_write_b32 v69, v127 offset:128
                                        ; implicit-def: $vgpr1
.LBB9_33:                               ;   in Loop: Header=BB9_14 Depth=1
	s_andn2_saveexec_b64 s[30:31], s[30:31]
	s_cbranch_execz .LBB9_35
; %bb.34:                               ;   in Loop: Header=BB9_14 Depth=1
	v_mul_lo_u32 v1, v1, s57
	v_ashrrev_i32_e32 v3, 31, v1
	v_add_co_u32_e32 v2, vcc, v1, v16
	v_addc_co_u32_e32 v3, vcc, 0, v3, vcc
	v_lshlrev_b64 v[2:3], 3, v[2:3]
	v_mov_b32_e32 v1, s49
	v_add_co_u32_e32 v2, vcc, s23, v2
	v_addc_co_u32_e32 v3, vcc, v1, v3, vcc
	global_load_dwordx2 v[2:3], v[2:3], off offset:256
	s_waitcnt vmcnt(0)
	v_cvt_f16_f32_e32 v1, v2
	v_cvt_f16_f32_e32 v2, v3
	v_pack_b32_f16 v1, v1, v2
	v_pk_mul_f16 v1, v29, v1
	ds_write_b32 v69, v1 offset:128
.LBB9_35:                               ;   in Loop: Header=BB9_14 Depth=1
	s_or_b64 exec, exec, s[28:29]
	s_waitcnt lgkmcnt(0)
	s_barrier
	ds_read2_b64 v[6:9], v70 offset1:4
	ds_read2_b64 v[2:5], v70 offset0:8 offset1:12
	ds_read_b64 v[44:45], v70 offset:128
	s_add_i32 s39, s27, -1
	s_cmp_le_i32 s39, s38
	v_mov_b32_e32 v148, 0
	s_waitcnt lgkmcnt(0)
	s_barrier
	s_cbranch_scc1 .LBB9_50
; %bb.36:                               ;   in Loop: Header=BB9_14 Depth=1
	v_lshlrev_b32_e32 v1, 1, v14
	v_mov_b32_e32 v10, s97
	v_add_co_u32_e32 v15, vcc, s96, v1
	v_add_u32_e32 v1, s67, v59
	v_readlane_b32 s36, v169, 14
	v_addc_co_u32_e32 v17, vcc, 0, v10, vcc
	v_mul_hi_u32 v10, s36, v1
	v_readlane_b32 s37, v169, 15
	v_add_u32_e32 v10, v1, v10
	v_lshrrev_b32_e32 v10, s37, v10
	v_mul_lo_u32 v10, v10, s56
	v_readlane_b32 s28, v168, 14
	v_sub_u32_e32 v1, v1, v10
	v_readlane_b32 s29, v168, 15
	s_mov_b32 s34, s28
	v_mad_i64_i32 v[10:11], s[28:29], v1, s34, 0
	v_add_u32_e32 v1, s67, v128
	v_mul_hi_u32 v12, s36, v1
	v_add_u32_e32 v12, v1, v12
	v_lshrrev_b32_e32 v12, s37, v12
	v_mul_lo_u32 v12, v12, s56
	v_sub_u32_e32 v1, v1, v12
	v_mad_i64_i32 v[12:13], s[28:29], v1, s34, 0
	v_add_u32_e32 v1, s67, v130
	v_mul_hi_u32 v19, s36, v1
	v_add_u32_e32 v19, v1, v19
	v_lshrrev_b32_e32 v19, s37, v19
	v_mul_lo_u32 v19, v19, s56
	v_sub_u32_e32 v1, v1, v19
	;; [unrolled: 7-line block ×3, first 2 shown]
	v_mad_i64_i32 v[54:55], s[28:29], v1, s34, 0
	v_and_b32_e32 v1, 64, v146
	v_add_u32_e32 v1, 64, v1
	v_xor_b32_e32 v19, 32, v146
	v_cmp_lt_i32_e32 vcc, v19, v1
	v_xor_b32_e32 v43, 16, v146
	v_cndmask_b32_e32 v19, v146, v19, vcc
	v_cmp_lt_i32_e32 vcc, v43, v1
	s_cmp_lg_u64 s[96:97], 0
	v_cndmask_b32_e32 v1, v146, v43, vcc
	s_cselect_b64 s[30:31], -1, 0
	v_mov_b32_e32 v60, 0
	v_lshlrev_b32_e32 v19, 2, v19
	v_lshlrev_b32_e32 v56, 2, v1
	v_mov_b32_e32 v46, v42
	v_mov_b32_e32 v47, v42
	s_lshl_b32 s34, s38, 6
	v_mov_b32_e32 v150, 0
	v_mov_b32_e32 v152, 0xfeffffff
	v_lshlrev_b64 v[48:49], 1, v[10:11]
	v_lshlrev_b64 v[50:51], 1, v[12:13]
	;; [unrolled: 1-line block ×4, first 2 shown]
	v_mov_b32_e32 v62, 0
	v_mov_b32_e32 v58, 0
	;; [unrolled: 1-line block ×9, first 2 shown]
.LBB9_37:                               ;   Parent Loop BB9_14 Depth=1
                                        ; =>  This Inner Loop Header: Depth=2
	v_cndmask_b32_e64 v1, 0, 1, s[30:31]
	v_cmp_ne_u32_e64 s[28:29], 1, v1
	s_andn2_b64 vcc, exec, s[30:31]
	s_ashr_i32 s35, s34, 31
	s_cbranch_vccnz .LBB9_41
; %bb.38:                               ;   in Loop: Header=BB9_37 Depth=2
	v_mov_b32_e32 v1, 0
	v_mov_b32_e32 v10, 0
	v_mov_b32_e32 v11, 0
	v_mov_b32_e32 v12, 0
	s_and_saveexec_b64 s[36:37], s[52:53]
	s_cbranch_execz .LBB9_40
; %bb.39:                               ;   in Loop: Header=BB9_37 Depth=2
	s_lshl_b64 s[40:41], s[34:35], 1
	v_add_co_u32_e32 v43, vcc, s40, v15
	v_mov_b32_e32 v1, s41
	v_addc_co_u32_e32 v151, vcc, v17, v1, vcc
	v_add_co_u32_e32 v10, vcc, v43, v48
	v_addc_co_u32_e32 v11, vcc, v151, v49, vcc
	flat_load_ushort v1, v[10:11]
	v_add_co_u32_e32 v10, vcc, v43, v50
	v_addc_co_u32_e32 v11, vcc, v151, v51, vcc
	v_add_co_u32_e32 v12, vcc, v43, v52
	v_addc_co_u32_e32 v13, vcc, v151, v53, vcc
	flat_load_ushort v10, v[10:11]
	s_nop 0
	flat_load_ushort v11, v[12:13]
	v_add_co_u32_e32 v12, vcc, v43, v54
	v_addc_co_u32_e32 v13, vcc, v151, v55, vcc
	flat_load_ushort v12, v[12:13]
.LBB9_40:                               ;   in Loop: Header=BB9_37 Depth=2
	s_or_b64 exec, exec, s[36:37]
	s_waitcnt vmcnt(0) lgkmcnt(0)
	ds_write_b16 v90, v1 offset:11264
	ds_write_b16 v129, v10 offset:11264
	;; [unrolled: 1-line block ×4, first 2 shown]
.LBB9_41:                               ;   in Loop: Header=BB9_37 Depth=2
	s_mul_hi_i32 s37, s34, s80
	s_mul_i32 s36, s34, s80
	s_lshl_b64 s[36:37], s[36:37], 2
	s_add_u32 s25, s87, s36
	s_addc_u32 s35, s26, s37
	buffer_store_dword v127, off, s[0:3], 0
	buffer_store_dword v127, off, s[0:3], 0 offset:4
	buffer_store_dword v127, off, s[0:3], 0 offset:8
	;; [unrolled: 1-line block ×3, first 2 shown]
	s_and_saveexec_b64 s[36:37], s[42:43]
	s_cbranch_execz .LBB9_43
; %bb.42:                               ;   in Loop: Header=BB9_37 Depth=2
	v_mov_b32_e32 v1, s35
	v_add_co_u32_e32 v10, vcc, s25, v26
	v_addc_co_u32_e32 v1, vcc, v1, v27, vcc
	v_lshlrev_b32_e32 v11, 2, v18
	v_add_co_u32_e32 v10, vcc, v10, v11
	v_addc_co_u32_e32 v11, vcc, 0, v1, vcc
	global_load_dwordx4 v[10:13], v[10:11], off offset:128
	s_waitcnt vmcnt(0)
	ds_write_b128 v72, v[10:13]
.LBB9_43:                               ;   in Loop: Header=BB9_37 Depth=2
	s_or_b64 exec, exec, s[36:37]
	v_mov_b32_e32 v1, s35
	v_add_co_u32_e32 v10, vcc, s25, v36
	v_addc_co_u32_e32 v1, vcc, v1, v37, vcc
	v_lshlrev_b32_e32 v151, 2, v20
	v_add_co_u32_e32 v10, vcc, v10, v151
	v_addc_co_u32_e32 v1, vcc, 0, v1, vcc
	v_mov_b32_e32 v43, s9
	v_cndmask_b32_e64 v11, v43, v1, s[10:11]
	v_mov_b32_e32 v1, s8
	v_cndmask_b32_e64 v10, v1, v10, s[10:11]
	flat_load_dwordx4 v[10:13], v[10:11]
	v_mov_b32_e32 v153, s35
	v_add_co_u32_e32 v154, vcc, s25, v38
	v_addc_co_u32_e32 v153, vcc, v153, v39, vcc
	v_add_co_u32_e32 v154, vcc, v154, v151
	v_addc_co_u32_e32 v153, vcc, 0, v153, vcc
	v_cndmask_b32_e64 v154, v1, v154, s[12:13]
	v_cndmask_b32_e64 v155, v43, v153, s[12:13]
	s_and_b64 vcc, exec, s[28:29]
	s_waitcnt vmcnt(0) lgkmcnt(0)
	ds_write_b128 v79, v[10:13]
	flat_load_dwordx4 v[10:13], v[154:155]
	s_waitcnt vmcnt(0) lgkmcnt(0)
	ds_write_b128 v138, v[10:13]
	s_waitcnt lgkmcnt(0)
	s_barrier
	ds_read2_b64 v[10:13], v73 offset1:4
	s_waitcnt lgkmcnt(0)
	v_mfma_f32_16x16x16f16 v[154:157], v[10:11], v[6:7], 0
	v_mfma_f32_16x16x16f16 v[10:13], v[12:13], v[8:9], v[154:157]
	s_nop 7
	s_nop 1
	ds_read2_b64 v[154:157], v73 offset0:8 offset1:12
	s_waitcnt lgkmcnt(0)
	v_mfma_f32_16x16x16f16 v[10:13], v[154:155], v[2:3], v[10:13]
	ds_read_b64 v[154:155], v73 offset:128
	s_waitcnt lgkmcnt(0)
	s_barrier
	v_mfma_f32_16x16x16f16 v[10:13], v[156:157], v[4:5], v[10:13]
	v_mfma_f32_16x16x16f16 v[10:13], v[154:155], v[44:45], v[10:13]
	s_cbranch_vccnz .LBB9_45
; %bb.44:                               ;   in Loop: Header=BB9_37 Depth=2
	v_add_u32_e32 v1, 0x2c00, v75
	ds_read2_b32 v[154:155], v1 offset1:1
	v_mov_b32_e32 v43, v42
	s_waitcnt lgkmcnt(0)
	v_cvt_f32_f16_e32 v156, v154
	v_cvt_f32_f16_e32 v158, v155
	v_cvt_f32_f16_sdwa v159, v155 dst_sel:DWORD dst_unused:UNUSED_PAD src0_sel:WORD_1
	v_cvt_f32_f16_sdwa v157, v154 dst_sel:DWORD dst_unused:UNUSED_PAD src0_sel:WORD_1
	s_nop 1
	v_pk_fma_f32 v[12:13], v[42:43], v[158:159], v[12:13]
	v_pk_fma_f32 v[10:11], v[46:47], v[156:157], v[10:11]
.LBB9_45:                               ;   in Loop: Header=BB9_37 Depth=2
	v_add_f32_e32 v1, 0x40051340, v10
	v_max_f32_e32 v43, v152, v152
	v_max_f32_e32 v1, v43, v1
	v_cndmask_b32_e64 v1, v152, v1, s[14:15]
	v_add_f32_e32 v43, 0x40051340, v11
	v_max_f32_e32 v153, v1, v1
	v_max_f32_e32 v43, v153, v43
	v_cndmask_b32_e64 v1, v1, v43, s[16:17]
	s_nop 1
	v_add_f32_e32 v43, 0x40051340, v12
	v_max_f32_e32 v153, v1, v1
	v_max_f32_e32 v43, v153, v43
	v_cndmask_b32_e64 v1, v1, v43, s[18:19]
	v_add_f32_e32 v43, 0x40051340, v13
	v_max_f32_e32 v153, v1, v1
	v_max_f32_e32 v43, v153, v43
	v_cndmask_b32_e64 v1, v1, v43, s[20:21]
	ds_bpermute_b32 v43, v19, v1
	v_max_f32_e32 v1, v1, v1
	s_mul_hi_i32 s29, s34, s62
	s_mul_i32 s28, s34, s62
	s_lshl_b64 s[28:29], s[28:29], 2
	s_waitcnt lgkmcnt(0)
	v_max_f32_e32 v43, v43, v43
	v_max_f32_e32 v1, v1, v43
	ds_bpermute_b32 v43, v56, v1
	s_add_u32 s36, s88, s28
	s_addc_u32 s35, s89, s29
	buffer_store_dword v127, off, s[0:3], 0
	buffer_store_dword v127, off, s[0:3], 0 offset:4
	buffer_store_dword v127, off, s[0:3], 0 offset:8
	;; [unrolled: 1-line block ×3, first 2 shown]
	s_and_saveexec_b64 s[28:29], s[42:43]
	s_cbranch_execz .LBB9_47
; %bb.46:                               ;   in Loop: Header=BB9_37 Depth=2
	v_mov_b32_e32 v153, s35
	v_add_co_u32_e32 v154, vcc, s36, v24
	v_addc_co_u32_e32 v153, vcc, v153, v25, vcc
	v_lshlrev_b32_e32 v155, 2, v18
	v_add_co_u32_e32 v154, vcc, v154, v155
	v_addc_co_u32_e32 v155, vcc, 0, v153, vcc
	global_load_dwordx4 v[154:157], v[154:155], off offset:128
	s_waitcnt vmcnt(0)
	ds_write_b128 v72, v[154:157]
.LBB9_47:                               ;   in Loop: Header=BB9_37 Depth=2
	s_or_b64 exec, exec, s[28:29]
	s_waitcnt lgkmcnt(0)
	v_max_f32_e32 v43, v43, v43
	v_max_f32_e32 v1, v1, v1
	;; [unrolled: 1-line block ×3, first 2 shown]
	v_sub_f32_e32 v10, v10, v1
	v_mul_f32_e32 v43, 0x3fb8aa3b, v10
	v_fma_f32 v153, v10, s33, -v43
	v_rndne_f32_e32 v154, v43
	v_fmac_f32_e32 v153, 0x32a5705f, v10
	v_sub_f32_e32 v43, v43, v154
	v_add_f32_e32 v43, v43, v153
	v_exp_f32_e32 v43, v43
	v_cvt_i32_f32_e32 v153, v154
	v_cmp_ngt_f32_e32 vcc, s4, v10
	v_sub_f32_e32 v11, v11, v1
	v_cndmask_b32_e64 v12, v12, v12, s[16:17]
	v_ldexp_f32 v43, v43, v153
	v_cndmask_b32_e32 v43, 0, v43, vcc
	v_cmp_nlt_f32_e32 vcc, s61, v10
	v_cndmask_b32_e32 v10, v144, v43, vcc
	v_mul_f32_e32 v43, 0x3fb8aa3b, v11
	v_fma_f32 v153, v11, s33, -v43
	v_rndne_f32_e32 v154, v43
	v_fmac_f32_e32 v153, 0x32a5705f, v11
	v_sub_f32_e32 v43, v43, v154
	v_add_f32_e32 v43, v43, v153
	v_exp_f32_e32 v43, v43
	v_cvt_i32_f32_e32 v153, v154
	v_cmp_ngt_f32_e32 vcc, s4, v11
	v_cndmask_b32_e64 v10, 0, v10, s[14:15]
	v_sub_f32_e32 v12, v12, v1
	v_ldexp_f32 v43, v43, v153
	v_cndmask_b32_e32 v43, 0, v43, vcc
	v_cmp_nlt_f32_e32 vcc, s61, v11
	v_cndmask_b32_e32 v43, v144, v43, vcc
	v_mov_b32_e32 v11, s95
	v_add_f32_e32 v153, v43, v10
	v_cndmask_b32_e64 v154, v11, v43, s[16:17]
	v_mul_f32_e32 v43, 0x3fb8aa3b, v12
	v_cndmask_b32_e64 v11, v10, v153, s[16:17]
	v_fma_f32 v153, v12, s33, -v43
	v_rndne_f32_e32 v155, v43
	v_fmac_f32_e32 v153, 0x32a5705f, v12
	v_sub_f32_e32 v43, v43, v155
	v_add_f32_e32 v43, v43, v153
	v_exp_f32_e32 v43, v43
	v_cvt_i32_f32_e32 v153, v155
	v_cmp_ngt_f32_e32 vcc, s4, v12
	v_cndmask_b32_e64 v13, v13, v13, s[16:17]
	v_cvt_f16_f32_e32 v10, v10
	v_ldexp_f32 v43, v43, v153
	v_cndmask_b32_e32 v43, 0, v43, vcc
	v_cmp_nlt_f32_e32 vcc, s61, v12
	v_cndmask_b32_e32 v43, v144, v43, vcc
	v_mov_b32_e32 v12, s95
	v_cndmask_b32_e64 v155, v12, v43, s[18:19]
	v_sub_f32_e32 v12, v13, v1
	v_add_f32_e32 v153, v11, v43
	v_mul_f32_e32 v13, 0x3fb8aa3b, v12
	v_cndmask_b32_e64 v11, v11, v153, s[18:19]
	v_fma_f32 v43, v12, s33, -v13
	v_rndne_f32_e32 v153, v13
	v_fmac_f32_e32 v43, 0x32a5705f, v12
	v_sub_f32_e32 v13, v13, v153
	v_add_f32_e32 v13, v13, v43
	v_exp_f32_e32 v13, v13
	v_cvt_i32_f32_e32 v43, v153
	v_cmp_ngt_f32_e32 vcc, s4, v12
	v_mov_b32_e32 v156, s9
	v_mov_b32_e32 v157, s8
	v_ldexp_f32 v13, v13, v43
	v_cndmask_b32_e32 v13, 0, v13, vcc
	v_cmp_nlt_f32_e32 vcc, s61, v12
	v_cndmask_b32_e32 v153, v144, v13, vcc
	v_add_f32_e32 v12, v11, v153
	v_cndmask_b32_e64 v12, v11, v12, s[20:21]
	v_sub_f32_e32 v11, v152, v1
	v_mul_f32_e32 v13, 0x3fb8aa3b, v11
	v_fma_f32 v43, v11, s33, -v13
	v_rndne_f32_e32 v152, v13
	v_fmac_f32_e32 v43, 0x32a5705f, v11
	v_sub_f32_e32 v13, v13, v152
	v_add_f32_e32 v13, v13, v43
	v_exp_f32_e32 v13, v13
	v_cvt_i32_f32_e32 v43, v152
	v_cmp_ngt_f32_e32 vcc, s4, v11
	s_add_i32 s38, s38, 1
	s_add_i32 s34, s34, 64
	v_ldexp_f32 v13, v13, v43
	v_cndmask_b32_e32 v13, 0, v13, vcc
	v_cmp_nlt_f32_e32 vcc, s61, v11
	v_cndmask_b32_e32 v13, v144, v13, vcc
	v_cmp_le_f32_e32 vcc, s5, v11
	v_cndmask_b32_e32 v11, 0, v13, vcc
	v_fmac_f32_e32 v12, v150, v11
	v_cvt_f16_f32_e32 v11, v11
	s_cmp_lt_i32 s38, s39
	v_pk_mul_f16 v150, v11, v60 op_sel_hi:[0,1]
	v_pk_mul_f16 v60, v11, v62 op_sel_hi:[0,1]
	v_cvt_f16_f32_e32 v62, v154
	v_pk_mul_f16 v58, v11, v58 op_sel_hi:[0,1]
	v_pk_mul_f16 v57, v11, v57 op_sel_hi:[0,1]
	;; [unrolled: 1-line block ×8, first 2 shown]
	v_mov_b32_e32 v11, s95
	v_cndmask_b32_e64 v11, v11, v153, s[20:21]
	v_pack_b32_f16 v10, v10, v62
	v_cvt_f16_f32_e32 v62, v155
	v_cvt_f16_f32_e32 v11, v11
	v_mov_b32_e32 v148, s35
	v_pack_b32_f16 v11, v62, v11
	v_add_co_u32_e32 v62, vcc, s36, v32
	v_addc_co_u32_e32 v148, vcc, v148, v33, vcc
	v_add_co_u32_e32 v62, vcc, v62, v151
	v_addc_co_u32_e32 v148, vcc, 0, v148, vcc
	v_cndmask_b32_e64 v149, v156, v148, s[10:11]
	v_cndmask_b32_e64 v148, v157, v62, s[10:11]
	flat_load_dwordx4 v[152:155], v[148:149]
	v_add_co_u32_e32 v62, vcc, s36, v34
	v_mov_b32_e32 v148, s35
	v_addc_co_u32_e32 v148, vcc, v148, v35, vcc
	v_add_co_u32_e32 v62, vcc, v62, v151
	v_addc_co_u32_e32 v148, vcc, 0, v148, vcc
	v_cndmask_b32_e64 v149, v156, v148, s[12:13]
	v_cndmask_b32_e64 v148, v157, v62, s[12:13]
	v_cvt_f32_f16_sdwa v151, v60 dst_sel:DWORD dst_unused:UNUSED_PAD src0_sel:WORD_1
	s_waitcnt vmcnt(0) lgkmcnt(0)
	ds_write_b128 v79, v[152:155]
	flat_load_dwordx4 v[152:155], v[148:149]
	s_waitcnt vmcnt(0) lgkmcnt(0)
	ds_write_b128 v138, v[152:155]
	s_waitcnt lgkmcnt(0)
	s_barrier
	ds_read_u16 v62, v77 offset:176
	ds_read_u16 v148, v77 offset:352
	v_cvt_f32_f16_e32 v154, v57
	v_cvt_f32_f16_sdwa v155, v57 dst_sel:DWORD dst_unused:UNUSED_PAD src0_sel:WORD_1
	ds_read_u16 v57, v78
	ds_read_u16 v156, v78 offset:32
	v_cvt_f32_f16_e32 v152, v58
	v_cvt_f32_f16_sdwa v153, v58 dst_sel:DWORD dst_unused:UNUSED_PAD src0_sel:WORD_1
	s_waitcnt lgkmcnt(1)
	v_perm_b32 v149, v57, v148, s24
	ds_read_u16 v57, v76
	ds_read_u16 v157, v76 offset:32
	s_waitcnt lgkmcnt(1)
	v_perm_b32 v148, v62, v57, s24
	s_nop 1
	v_mfma_f32_16x16x16f16 v[152:155], v[148:149], v[10:11], v[152:155]
	v_cvt_f32_f16_sdwa v149, v150 dst_sel:DWORD dst_unused:UNUSED_PAD src0_sel:WORD_1
	s_nop 7
	s_nop 1
	v_cvt_f16_f32_e32 v57, v152
	v_cvt_f16_f32_e32 v58, v153
	;; [unrolled: 1-line block ×4, first 2 shown]
	v_pack_b32_f16 v58, v57, v58
	v_pack_b32_f16 v57, v62, v148
	ds_read_u16 v62, v134 offset:176
	ds_read_u16 v152, v134 offset:352
	v_cvt_f32_f16_e32 v148, v150
	v_cvt_f32_f16_e32 v150, v60
	s_waitcnt lgkmcnt(0)
	v_perm_b32 v153, v156, v152, s24
	v_perm_b32 v152, v62, v157, s24
	s_nop 1
	v_mfma_f32_16x16x16f16 v[148:151], v[152:153], v[10:11], v[148:151]
	ds_read_u16 v152, v76 offset:64
	ds_read_u16 v154, v135 offset:176
	ds_read_u16 v153, v135 offset:352
	ds_read_u16 v155, v78 offset:64
	s_waitcnt lgkmcnt(2)
	v_perm_b32 v152, v154, v152, s24
	s_waitcnt lgkmcnt(0)
	v_perm_b32 v153, v155, v153, s24
	s_nop 2
	v_cvt_f16_f32_e32 v60, v148
	v_cvt_f16_f32_e32 v62, v149
	;; [unrolled: 1-line block ×4, first 2 shown]
	v_cvt_f32_f16_e32 v150, v63
	v_pack_b32_f16 v60, v60, v62
	v_cvt_f32_f16_sdwa v151, v63 dst_sel:DWORD dst_unused:UNUSED_PAD src0_sel:WORD_1
	v_pack_b32_f16 v62, v148, v149
	v_cvt_f32_f16_e32 v148, v64
	v_cvt_f32_f16_sdwa v149, v64 dst_sel:DWORD dst_unused:UNUSED_PAD src0_sel:WORD_1
	s_nop 1
	v_mfma_f32_16x16x16f16 v[148:151], v[152:153], v[10:11], v[148:151]
	ds_read_u16 v152, v76 offset:96
	ds_read_u16 v154, v136 offset:176
	;; [unrolled: 1-line block ×4, first 2 shown]
	s_waitcnt lgkmcnt(2)
	v_perm_b32 v152, v154, v152, s24
	s_waitcnt lgkmcnt(0)
	v_perm_b32 v153, v155, v153, s24
	s_nop 2
	v_cvt_f16_f32_e32 v63, v148
	v_cvt_f16_f32_e32 v64, v149
	;; [unrolled: 1-line block ×4, first 2 shown]
	v_cvt_f32_f16_e32 v150, v66
	v_pack_b32_f16 v64, v63, v64
	v_cvt_f32_f16_sdwa v151, v66 dst_sel:DWORD dst_unused:UNUSED_PAD src0_sel:WORD_1
	v_pack_b32_f16 v63, v148, v149
	v_cvt_f32_f16_e32 v148, v147
	v_cvt_f32_f16_sdwa v149, v147 dst_sel:DWORD dst_unused:UNUSED_PAD src0_sel:WORD_1
	s_nop 1
	v_mfma_f32_16x16x16f16 v[148:151], v[152:153], v[10:11], v[148:151]
	ds_read_u16 v152, v76 offset:128
	ds_read_u16 v154, v137 offset:176
	;; [unrolled: 1-line block ×4, first 2 shown]
	s_waitcnt lgkmcnt(0)
	s_barrier
	v_perm_b32 v152, v154, v152, s24
	v_perm_b32 v153, v155, v153, s24
	s_nop 2
	v_cvt_f16_f32_e32 v66, v148
	v_cvt_f16_f32_e32 v147, v149
	;; [unrolled: 1-line block ×4, first 2 shown]
	v_cvt_f32_f16_e32 v150, v13
	v_pack_b32_f16 v147, v66, v147
	v_cvt_f32_f16_sdwa v151, v13 dst_sel:DWORD dst_unused:UNUSED_PAD src0_sel:WORD_1
	v_pack_b32_f16 v66, v148, v149
	v_cvt_f32_f16_e32 v148, v43
	v_cvt_f32_f16_sdwa v149, v43 dst_sel:DWORD dst_unused:UNUSED_PAD src0_sel:WORD_1
	s_nop 1
	v_mfma_f32_16x16x16f16 v[148:151], v[152:153], v[10:11], v[148:151]
	s_nop 7
	s_nop 2
	v_cvt_f16_f32_e32 v10, v148
	v_cvt_f16_f32_e32 v11, v149
	;; [unrolled: 1-line block ×4, first 2 shown]
	v_pack_b32_f16 v149, v10, v11
	v_pack_b32_f16 v148, v13, v43
	s_cbranch_scc0 .LBB9_51
; %bb.48:                               ;   in Loop: Header=BB9_37 Depth=2
	v_mov_b32_e32 v150, v12
	v_mov_b32_e32 v152, v1
	s_branch .LBB9_37
.LBB9_49:                               ;   in Loop: Header=BB9_14 Depth=1
	s_cbranch_execz .LBB9_13
	s_branch .LBB9_119
.LBB9_50:                               ;   in Loop: Header=BB9_14 Depth=1
	v_mov_b32_e32 v12, 0
	v_mov_b32_e32 v1, 0xfeffffff
	;; [unrolled: 1-line block ×11, first 2 shown]
.LBB9_51:                               ;   in Loop: Header=BB9_14 Depth=1
	s_lshl_b32 s98, s38, 6
	v_readlane_b32 s28, v169, 4
	s_sub_i32 s25, s28, s98
	s_cmp_lg_u64 s[96:97], 0
	s_cselect_b64 s[34:35], -1, 0
	s_ashr_i32 s99, s98, 31
	s_cmp_eq_u64 s[96:97], 0
	v_readlane_b32 s29, v169, 5
	s_cbranch_scc1 .LBB9_57
; %bb.52:                               ;   in Loop: Header=BB9_14 Depth=1
	v_cmp_le_i32_e32 vcc, s25, v14
                                        ; implicit-def: $sgpr30
	s_and_saveexec_b64 s[28:29], vcc
	s_xor_b64 s[28:29], exec, s[28:29]
	s_cbranch_execz .LBB9_54
; %bb.53:                               ;   in Loop: Header=BB9_14 Depth=1
	ds_write_b16 v90, v127 offset:11264
	ds_write_b16 v129, v127 offset:11264
	s_mov_b32 s30, 0
.LBB9_54:                               ;   in Loop: Header=BB9_14 Depth=1
	s_or_saveexec_b64 s[28:29], s[28:29]
	v_mov_b32_e32 v10, s30
	v_mov_b32_e32 v11, s30
	s_xor_b64 exec, exec, s[28:29]
	s_cbranch_execz .LBB9_56
; %bb.55:                               ;   in Loop: Header=BB9_14 Depth=1
	s_lshl_b64 s[30:31], s[98:99], 1
	s_add_u32 s30, s96, s30
	s_addc_u32 s31, s97, s31
	v_lshlrev_b32_e32 v10, 1, v14
	v_add_co_u32_e32 v13, vcc, s30, v10
	v_mov_b32_e32 v10, s31
	v_addc_co_u32_e32 v15, vcc, 0, v10, vcc
	v_add_u32_e32 v10, s67, v59
	v_readlane_b32 s38, v169, 14
	v_mul_hi_u32 v11, s38, v10
	v_readlane_b32 s39, v169, 15
	v_add_u32_e32 v11, v10, v11
	v_lshrrev_b32_e32 v11, s39, v11
	v_mul_lo_u32 v11, v11, s56
	v_sub_u32_e32 v10, v10, v11
	v_readlane_b32 s36, v168, 14
	v_mad_i64_i32 v[10:11], s[30:31], v10, s36, 0
	v_lshlrev_b64 v[10:11], 1, v[10:11]
	v_add_co_u32_e32 v10, vcc, v13, v10
	v_addc_co_u32_e32 v11, vcc, v15, v11, vcc
	flat_load_ushort v17, v[10:11]
	v_add_u32_e32 v10, s67, v128
	v_mul_hi_u32 v11, s38, v10
	v_add_u32_e32 v11, v10, v11
	v_lshrrev_b32_e32 v11, s39, v11
	v_mul_lo_u32 v11, v11, s56
	v_sub_u32_e32 v10, v10, v11
	v_mad_i64_i32 v[10:11], s[30:31], v10, s36, 0
	v_lshlrev_b64 v[10:11], 1, v[10:11]
	v_add_co_u32_e32 v10, vcc, v13, v10
	v_addc_co_u32_e32 v11, vcc, v15, v11, vcc
	flat_load_ushort v10, v[10:11]
	v_readlane_b32 s37, v168, 15
	s_waitcnt vmcnt(0) lgkmcnt(0)
	ds_write_b16 v90, v17 offset:11264
	ds_write_b16 v129, v10 offset:11264
	v_add_u32_e32 v10, s67, v130
	v_mul_hi_u32 v11, s38, v10
	v_add_u32_e32 v11, v10, v11
	v_lshrrev_b32_e32 v11, s39, v11
	v_mul_lo_u32 v11, v11, s56
	v_sub_u32_e32 v10, v10, v11
	v_mad_i64_i32 v[10:11], s[30:31], v10, s36, 0
	v_lshlrev_b64 v[10:11], 1, v[10:11]
	v_add_co_u32_e32 v10, vcc, v13, v10
	v_addc_co_u32_e32 v11, vcc, v15, v11, vcc
	flat_load_ushort v10, v[10:11]
	v_add_u32_e32 v11, s67, v132
	v_mul_hi_u32 v17, s38, v11
	v_add_u32_e32 v17, v11, v17
	v_lshrrev_b32_e32 v17, s39, v17
	v_mul_lo_u32 v17, v17, s56
	v_sub_u32_e32 v11, v11, v17
	v_mad_i64_i32 v[46:47], s[30:31], v11, s36, 0
	v_lshlrev_b64 v[46:47], 1, v[46:47]
	v_add_co_u32_e32 v46, vcc, v13, v46
	v_addc_co_u32_e32 v47, vcc, v15, v47, vcc
	flat_load_ushort v11, v[46:47]
.LBB9_56:                               ;   in Loop: Header=BB9_14 Depth=1
	s_or_b64 exec, exec, s[28:29]
	s_waitcnt vmcnt(0) lgkmcnt(0)
	ds_write_b16 v131, v10 offset:11264
	ds_write_b16 v133, v11 offset:11264
.LBB9_57:                               ;   in Loop: Header=BB9_14 Depth=1
	s_mul_hi_i32 s29, s98, s80
	s_mul_i32 s28, s98, s80
	s_lshl_b64 s[28:29], s[28:29], 2
	s_add_u32 s36, s87, s28
	s_addc_u32 s37, s26, s29
	buffer_store_dword v127, off, s[0:3], 0
	buffer_store_dword v127, off, s[0:3], 0 offset:4
	buffer_store_dword v127, off, s[0:3], 0 offset:8
	;; [unrolled: 1-line block ×3, first 2 shown]
	s_and_saveexec_b64 s[28:29], s[42:43]
	s_cbranch_execz .LBB9_59
; %bb.58:                               ;   in Loop: Header=BB9_14 Depth=1
	v_mov_b32_e32 v10, s37
	v_add_co_u32_e32 v11, vcc, s36, v26
	v_addc_co_u32_e32 v10, vcc, v10, v27, vcc
	v_lshlrev_b32_e32 v13, 2, v18
	v_add_co_u32_e32 v11, vcc, v11, v13
	v_addc_co_u32_e32 v10, vcc, 0, v10, vcc
	v_add_co_u32_e32 v13, vcc, 0x80, v11
	v_addc_co_u32_e32 v10, vcc, 0, v10, vcc
	v_mov_b32_e32 v11, s9
	v_cmp_gt_i32_e32 vcc, s25, v71
	v_cndmask_b32_e32 v11, v11, v10, vcc
	v_mov_b32_e32 v10, s8
	v_cndmask_b32_e32 v10, v10, v13, vcc
	flat_load_dwordx4 v[46:49], v[10:11]
	s_waitcnt vmcnt(0) lgkmcnt(0)
	ds_write_b128 v72, v[46:49]
.LBB9_59:                               ;   in Loop: Header=BB9_14 Depth=1
	s_or_b64 exec, exec, s[28:29]
	v_mov_b32_e32 v10, s37
	v_add_co_u32_e32 v11, vcc, s36, v36
	v_addc_co_u32_e32 v10, vcc, v10, v37, vcc
	v_lshlrev_b32_e32 v43, 2, v20
	v_add_co_u32_e32 v13, vcc, v11, v43
	v_addc_co_u32_e32 v10, vcc, 0, v10, vcc
	v_mov_b32_e32 v15, s9
	v_cmp_gt_i32_e64 s[30:31], s25, v41
	v_mov_b32_e32 v17, s8
	v_cndmask_b32_e64 v11, v15, v10, s[30:31]
	v_cndmask_b32_e64 v10, v17, v13, s[30:31]
	flat_load_dwordx4 v[46:49], v[10:11]
	v_mov_b32_e32 v10, s37
	v_add_co_u32_e32 v11, vcc, s36, v38
	v_addc_co_u32_e32 v10, vcc, v10, v39, vcc
	v_add_co_u32_e32 v13, vcc, v11, v43
	v_addc_co_u32_e32 v10, vcc, 0, v10, vcc
	v_cmp_gt_i32_e64 s[28:29], s25, v91
	v_cndmask_b32_e64 v11, v15, v10, s[28:29]
	v_cndmask_b32_e64 v10, v17, v13, s[28:29]
	s_andn2_b64 vcc, exec, s[34:35]
	s_waitcnt vmcnt(0) lgkmcnt(0)
	ds_write_b128 v79, v[46:49]
	flat_load_dwordx4 v[46:49], v[10:11]
	s_waitcnt vmcnt(0) lgkmcnt(0)
	ds_write_b128 v138, v[46:49]
	s_waitcnt lgkmcnt(0)
	s_barrier
	ds_read2_b64 v[46:49], v73 offset1:4
	s_waitcnt lgkmcnt(0)
	v_mfma_f32_16x16x16f16 v[50:53], v[46:47], v[6:7], 0
	v_mfma_f32_16x16x16f16 v[6:9], v[48:49], v[8:9], v[50:53]
	ds_read2_b64 v[46:49], v73 offset0:8 offset1:12
	s_waitcnt lgkmcnt(0)
	v_mfma_f32_16x16x16f16 v[6:9], v[46:47], v[2:3], v[6:9]
	v_mfma_f32_16x16x16f16 v[2:5], v[48:49], v[4:5], v[6:9]
	s_nop 7
	s_nop 1
	ds_read_b64 v[6:7], v73 offset:128
	s_waitcnt lgkmcnt(0)
	v_mfma_f32_16x16x16f16 v[2:5], v[6:7], v[44:45], v[2:5]
	s_barrier
	s_cbranch_vccnz .LBB9_61
; %bb.60:                               ;   in Loop: Header=BB9_14 Depth=1
	v_add_u32_e32 v6, 0x2c00, v75
	ds_read2_b32 v[6:7], v6 offset1:1
	s_waitcnt lgkmcnt(0)
	v_cvt_f32_f16_e32 v8, v6
	v_cvt_f32_f16_e32 v10, v7
	v_cvt_f32_f16_sdwa v11, v7 dst_sel:DWORD dst_unused:UNUSED_PAD src0_sel:WORD_1
	v_cvt_f32_f16_sdwa v9, v6 dst_sel:DWORD dst_unused:UNUSED_PAD src0_sel:WORD_1
	s_nop 1
	v_pk_fma_f32 v[4:5], v[42:43], v[10:11], v[4:5] op_sel_hi:[0,1,1]
	v_pk_fma_f32 v[2:3], v[42:43], v[8:9], v[2:3] op_sel_hi:[0,1,1]
.LBB9_61:                               ;   in Loop: Header=BB9_14 Depth=1
	v_add_f32_e32 v6, 0x40051340, v2
	v_max_f32_e32 v7, v1, v1
	v_max_f32_e32 v6, v7, v6
	v_cmp_gt_u32_e64 s[40:41], s25, v74
	v_cndmask_b32_e64 v6, v1, v6, s[40:41]
	v_add_f32_e32 v7, 0x40051340, v3
	v_max_f32_e32 v8, v6, v6
	v_max_f32_e32 v7, v8, v7
	v_cmp_gt_u32_e64 s[38:39], s25, v139
	v_cndmask_b32_e64 v6, v6, v7, s[38:39]
	;; [unrolled: 5-line block ×4, first 2 shown]
	v_and_b32_e32 v7, 64, v146
	v_add_u32_e32 v7, 64, v7
	v_xor_b32_e32 v8, 32, v146
	v_cmp_lt_i32_e32 vcc, v8, v7
	v_cndmask_b32_e32 v8, v146, v8, vcc
	v_lshlrev_b32_e32 v13, 2, v8
	ds_bpermute_b32 v8, v13, v6
	v_max_f32_e32 v6, v6, v6
	s_mul_hi_i32 s99, s98, s62
	s_mul_i32 s98, s98, s62
	s_lshl_b64 s[98:99], s[98:99], 2
	s_waitcnt lgkmcnt(0)
	v_max_f32_e32 v8, v8, v8
	v_max_f32_e32 v6, v6, v8
	v_xor_b32_e32 v8, 16, v146
	v_cmp_lt_i32_e32 vcc, v8, v7
	v_cndmask_b32_e32 v7, v146, v8, vcc
	v_lshlrev_b32_e32 v15, 2, v7
	ds_bpermute_b32 v7, v15, v6
	s_add_u32 s84, s88, s98
	s_addc_u32 s78, s89, s99
	buffer_store_dword v127, off, s[0:3], 0
	buffer_store_dword v127, off, s[0:3], 0 offset:4
	buffer_store_dword v127, off, s[0:3], 0 offset:8
	;; [unrolled: 1-line block ×3, first 2 shown]
	s_and_saveexec_b64 s[98:99], s[42:43]
	s_cbranch_execz .LBB9_63
; %bb.62:                               ;   in Loop: Header=BB9_14 Depth=1
	v_mov_b32_e32 v8, s78
	v_add_co_u32_e32 v9, vcc, s84, v24
	v_addc_co_u32_e32 v8, vcc, v8, v25, vcc
	v_lshlrev_b32_e32 v10, 2, v18
	v_add_co_u32_e32 v9, vcc, v9, v10
	v_addc_co_u32_e32 v8, vcc, 0, v8, vcc
	v_add_co_u32_e32 v10, vcc, 0x80, v9
	v_addc_co_u32_e32 v8, vcc, 0, v8, vcc
	v_mov_b32_e32 v9, s9
	v_cmp_gt_i32_e32 vcc, s25, v71
	v_cndmask_b32_e32 v9, v9, v8, vcc
	v_mov_b32_e32 v8, s8
	v_cndmask_b32_e32 v8, v8, v10, vcc
	flat_load_dwordx4 v[8:11], v[8:9]
	s_waitcnt vmcnt(0) lgkmcnt(0)
	ds_write_b128 v72, v[8:11]
.LBB9_63:                               ;   in Loop: Header=BB9_14 Depth=1
	s_or_b64 exec, exec, s[98:99]
	s_waitcnt lgkmcnt(0)
	v_max_f32_e32 v7, v7, v7
	v_max_f32_e32 v6, v6, v6
	;; [unrolled: 1-line block ×3, first 2 shown]
	v_sub_f32_e32 v2, v2, v6
	v_mul_f32_e32 v7, 0x3fb8aa3b, v2
	v_fma_f32 v8, v2, s33, -v7
	v_rndne_f32_e32 v9, v7
	v_fmac_f32_e32 v8, 0x32a5705f, v2
	v_sub_f32_e32 v7, v7, v9
	v_add_f32_e32 v7, v7, v8
	v_exp_f32_e32 v7, v7
	v_cvt_i32_f32_e32 v8, v9
	v_cmp_ngt_f32_e32 vcc, s4, v2
	v_sub_f32_e32 v3, v3, v6
	v_cndmask_b32_e64 v4, v4, v4, s[38:39]
	v_ldexp_f32 v7, v7, v8
	v_cndmask_b32_e32 v7, 0, v7, vcc
	v_cmp_nlt_f32_e32 vcc, s61, v2
	v_cndmask_b32_e32 v2, v144, v7, vcc
	v_mul_f32_e32 v7, 0x3fb8aa3b, v3
	v_fma_f32 v8, v3, s33, -v7
	v_rndne_f32_e32 v9, v7
	v_fmac_f32_e32 v8, 0x32a5705f, v3
	v_sub_f32_e32 v7, v7, v9
	v_add_f32_e32 v7, v7, v8
	v_exp_f32_e32 v7, v7
	v_cvt_i32_f32_e32 v8, v9
	v_cmp_ngt_f32_e32 vcc, s4, v3
	v_cndmask_b32_e64 v2, 0, v2, s[40:41]
	v_sub_f32_e32 v4, v4, v6
	v_ldexp_f32 v7, v7, v8
	v_cndmask_b32_e32 v7, 0, v7, vcc
	v_cmp_nlt_f32_e32 vcc, s61, v3
	v_cndmask_b32_e32 v7, v144, v7, vcc
	v_mov_b32_e32 v3, s95
	v_add_f32_e32 v8, v7, v2
	v_cndmask_b32_e64 v44, v3, v7, s[38:39]
	v_mul_f32_e32 v7, 0x3fb8aa3b, v4
	v_cndmask_b32_e64 v3, v2, v8, s[38:39]
	v_fma_f32 v8, v4, s33, -v7
	v_rndne_f32_e32 v9, v7
	v_fmac_f32_e32 v8, 0x32a5705f, v4
	v_sub_f32_e32 v7, v7, v9
	v_add_f32_e32 v7, v7, v8
	v_exp_f32_e32 v7, v7
	v_cvt_i32_f32_e32 v8, v9
	v_cmp_ngt_f32_e32 vcc, s4, v4
	v_cndmask_b32_e64 v5, v5, v5, s[38:39]
	v_sub_f32_e32 v1, v1, v6
	v_ldexp_f32 v7, v7, v8
	v_cndmask_b32_e32 v7, 0, v7, vcc
	v_cmp_nlt_f32_e32 vcc, s61, v4
	v_cndmask_b32_e32 v7, v144, v7, vcc
	v_mov_b32_e32 v4, s95
	v_cndmask_b32_e64 v45, v4, v7, s[36:37]
	v_sub_f32_e32 v4, v5, v6
	v_add_f32_e32 v8, v3, v7
	v_mul_f32_e32 v5, 0x3fb8aa3b, v4
	v_cndmask_b32_e64 v3, v3, v8, s[36:37]
	v_fma_f32 v7, v4, s33, -v5
	v_rndne_f32_e32 v8, v5
	v_fmac_f32_e32 v7, 0x32a5705f, v4
	v_sub_f32_e32 v5, v5, v8
	v_add_f32_e32 v5, v5, v7
	v_exp_f32_e32 v5, v5
	v_cvt_i32_f32_e32 v7, v8
	v_cmp_ngt_f32_e32 vcc, s4, v4
	v_cvt_f16_f32_e32 v2, v2
	v_cvt_f16_f32_e32 v44, v44
	v_ldexp_f32 v5, v5, v7
	v_cndmask_b32_e32 v5, 0, v5, vcc
	v_cmp_nlt_f32_e32 vcc, s61, v4
	v_cndmask_b32_e32 v46, v144, v5, vcc
	v_add_f32_e32 v4, v3, v46
	v_cndmask_b32_e64 v7, v3, v4, s[34:35]
	v_mul_f32_e32 v3, 0x3fb8aa3b, v1
	v_fma_f32 v4, v1, s33, -v3
	v_rndne_f32_e32 v5, v3
	v_fmac_f32_e32 v4, 0x32a5705f, v1
	v_sub_f32_e32 v3, v3, v5
	v_add_f32_e32 v3, v3, v4
	v_exp_f32_e32 v3, v3
	v_cvt_i32_f32_e32 v4, v5
	v_cmp_ngt_f32_e32 vcc, s4, v1
	v_pack_b32_f16 v2, v2, v44
	v_cvt_f16_f32_e32 v44, v45
	v_ldexp_f32 v3, v3, v4
	v_cndmask_b32_e32 v3, 0, v3, vcc
	v_cmp_nlt_f32_e32 vcc, s61, v1
	v_cndmask_b32_e32 v3, v144, v3, vcc
	v_cmp_le_f32_e32 vcc, s5, v1
	v_cndmask_b32_e32 v1, 0, v3, vcc
	v_cvt_f16_f32_e32 v3, v1
	v_fmac_f32_e32 v7, v12, v1
	v_mov_b32_e32 v45, s78
	v_mov_b32_e32 v48, s9
	v_pk_mul_f16 v4, v3, v58 op_sel_hi:[0,1]
	v_pk_mul_f16 v1, v3, v57 op_sel_hi:[0,1]
	;; [unrolled: 1-line block ×10, first 2 shown]
	v_mov_b32_e32 v3, s95
	v_cndmask_b32_e64 v3, v3, v46, s[34:35]
	v_cvt_f16_f32_e32 v3, v3
	v_mov_b32_e32 v49, s8
	s_cmp_eq_u64 s[46:47], 0
	v_pack_b32_f16 v3, v44, v3
	v_add_co_u32_e32 v44, vcc, s84, v32
	v_addc_co_u32_e32 v45, vcc, v45, v33, vcc
	v_add_co_u32_e32 v44, vcc, v44, v43
	v_addc_co_u32_e32 v45, vcc, 0, v45, vcc
	v_cndmask_b32_e64 v45, v48, v45, s[30:31]
	v_cndmask_b32_e64 v44, v49, v44, s[30:31]
	flat_load_dwordx4 v[44:47], v[44:45]
	s_waitcnt vmcnt(0) lgkmcnt(0)
	ds_write_b128 v79, v[44:47]
	v_add_co_u32_e32 v44, vcc, s84, v34
	v_mov_b32_e32 v45, s78
	v_addc_co_u32_e32 v45, vcc, v45, v35, vcc
	v_add_co_u32_e32 v43, vcc, v44, v43
	v_addc_co_u32_e32 v44, vcc, 0, v45, vcc
	v_cndmask_b32_e64 v45, v48, v44, s[28:29]
	v_cndmask_b32_e64 v44, v49, v43, s[28:29]
	flat_load_dwordx4 v[44:47], v[44:45]
	s_cselect_b64 s[28:29], -1, 0
	s_xor_b64 s[30:31], s[54:55], -1
	s_or_b64 s[28:29], s[30:31], s[28:29]
	s_waitcnt vmcnt(0) lgkmcnt(0)
	ds_write_b128 v138, v[44:47]
	s_waitcnt lgkmcnt(0)
	s_barrier
	ds_read_u16 v43, v77 offset:176
	ds_read_u16 v48, v77 offset:352
	v_cvt_f32_f16_e32 v46, v1
	v_cvt_f32_f16_sdwa v47, v1 dst_sel:DWORD dst_unused:UNUSED_PAD src0_sel:WORD_1
	ds_read_u16 v1, v78
	ds_read_u16 v50, v78 offset:32
	v_cvt_f32_f16_e32 v44, v4
	v_cvt_f32_f16_sdwa v45, v4 dst_sel:DWORD dst_unused:UNUSED_PAD src0_sel:WORD_1
	s_waitcnt lgkmcnt(1)
	v_perm_b32 v49, v1, v48, s24
	ds_read_u16 v1, v76
	ds_read_u16 v51, v76 offset:32
	s_waitcnt lgkmcnt(1)
	v_perm_b32 v48, v43, v1, s24
	s_nop 1
	v_mfma_f32_16x16x16f16 v[44:47], v[48:49], v[2:3], v[44:47]
	s_nop 7
	s_nop 2
	v_cvt_f16_f32_e32 v1, v44
	v_cvt_f16_f32_e32 v4, v45
	;; [unrolled: 1-line block ×4, first 2 shown]
	v_cvt_f32_f16_sdwa v45, v8 dst_sel:DWORD dst_unused:UNUSED_PAD src0_sel:WORD_1
	v_pack_b32_f16 v4, v1, v4
	v_cvt_f32_f16_e32 v46, v5
	v_pack_b32_f16 v1, v43, v44
	ds_read_u16 v43, v134 offset:176
	ds_read_u16 v48, v134 offset:352
	v_cvt_f32_f16_e32 v44, v8
	v_cvt_f32_f16_sdwa v47, v5 dst_sel:DWORD dst_unused:UNUSED_PAD src0_sel:WORD_1
	s_waitcnt lgkmcnt(0)
	v_perm_b32 v49, v50, v48, s24
	v_perm_b32 v48, v43, v51, s24
	s_nop 1
	v_mfma_f32_16x16x16f16 v[44:47], v[48:49], v[2:3], v[44:47]
	s_nop 7
	s_nop 2
	v_cvt_f16_f32_e32 v5, v44
	v_cvt_f16_f32_e32 v8, v45
	v_cvt_f16_f32_e32 v43, v46
	v_cvt_f16_f32_e32 v44, v47
	v_cvt_f32_f16_sdwa v45, v10 dst_sel:DWORD dst_unused:UNUSED_PAD src0_sel:WORD_1
	v_pack_b32_f16 v8, v5, v8
	v_cvt_f32_f16_e32 v46, v9
	v_pack_b32_f16 v5, v43, v44
	ds_read_u16 v43, v76 offset:64
	ds_read_u16 v48, v135 offset:176
	ds_read_u16 v49, v135 offset:352
	ds_read_u16 v50, v78 offset:64
	v_cvt_f32_f16_e32 v44, v10
	v_cvt_f32_f16_sdwa v47, v9 dst_sel:DWORD dst_unused:UNUSED_PAD src0_sel:WORD_1
	s_waitcnt lgkmcnt(2)
	v_perm_b32 v48, v48, v43, s24
	s_waitcnt lgkmcnt(0)
	v_perm_b32 v49, v50, v49, s24
	s_nop 1
	v_mfma_f32_16x16x16f16 v[44:47], v[48:49], v[2:3], v[44:47]
	s_nop 7
	s_nop 2
	v_cvt_f16_f32_e32 v9, v44
	v_cvt_f16_f32_e32 v10, v45
	v_cvt_f16_f32_e32 v43, v46
	v_cvt_f16_f32_e32 v44, v47
	v_cvt_f32_f16_sdwa v45, v12 dst_sel:DWORD dst_unused:UNUSED_PAD src0_sel:WORD_1
	v_pack_b32_f16 v10, v9, v10
	v_cvt_f32_f16_e32 v46, v11
	v_pack_b32_f16 v9, v43, v44
	ds_read_u16 v43, v76 offset:96
	ds_read_u16 v48, v136 offset:176
	ds_read_u16 v49, v136 offset:352
	ds_read_u16 v50, v78 offset:96
	v_cvt_f32_f16_e32 v44, v12
	v_cvt_f32_f16_sdwa v47, v11 dst_sel:DWORD dst_unused:UNUSED_PAD src0_sel:WORD_1
	s_waitcnt lgkmcnt(2)
	v_perm_b32 v48, v48, v43, s24
	s_waitcnt lgkmcnt(0)
	v_perm_b32 v49, v50, v49, s24
	s_nop 1
	v_mfma_f32_16x16x16f16 v[44:47], v[48:49], v[2:3], v[44:47]
	s_nop 7
	s_nop 2
	v_cvt_f16_f32_e32 v11, v44
	v_cvt_f16_f32_e32 v12, v45
	v_cvt_f16_f32_e32 v43, v46
	v_cvt_f16_f32_e32 v44, v47
	v_cvt_f32_f16_sdwa v45, v19 dst_sel:DWORD dst_unused:UNUSED_PAD src0_sel:WORD_1
	v_pack_b32_f16 v12, v11, v12
	v_cvt_f32_f16_e32 v46, v17
	v_pack_b32_f16 v11, v43, v44
	ds_read_u16 v43, v76 offset:128
	ds_read_u16 v48, v137 offset:176
	ds_read_u16 v49, v137 offset:352
	ds_read_u16 v50, v78 offset:128
	v_cvt_f32_f16_e32 v44, v19
	v_cvt_f32_f16_sdwa v47, v17 dst_sel:DWORD dst_unused:UNUSED_PAD src0_sel:WORD_1
	s_waitcnt lgkmcnt(2)
	v_perm_b32 v48, v48, v43, s24
	s_waitcnt lgkmcnt(0)
	v_perm_b32 v49, v50, v49, s24
	s_barrier
	s_nop 0
	v_mfma_f32_16x16x16f16 v[44:47], v[48:49], v[2:3], v[44:47]
	s_nop 7
	s_nop 2
	v_cvt_f16_f32_e32 v2, v44
	v_cvt_f16_f32_e32 v3, v45
	v_cvt_f16_f32_e32 v17, v46
	v_cvt_f16_f32_e32 v19, v47
	v_pack_b32_f16 v2, v2, v3
	v_pack_b32_f16 v3, v17, v19
	ds_bpermute_b32 v17, v13, v7
	s_waitcnt lgkmcnt(0)
	v_add_f32_e32 v7, v7, v17
	ds_bpermute_b32 v17, v15, v7
	s_waitcnt lgkmcnt(0)
	v_add_f32_e32 v7, v7, v17
	s_and_saveexec_b64 s[30:31], s[28:29]
	s_xor_b64 s[28:29], exec, s[30:31]
	s_andn2_saveexec_b64 s[28:29], s[28:29]
	s_cbranch_execz .LBB9_65
; %bb.64:                               ;   in Loop: Header=BB9_14 Depth=1
	global_load_dword v17, v127, s[46:47]
	v_max_f32_e32 v43, v6, v6
	s_waitcnt vmcnt(0)
	v_max_f32_e32 v19, v17, v17
	v_max_f32_e32 v44, v43, v19
	v_sub_f32_e32 v6, v6, v44
	v_mul_f32_e32 v19, 0x3fb8aa3b, v6
	v_fma_f32 v43, v6, s33, -v19
	v_rndne_f32_e32 v45, v19
	v_fmac_f32_e32 v43, 0x32a5705f, v6
	v_sub_f32_e32 v19, v19, v45
	v_add_f32_e32 v19, v19, v43
	v_exp_f32_e32 v19, v19
	v_cvt_i32_f32_e32 v43, v45
	v_cmp_ngt_f32_e32 vcc, s4, v6
	v_sub_f32_e32 v17, v17, v44
	v_ldexp_f32 v19, v19, v43
	v_cndmask_b32_e32 v19, 0, v19, vcc
	v_cmp_nlt_f32_e32 vcc, s61, v6
	v_cndmask_b32_e32 v19, v144, v19, vcc
	v_cmp_le_f32_e32 vcc, s5, v6
	v_cndmask_b32_e32 v6, 0, v19, vcc
	v_cvt_f16_f32_e32 v19, v6
	v_cmp_ngt_f32_e32 vcc, s4, v17
	v_pk_mul_f16 v4, v19, v4 op_sel_hi:[0,1]
	v_pk_mul_f16 v1, v19, v1 op_sel_hi:[0,1]
	;; [unrolled: 1-line block ×10, first 2 shown]
	v_mul_f32_e32 v19, 0x3fb8aa3b, v17
	v_fma_f32 v43, v17, s33, -v19
	v_rndne_f32_e32 v45, v19
	v_fmac_f32_e32 v43, 0x32a5705f, v17
	v_sub_f32_e32 v19, v19, v45
	v_add_f32_e32 v19, v19, v43
	v_exp_f32_e32 v19, v19
	v_cvt_i32_f32_e32 v43, v45
	v_ldexp_f32 v19, v19, v43
	v_cndmask_b32_e32 v19, 0, v19, vcc
	v_cmp_nlt_f32_e32 vcc, s61, v17
	v_cndmask_b32_e32 v45, v144, v19, vcc
	v_fmac_f32_e32 v45, v7, v6
	v_pk_mov_b32 v[6:7], v[44:45], v[44:45] op_sel:[0,1]
.LBB9_65:                               ;   in Loop: Header=BB9_14 Depth=1
	s_or_b64 exec, exec, s[28:29]
	s_and_saveexec_b64 s[28:29], s[58:59]
	s_cbranch_execz .LBB9_67
; %bb.66:                               ;   in Loop: Header=BB9_14 Depth=1
	v_add_u32_e32 v17, 0, v92
	ds_write2_b32 v17, v6, v7 offset0:40 offset1:41
.LBB9_67:                               ;   in Loop: Header=BB9_14 Depth=1
	s_or_b64 exec, exec, s[28:29]
	s_waitcnt lgkmcnt(0)
	s_barrier
	s_mov_b64 s[28:29], exec
	v_readlane_b32 s30, v168, 12
	v_readlane_b32 s31, v168, 13
	s_and_b64 s[30:31], s[28:29], s[30:31]
	s_xor_b64 s[28:29], s[30:31], s[28:29]
	s_mov_b64 exec, s[30:31]
	s_cbranch_execz .LBB9_69
; %bb.68:                               ;   in Loop: Header=BB9_14 Depth=1
	s_barrier
	s_waitcnt lgkmcnt(0)
                                        ; implicit-def: $vgpr13
                                        ; implicit-def: $vgpr15
.LBB9_69:                               ;   in Loop: Header=BB9_14 Depth=1
	s_andn2_saveexec_b64 s[28:29], s[28:29]
	s_cbranch_execz .LBB9_73
; %bb.70:                               ;   in Loop: Header=BB9_14 Depth=1
	v_add_u32_e32 v7, 0, v92
	ds_read_b64 v[44:45], v7 offset:160
	s_waitcnt lgkmcnt(0)
	s_barrier
	ds_bpermute_b32 v6, v13, v44
	v_max_f32_e32 v17, v44, v44
	s_waitcnt lgkmcnt(0)
	v_max_f32_e32 v6, v6, v6
	v_max_f32_e32 v6, v17, v6
	ds_bpermute_b32 v17, v15, v6
	s_waitcnt lgkmcnt(0)
	v_max_f32_e32 v17, v17, v17
	v_max_f32_e32 v6, v6, v17
	v_sub_f32_e32 v17, v44, v6
	v_mul_f32_e32 v19, 0x3fb8aa3b, v17
	v_fma_f32 v43, v17, s33, -v19
	v_rndne_f32_e32 v44, v19
	v_fmac_f32_e32 v43, 0x32a5705f, v17
	v_sub_f32_e32 v19, v19, v44
	v_add_f32_e32 v19, v19, v43
	v_cvt_i32_f32_e32 v44, v44
	v_exp_f32_e32 v19, v19
	v_cmp_ngt_f32_e32 vcc, s4, v17
	v_ldexp_f32 v19, v19, v44
	v_cndmask_b32_e32 v19, 0, v19, vcc
	v_cmp_nlt_f32_e32 vcc, s61, v17
	v_cndmask_b32_e32 v44, v144, v19, vcc
	v_mul_f32_e32 v17, v45, v44
	ds_bpermute_b32 v13, v13, v17
	s_waitcnt lgkmcnt(0)
	v_fmac_f32_e32 v13, v45, v44
	ds_bpermute_b32 v15, v15, v13
	s_waitcnt lgkmcnt(0)
	v_add_f32_e32 v45, v13, v15
	ds_write_b64 v7, v[44:45] offset:160
	s_and_saveexec_b64 s[30:31], s[58:59]
	s_cbranch_execz .LBB9_72
; %bb.71:                               ;   in Loop: Header=BB9_14 Depth=1
	v_mov_b32_e32 v7, v45
	global_store_dwordx2 v[22:23], v[6:7], off
.LBB9_72:                               ;   in Loop: Header=BB9_14 Depth=1
	s_or_b64 exec, exec, s[30:31]
.LBB9_73:                               ;   in Loop: Header=BB9_14 Depth=1
	s_or_b64 exec, exec, s[28:29]
	ds_write2_b32 v93, v4, v1 offset1:1
	ds_write2_b32 v93, v8, v5 offset0:8 offset1:9
	ds_write2_b32 v93, v10, v9 offset0:16 offset1:17
	;; [unrolled: 1-line block ×4, first 2 shown]
	s_waitcnt lgkmcnt(0)
	s_barrier
	s_and_saveexec_b64 s[28:29], s[54:55]
	s_cbranch_execz .LBB9_118
; %bb.74:                               ;   in Loop: Header=BB9_14 Depth=1
	v_add_u32_e32 v1, s67, v80
	v_cmp_gt_i32_e32 vcc, s56, v1
	v_mov_b32_e32 v2, 0x47
	s_and_saveexec_b64 s[30:31], vcc
	s_cbranch_execz .LBB9_76
; %bb.75:                               ;   in Loop: Header=BB9_14 Depth=1
	v_add_u32_e32 v2, 0, v95
	v_add_u32_e32 v6, 0xa0, v2
	ds_read2st64_b32 v[2:3], v6 offset1:11
	ds_read2st64_b32 v[4:5], v96 offset1:11
	ds_read2st64_b32 v[6:7], v6 offset0:22 offset1:33
	ds_read2st64_b32 v[8:9], v96 offset0:22 offset1:33
	v_readlane_b32 s25, v168, 2
	v_mad_u64_u32 v[10:11], s[34:35], v1, s25, v[30:31]
	s_waitcnt lgkmcnt(2)
	v_cvt_f32_f16_sdwa v13, v4 dst_sel:DWORD dst_unused:UNUSED_PAD src0_sel:WORD_1
	v_cvt_f32_f16_e32 v12, v4
	v_cvt_f32_f16_sdwa v45, v5 dst_sel:DWORD dst_unused:UNUSED_PAD src0_sel:WORD_1
	v_cvt_f32_f16_e32 v44, v5
	s_waitcnt lgkmcnt(0)
	v_cvt_f32_f16_sdwa v5, v8 dst_sel:DWORD dst_unused:UNUSED_PAD src0_sel:WORD_1
	v_cvt_f32_f16_e32 v4, v8
	v_pk_fma_f32 v[12:13], v[2:3], v[12:13], 0 op_sel_hi:[0,1,0]
	v_mov_b32_e32 v2, v3
	v_pk_fma_f32 v[2:3], v[2:3], v[44:45], v[12:13] op_sel_hi:[0,1,1]
	v_pk_fma_f32 v[2:3], v[6:7], v[4:5], v[2:3] op_sel_hi:[0,1,1]
	v_cvt_f32_f16_sdwa v5, v9 dst_sel:DWORD dst_unused:UNUSED_PAD src0_sel:WORD_1
	v_cvt_f32_f16_e32 v4, v9
	v_ashrrev_i32_e32 v11, 31, v10
	v_lshlrev_b64 v[10:11], 3, v[10:11]
	v_add_co_u32_e32 v10, vcc, s70, v10
	v_mov_b32_e32 v1, s71
	v_mov_b32_e32 v6, v7
	v_addc_co_u32_e32 v11, vcc, v1, v11, vcc
	v_pk_fma_f32 v[2:3], v[6:7], v[4:5], v[2:3] op_sel_hi:[0,1,1]
	global_store_dwordx2 v[10:11], v[2:3], off
	v_mov_b32_e32 v2, 0
.LBB9_76:                               ;   in Loop: Header=BB9_14 Depth=1
	s_or_b64 exec, exec, s[30:31]
	v_cmp_gt_i32_e32 vcc, s51, v2
	s_mov_b64 s[34:35], -1
	s_and_saveexec_b64 s[30:31], vcc
; %bb.77:                               ;   in Loop: Header=BB9_14 Depth=1
	v_cmp_eq_u32_e32 vcc, 0, v2
	s_orn2_b64 s[34:35], vcc, exec
; %bb.78:                               ;   in Loop: Header=BB9_14 Depth=1
	s_or_b64 exec, exec, s[30:31]
	s_and_saveexec_b64 s[30:31], s[34:35]
	s_cbranch_execz .LBB9_111
; %bb.79:                               ;   in Loop: Header=BB9_14 Depth=1
	v_add_u32_e32 v1, s67, v82
	v_cmp_gt_i32_e32 vcc, s56, v1
	v_mov_b32_e32 v2, 0x47
	s_and_saveexec_b64 s[34:35], vcc
	s_cbranch_execz .LBB9_81
; %bb.80:                               ;   in Loop: Header=BB9_14 Depth=1
	v_add_u32_e32 v2, 0, v97
	v_add_u32_e32 v6, 0xa0, v2
	ds_read2st64_b32 v[2:3], v6 offset1:11
	ds_read2st64_b32 v[4:5], v98 offset1:11
	ds_read2st64_b32 v[6:7], v6 offset0:22 offset1:33
	ds_read2st64_b32 v[8:9], v98 offset0:22 offset1:33
	v_readlane_b32 s25, v168, 2
	v_mad_u64_u32 v[10:11], s[36:37], v1, s25, v[30:31]
	s_waitcnt lgkmcnt(2)
	v_cvt_f32_f16_sdwa v13, v4 dst_sel:DWORD dst_unused:UNUSED_PAD src0_sel:WORD_1
	v_cvt_f32_f16_e32 v12, v4
	v_cvt_f32_f16_sdwa v45, v5 dst_sel:DWORD dst_unused:UNUSED_PAD src0_sel:WORD_1
	v_cvt_f32_f16_e32 v44, v5
	s_waitcnt lgkmcnt(0)
	v_cvt_f32_f16_sdwa v5, v8 dst_sel:DWORD dst_unused:UNUSED_PAD src0_sel:WORD_1
	v_cvt_f32_f16_e32 v4, v8
	v_pk_fma_f32 v[12:13], v[2:3], v[12:13], 0 op_sel_hi:[0,1,0]
	v_mov_b32_e32 v2, v3
	v_pk_fma_f32 v[2:3], v[2:3], v[44:45], v[12:13] op_sel_hi:[0,1,1]
	v_pk_fma_f32 v[2:3], v[6:7], v[4:5], v[2:3] op_sel_hi:[0,1,1]
	v_cvt_f32_f16_sdwa v5, v9 dst_sel:DWORD dst_unused:UNUSED_PAD src0_sel:WORD_1
	v_cvt_f32_f16_e32 v4, v9
	v_ashrrev_i32_e32 v11, 31, v10
	v_lshlrev_b64 v[10:11], 3, v[10:11]
	v_add_co_u32_e32 v10, vcc, s70, v10
	v_mov_b32_e32 v1, s71
	v_mov_b32_e32 v6, v7
	v_addc_co_u32_e32 v11, vcc, v1, v11, vcc
	v_pk_fma_f32 v[2:3], v[6:7], v[4:5], v[2:3] op_sel_hi:[0,1,1]
	global_store_dwordx2 v[10:11], v[2:3], off
	v_mov_b32_e32 v2, 0
.LBB9_81:                               ;   in Loop: Header=BB9_14 Depth=1
	s_or_b64 exec, exec, s[34:35]
	v_cmp_gt_i32_e32 vcc, s51, v2
	s_mov_b64 s[34:35], -1
	s_and_saveexec_b64 s[36:37], vcc
; %bb.82:                               ;   in Loop: Header=BB9_14 Depth=1
	v_cmp_eq_u32_e32 vcc, 0, v2
	s_orn2_b64 s[34:35], vcc, exec
; %bb.83:                               ;   in Loop: Header=BB9_14 Depth=1
	s_or_b64 exec, exec, s[36:37]
	s_and_b64 exec, exec, s[34:35]
	s_cbranch_execz .LBB9_111
; %bb.84:                               ;   in Loop: Header=BB9_14 Depth=1
	v_add_u32_e32 v1, s67, v83
	v_cmp_gt_i32_e32 vcc, s56, v1
	v_mov_b32_e32 v2, 0x47
	s_and_saveexec_b64 s[34:35], vcc
	s_cbranch_execz .LBB9_86
; %bb.85:                               ;   in Loop: Header=BB9_14 Depth=1
	v_add_u32_e32 v2, 0, v99
	v_add_u32_e32 v6, 0xa0, v2
	ds_read2st64_b32 v[2:3], v6 offset1:11
	ds_read2st64_b32 v[4:5], v100 offset1:11
	ds_read2st64_b32 v[6:7], v6 offset0:22 offset1:33
	ds_read2st64_b32 v[8:9], v100 offset0:22 offset1:33
	v_readlane_b32 s25, v168, 2
	v_mad_u64_u32 v[10:11], s[36:37], v1, s25, v[30:31]
	s_waitcnt lgkmcnt(2)
	v_cvt_f32_f16_sdwa v13, v4 dst_sel:DWORD dst_unused:UNUSED_PAD src0_sel:WORD_1
	v_cvt_f32_f16_e32 v12, v4
	v_cvt_f32_f16_sdwa v45, v5 dst_sel:DWORD dst_unused:UNUSED_PAD src0_sel:WORD_1
	v_cvt_f32_f16_e32 v44, v5
	s_waitcnt lgkmcnt(0)
	v_cvt_f32_f16_sdwa v5, v8 dst_sel:DWORD dst_unused:UNUSED_PAD src0_sel:WORD_1
	v_cvt_f32_f16_e32 v4, v8
	v_pk_fma_f32 v[12:13], v[2:3], v[12:13], 0 op_sel_hi:[0,1,0]
	v_mov_b32_e32 v2, v3
	v_pk_fma_f32 v[2:3], v[2:3], v[44:45], v[12:13] op_sel_hi:[0,1,1]
	v_pk_fma_f32 v[2:3], v[6:7], v[4:5], v[2:3] op_sel_hi:[0,1,1]
	v_cvt_f32_f16_sdwa v5, v9 dst_sel:DWORD dst_unused:UNUSED_PAD src0_sel:WORD_1
	v_cvt_f32_f16_e32 v4, v9
	v_ashrrev_i32_e32 v11, 31, v10
	v_lshlrev_b64 v[10:11], 3, v[10:11]
	v_add_co_u32_e32 v10, vcc, s70, v10
	v_mov_b32_e32 v1, s71
	v_mov_b32_e32 v6, v7
	v_addc_co_u32_e32 v11, vcc, v1, v11, vcc
	v_pk_fma_f32 v[2:3], v[6:7], v[4:5], v[2:3] op_sel_hi:[0,1,1]
	global_store_dwordx2 v[10:11], v[2:3], off
	v_mov_b32_e32 v2, 0
.LBB9_86:                               ;   in Loop: Header=BB9_14 Depth=1
	s_or_b64 exec, exec, s[34:35]
	v_cmp_gt_i32_e32 vcc, s51, v2
	s_mov_b64 s[34:35], -1
	s_and_saveexec_b64 s[36:37], vcc
; %bb.87:                               ;   in Loop: Header=BB9_14 Depth=1
	v_cmp_eq_u32_e32 vcc, 0, v2
	s_orn2_b64 s[34:35], vcc, exec
; %bb.88:                               ;   in Loop: Header=BB9_14 Depth=1
	s_or_b64 exec, exec, s[36:37]
	s_and_b64 exec, exec, s[34:35]
	;; [unrolled: 50-line block ×4, first 2 shown]
	s_cbranch_execz .LBB9_111
; %bb.99:                               ;   in Loop: Header=BB9_14 Depth=1
	v_add_u32_e32 v1, s67, v86
	v_cmp_gt_i32_e32 vcc, s56, v1
	v_mov_b32_e32 v2, 0x47
	s_and_saveexec_b64 s[34:35], vcc
	s_cbranch_execz .LBB9_101
; %bb.100:                              ;   in Loop: Header=BB9_14 Depth=1
	v_add_u32_e32 v2, 0, v105
	v_add_u32_e32 v6, 0xa0, v2
	ds_read2st64_b32 v[2:3], v6 offset1:11
	ds_read2st64_b32 v[4:5], v106 offset1:11
	ds_read2st64_b32 v[6:7], v6 offset0:22 offset1:33
	ds_read2st64_b32 v[8:9], v106 offset0:22 offset1:33
	v_readlane_b32 s25, v168, 2
	v_mad_u64_u32 v[10:11], s[36:37], v1, s25, v[30:31]
	s_waitcnt lgkmcnt(2)
	v_cvt_f32_f16_sdwa v13, v4 dst_sel:DWORD dst_unused:UNUSED_PAD src0_sel:WORD_1
	v_cvt_f32_f16_e32 v12, v4
	v_cvt_f32_f16_sdwa v45, v5 dst_sel:DWORD dst_unused:UNUSED_PAD src0_sel:WORD_1
	v_cvt_f32_f16_e32 v44, v5
	s_waitcnt lgkmcnt(0)
	v_cvt_f32_f16_sdwa v5, v8 dst_sel:DWORD dst_unused:UNUSED_PAD src0_sel:WORD_1
	v_cvt_f32_f16_e32 v4, v8
	v_pk_fma_f32 v[12:13], v[2:3], v[12:13], 0 op_sel_hi:[0,1,0]
	v_mov_b32_e32 v2, v3
	v_pk_fma_f32 v[2:3], v[2:3], v[44:45], v[12:13] op_sel_hi:[0,1,1]
	v_pk_fma_f32 v[2:3], v[6:7], v[4:5], v[2:3] op_sel_hi:[0,1,1]
	v_cvt_f32_f16_sdwa v5, v9 dst_sel:DWORD dst_unused:UNUSED_PAD src0_sel:WORD_1
	v_cvt_f32_f16_e32 v4, v9
	v_ashrrev_i32_e32 v11, 31, v10
	v_lshlrev_b64 v[10:11], 3, v[10:11]
	v_add_co_u32_e32 v10, vcc, s70, v10
	v_mov_b32_e32 v1, s71
	v_mov_b32_e32 v6, v7
	v_addc_co_u32_e32 v11, vcc, v1, v11, vcc
	v_pk_fma_f32 v[2:3], v[6:7], v[4:5], v[2:3] op_sel_hi:[0,1,1]
	global_store_dwordx2 v[10:11], v[2:3], off
	v_mov_b32_e32 v2, 0
.LBB9_101:                              ;   in Loop: Header=BB9_14 Depth=1
	s_or_b64 exec, exec, s[34:35]
	v_cmp_gt_i32_e32 vcc, s51, v2
	s_mov_b64 s[34:35], -1
	s_and_saveexec_b64 s[36:37], vcc
; %bb.102:                              ;   in Loop: Header=BB9_14 Depth=1
	v_cmp_eq_u32_e32 vcc, 0, v2
	s_orn2_b64 s[34:35], vcc, exec
; %bb.103:                              ;   in Loop: Header=BB9_14 Depth=1
	s_or_b64 exec, exec, s[36:37]
	s_and_b64 exec, exec, s[34:35]
	s_cbranch_execz .LBB9_111
; %bb.104:                              ;   in Loop: Header=BB9_14 Depth=1
	v_add_u32_e32 v1, s67, v87
	v_cmp_gt_i32_e32 vcc, s56, v1
	v_mov_b32_e32 v2, 0x47
	s_and_saveexec_b64 s[34:35], vcc
	s_cbranch_execz .LBB9_106
; %bb.105:                              ;   in Loop: Header=BB9_14 Depth=1
	v_add_u32_e32 v2, 0, v107
	v_add_u32_e32 v6, 0xa0, v2
	ds_read2st64_b32 v[2:3], v6 offset1:11
	ds_read2st64_b32 v[4:5], v108 offset1:11
	ds_read2st64_b32 v[6:7], v6 offset0:22 offset1:33
	ds_read2st64_b32 v[8:9], v108 offset0:22 offset1:33
	v_readlane_b32 s25, v168, 2
	v_mad_u64_u32 v[10:11], s[36:37], v1, s25, v[30:31]
	s_waitcnt lgkmcnt(2)
	v_cvt_f32_f16_sdwa v13, v4 dst_sel:DWORD dst_unused:UNUSED_PAD src0_sel:WORD_1
	v_cvt_f32_f16_e32 v12, v4
	v_cvt_f32_f16_sdwa v45, v5 dst_sel:DWORD dst_unused:UNUSED_PAD src0_sel:WORD_1
	v_cvt_f32_f16_e32 v44, v5
	s_waitcnt lgkmcnt(0)
	v_cvt_f32_f16_sdwa v5, v8 dst_sel:DWORD dst_unused:UNUSED_PAD src0_sel:WORD_1
	v_cvt_f32_f16_e32 v4, v8
	v_pk_fma_f32 v[12:13], v[2:3], v[12:13], 0 op_sel_hi:[0,1,0]
	v_mov_b32_e32 v2, v3
	v_pk_fma_f32 v[2:3], v[2:3], v[44:45], v[12:13] op_sel_hi:[0,1,1]
	v_pk_fma_f32 v[2:3], v[6:7], v[4:5], v[2:3] op_sel_hi:[0,1,1]
	v_cvt_f32_f16_sdwa v5, v9 dst_sel:DWORD dst_unused:UNUSED_PAD src0_sel:WORD_1
	v_cvt_f32_f16_e32 v4, v9
	v_ashrrev_i32_e32 v11, 31, v10
	v_lshlrev_b64 v[10:11], 3, v[10:11]
	v_add_co_u32_e32 v10, vcc, s70, v10
	v_mov_b32_e32 v1, s71
	v_mov_b32_e32 v6, v7
	v_addc_co_u32_e32 v11, vcc, v1, v11, vcc
	v_pk_fma_f32 v[2:3], v[6:7], v[4:5], v[2:3] op_sel_hi:[0,1,1]
	global_store_dwordx2 v[10:11], v[2:3], off
	v_mov_b32_e32 v2, 0
.LBB9_106:                              ;   in Loop: Header=BB9_14 Depth=1
	s_or_b64 exec, exec, s[34:35]
	v_cmp_gt_i32_e32 vcc, s51, v2
	s_mov_b64 s[34:35], -1
	s_and_saveexec_b64 s[36:37], vcc
; %bb.107:                              ;   in Loop: Header=BB9_14 Depth=1
	v_cmp_eq_u32_e32 vcc, 0, v2
	s_orn2_b64 s[34:35], vcc, exec
; %bb.108:                              ;   in Loop: Header=BB9_14 Depth=1
	s_or_b64 exec, exec, s[36:37]
	s_and_b64 exec, exec, s[34:35]
	s_cbranch_execz .LBB9_111
; %bb.109:                              ;   in Loop: Header=BB9_14 Depth=1
	v_add_u32_e32 v1, s67, v88
	v_cmp_gt_i32_e32 vcc, s56, v1
	s_and_b64 exec, exec, vcc
	s_cbranch_execz .LBB9_111
; %bb.110:                              ;   in Loop: Header=BB9_14 Depth=1
	v_add_u32_e32 v2, 0, v109
	v_add_u32_e32 v6, 0xa0, v2
	ds_read2st64_b32 v[2:3], v6 offset1:11
	ds_read2st64_b32 v[4:5], v110 offset1:11
	ds_read2st64_b32 v[6:7], v6 offset0:22 offset1:33
	ds_read2st64_b32 v[8:9], v110 offset0:22 offset1:33
	v_readlane_b32 s25, v168, 2
	v_mad_u64_u32 v[10:11], s[34:35], v1, s25, v[30:31]
	s_waitcnt lgkmcnt(2)
	v_cvt_f32_f16_sdwa v13, v4 dst_sel:DWORD dst_unused:UNUSED_PAD src0_sel:WORD_1
	v_cvt_f32_f16_e32 v12, v4
	v_cvt_f32_f16_sdwa v45, v5 dst_sel:DWORD dst_unused:UNUSED_PAD src0_sel:WORD_1
	v_cvt_f32_f16_e32 v44, v5
	s_waitcnt lgkmcnt(0)
	v_cvt_f32_f16_sdwa v5, v8 dst_sel:DWORD dst_unused:UNUSED_PAD src0_sel:WORD_1
	v_cvt_f32_f16_e32 v4, v8
	v_pk_fma_f32 v[12:13], v[2:3], v[12:13], 0 op_sel_hi:[0,1,0]
	v_mov_b32_e32 v2, v3
	v_pk_fma_f32 v[2:3], v[2:3], v[44:45], v[12:13] op_sel_hi:[0,1,1]
	v_pk_fma_f32 v[2:3], v[6:7], v[4:5], v[2:3] op_sel_hi:[0,1,1]
	v_cvt_f32_f16_sdwa v5, v9 dst_sel:DWORD dst_unused:UNUSED_PAD src0_sel:WORD_1
	v_cvt_f32_f16_e32 v4, v9
	v_ashrrev_i32_e32 v11, 31, v10
	v_lshlrev_b64 v[10:11], 3, v[10:11]
	v_add_co_u32_e32 v10, vcc, s70, v10
	v_mov_b32_e32 v1, s71
	v_mov_b32_e32 v6, v7
	v_addc_co_u32_e32 v11, vcc, v1, v11, vcc
	v_pk_fma_f32 v[2:3], v[6:7], v[4:5], v[2:3] op_sel_hi:[0,1,1]
	global_store_dwordx2 v[10:11], v[2:3], off
.LBB9_111:                              ;   in Loop: Header=BB9_14 Depth=1
	s_or_b64 exec, exec, s[30:31]
	v_add_u32_e32 v2, s67, v81
	v_cmp_gt_i32_e32 vcc, s56, v2
	v_mov_b32_e32 v1, 0x47
	s_and_saveexec_b64 s[30:31], vcc
	s_cbranch_execz .LBB9_113
; %bb.112:                              ;   in Loop: Header=BB9_14 Depth=1
	v_readlane_b32 s25, v168, 2
	v_mul_lo_u32 v1, v2, s25
	v_add_u32_e32 v2, 0, v111
	v_add_u32_e32 v6, 0xa0, v2
	;; [unrolled: 1-line block ×3, first 2 shown]
	ds_read2st64_b32 v[2:3], v6 offset1:11
	ds_read2st64_b32 v[4:5], v8 offset1:11
	ds_read2st64_b32 v[6:7], v6 offset0:22 offset1:33
	ds_read2st64_b32 v[8:9], v8 offset0:22 offset1:33
	v_ashrrev_i32_e32 v11, 31, v1
	v_add_co_u32_e32 v10, vcc, v1, v16
	s_waitcnt lgkmcnt(2)
	v_cvt_f32_f16_sdwa v13, v4 dst_sel:DWORD dst_unused:UNUSED_PAD src0_sel:WORD_1
	v_cvt_f32_f16_e32 v12, v4
	v_cvt_f32_f16_sdwa v45, v5 dst_sel:DWORD dst_unused:UNUSED_PAD src0_sel:WORD_1
	v_cvt_f32_f16_e32 v44, v5
	s_waitcnt lgkmcnt(0)
	v_cvt_f32_f16_sdwa v5, v8 dst_sel:DWORD dst_unused:UNUSED_PAD src0_sel:WORD_1
	v_cvt_f32_f16_e32 v4, v8
	v_pk_fma_f32 v[12:13], v[2:3], v[12:13], 0 op_sel_hi:[0,1,0]
	v_mov_b32_e32 v2, v3
	v_pk_fma_f32 v[2:3], v[2:3], v[44:45], v[12:13] op_sel_hi:[0,1,1]
	v_pk_fma_f32 v[2:3], v[6:7], v[4:5], v[2:3] op_sel_hi:[0,1,1]
	v_cvt_f32_f16_sdwa v5, v9 dst_sel:DWORD dst_unused:UNUSED_PAD src0_sel:WORD_1
	v_cvt_f32_f16_e32 v4, v9
	v_addc_co_u32_e32 v11, vcc, 0, v11, vcc
	v_lshlrev_b64 v[10:11], 3, v[10:11]
	v_add_co_u32_e32 v10, vcc, s70, v10
	v_mov_b32_e32 v1, s71
	v_mov_b32_e32 v6, v7
	v_addc_co_u32_e32 v11, vcc, v1, v11, vcc
	v_pk_fma_f32 v[2:3], v[6:7], v[4:5], v[2:3] op_sel_hi:[0,1,1]
	v_mov_b32_e32 v1, 0
	global_store_dwordx2 v[10:11], v[2:3], off offset:256
.LBB9_113:                              ;   in Loop: Header=BB9_14 Depth=1
	s_or_b64 exec, exec, s[30:31]
	v_cmp_gt_i32_e32 vcc, s51, v1
	s_mov_b64 s[30:31], -1
	s_and_saveexec_b64 s[34:35], vcc
; %bb.114:                              ;   in Loop: Header=BB9_14 Depth=1
	v_cmp_eq_u32_e32 vcc, 0, v1
	s_orn2_b64 s[30:31], vcc, exec
; %bb.115:                              ;   in Loop: Header=BB9_14 Depth=1
	s_or_b64 exec, exec, s[34:35]
	s_and_b64 exec, exec, s[30:31]
	s_cbranch_execz .LBB9_118
; %bb.116:                              ;   in Loop: Header=BB9_14 Depth=1
	v_add_u32_e32 v1, s67, v89
	v_cmp_gt_i32_e32 vcc, s56, v1
	s_and_b64 exec, exec, vcc
	s_cbranch_execz .LBB9_118
; %bb.117:                              ;   in Loop: Header=BB9_14 Depth=1
	v_add_u32_e32 v2, 0, v113
	v_add_u32_e32 v6, 0xa0, v2
	;; [unrolled: 1-line block ×3, first 2 shown]
	ds_read2st64_b32 v[2:3], v6 offset1:11
	ds_read2st64_b32 v[4:5], v8 offset1:11
	ds_read2st64_b32 v[6:7], v6 offset0:22 offset1:33
	ds_read2st64_b32 v[8:9], v8 offset0:22 offset1:33
	v_readlane_b32 s25, v168, 2
	v_mul_lo_u32 v1, v1, s25
	s_waitcnt lgkmcnt(2)
	v_cvt_f32_f16_sdwa v13, v4 dst_sel:DWORD dst_unused:UNUSED_PAD src0_sel:WORD_1
	v_cvt_f32_f16_e32 v12, v4
	v_cvt_f32_f16_sdwa v45, v5 dst_sel:DWORD dst_unused:UNUSED_PAD src0_sel:WORD_1
	v_cvt_f32_f16_e32 v44, v5
	s_waitcnt lgkmcnt(0)
	v_cvt_f32_f16_sdwa v5, v8 dst_sel:DWORD dst_unused:UNUSED_PAD src0_sel:WORD_1
	v_cvt_f32_f16_e32 v4, v8
	v_pk_fma_f32 v[12:13], v[2:3], v[12:13], 0 op_sel_hi:[0,1,0]
	v_mov_b32_e32 v2, v3
	v_pk_fma_f32 v[2:3], v[2:3], v[44:45], v[12:13] op_sel_hi:[0,1,1]
	v_ashrrev_i32_e32 v11, 31, v1
	v_add_co_u32_e32 v10, vcc, v1, v16
	v_pk_fma_f32 v[2:3], v[6:7], v[4:5], v[2:3] op_sel_hi:[0,1,1]
	v_cvt_f32_f16_sdwa v5, v9 dst_sel:DWORD dst_unused:UNUSED_PAD src0_sel:WORD_1
	v_cvt_f32_f16_e32 v4, v9
	v_addc_co_u32_e32 v11, vcc, 0, v11, vcc
	v_lshlrev_b64 v[10:11], 3, v[10:11]
	v_add_co_u32_e32 v10, vcc, s70, v10
	v_mov_b32_e32 v1, s71
	v_mov_b32_e32 v6, v7
	v_addc_co_u32_e32 v11, vcc, v1, v11, vcc
	v_pk_fma_f32 v[2:3], v[6:7], v[4:5], v[2:3] op_sel_hi:[0,1,1]
	global_store_dwordx2 v[10:11], v[2:3], off offset:256
.LBB9_118:                              ;   in Loop: Header=BB9_14 Depth=1
	s_or_b64 exec, exec, s[28:29]
	s_barrier
	s_branch .LBB9_13
.LBB9_119:                              ;   in Loop: Header=BB9_14 Depth=1
	s_lshl_b32 s98, s50, 4
	v_add_u32_e32 v1, s98, v31
	v_cmp_le_i32_e32 vcc, s56, v1
	s_and_saveexec_b64 s[28:29], vcc
	s_xor_b64 s[28:29], exec, s[28:29]
	s_cbranch_execz .LBB9_121
; %bb.120:                              ;   in Loop: Header=BB9_14 Depth=1
	ds_write_b32 v94, v127
                                        ; implicit-def: $vgpr1
.LBB9_121:                              ;   in Loop: Header=BB9_14 Depth=1
	s_andn2_saveexec_b64 s[28:29], s[28:29]
	s_cbranch_execz .LBB9_123
; %bb.122:                              ;   in Loop: Header=BB9_14 Depth=1
	v_mad_u64_u32 v[2:3], s[30:31], v1, s57, v[30:31]
	v_ashrrev_i32_e32 v3, 31, v2
	v_lshlrev_b64 v[2:3], 3, v[2:3]
	v_mov_b32_e32 v1, s49
	v_add_co_u32_e32 v2, vcc, s23, v2
	v_addc_co_u32_e32 v3, vcc, v1, v3, vcc
	global_load_dwordx2 v[2:3], v[2:3], off
	s_waitcnt vmcnt(0)
	v_cvt_f16_f32_e32 v1, v2
	v_cvt_f16_f32_e32 v2, v3
	v_pack_b32_f16 v1, v1, v2
	v_pk_mul_f16 v1, v29, v1
	ds_write_b32 v94, v1
.LBB9_123:                              ;   in Loop: Header=BB9_14 Depth=1
	s_or_b64 exec, exec, s[28:29]
	v_add_u32_e32 v1, s98, v142
	v_cmp_le_i32_e32 vcc, s56, v1
	s_and_saveexec_b64 s[28:29], vcc
	s_xor_b64 s[28:29], exec, s[28:29]
	s_cbranch_execz .LBB9_125
; %bb.124:                              ;   in Loop: Header=BB9_14 Depth=1
	ds_write_b32 v94, v127 offset:1408
                                        ; implicit-def: $vgpr1
.LBB9_125:                              ;   in Loop: Header=BB9_14 Depth=1
	s_andn2_saveexec_b64 s[28:29], s[28:29]
	s_cbranch_execz .LBB9_127
; %bb.126:                              ;   in Loop: Header=BB9_14 Depth=1
	v_mad_u64_u32 v[2:3], s[30:31], v1, s57, v[30:31]
	v_ashrrev_i32_e32 v3, 31, v2
	v_lshlrev_b64 v[2:3], 3, v[2:3]
	v_mov_b32_e32 v1, s49
	v_add_co_u32_e32 v2, vcc, s23, v2
	v_addc_co_u32_e32 v3, vcc, v1, v3, vcc
	global_load_dwordx2 v[2:3], v[2:3], off
	s_waitcnt vmcnt(0)
	v_cvt_f16_f32_e32 v1, v2
	v_cvt_f16_f32_e32 v2, v3
	v_pack_b32_f16 v1, v1, v2
	v_pk_mul_f16 v1, v29, v1
	ds_write_b32 v94, v1 offset:1408
.LBB9_127:                              ;   in Loop: Header=BB9_14 Depth=1
	s_or_b64 exec, exec, s[28:29]
	s_mov_b64 s[28:29], exec
	v_readlane_b32 s30, v169, 61
	v_readlane_b32 s31, v169, 62
	s_and_b64 s[30:31], s[28:29], s[30:31]
	s_mov_b64 exec, s[30:31]
	s_cbranch_execz .LBB9_132
; %bb.128:                              ;   in Loop: Header=BB9_14 Depth=1
	v_or_b32_e32 v1, s98, v41
	v_cmp_le_i32_e32 vcc, s56, v1
	s_and_saveexec_b64 s[30:31], vcc
	s_xor_b64 s[30:31], exec, s[30:31]
	s_cbranch_execz .LBB9_130
; %bb.129:                              ;   in Loop: Header=BB9_14 Depth=1
	ds_write_b32 v69, v127 offset:128
                                        ; implicit-def: $vgpr1
.LBB9_130:                              ;   in Loop: Header=BB9_14 Depth=1
	s_andn2_saveexec_b64 s[30:31], s[30:31]
	s_cbranch_execz .LBB9_132
; %bb.131:                              ;   in Loop: Header=BB9_14 Depth=1
	v_mul_lo_u32 v1, v1, s57
	v_ashrrev_i32_e32 v3, 31, v1
	v_add_co_u32_e32 v2, vcc, v1, v16
	v_addc_co_u32_e32 v3, vcc, 0, v3, vcc
	v_lshlrev_b64 v[2:3], 3, v[2:3]
	v_mov_b32_e32 v1, s49
	v_add_co_u32_e32 v2, vcc, s23, v2
	v_addc_co_u32_e32 v3, vcc, v1, v3, vcc
	global_load_dwordx2 v[2:3], v[2:3], off offset:256
	s_waitcnt vmcnt(0)
	v_cvt_f16_f32_e32 v1, v2
	v_cvt_f16_f32_e32 v2, v3
	v_pack_b32_f16 v1, v1, v2
	v_pk_mul_f16 v1, v29, v1
	ds_write_b32 v69, v1 offset:128
.LBB9_132:                              ;   in Loop: Header=BB9_14 Depth=1
	s_or_b64 exec, exec, s[28:29]
	s_waitcnt lgkmcnt(0)
	s_barrier
	ds_read2_b64 v[6:9], v70 offset1:4
	ds_read2_b64 v[2:5], v70 offset0:8 offset1:12
	ds_read_b64 v[44:45], v70 offset:128
	s_mov_b32 s23, 0
	s_cmp_lt_i32 s27, 2
	v_mov_b32_e32 v159, 0
	s_waitcnt lgkmcnt(0)
	s_barrier
	s_cbranch_scc1 .LBB9_145
; %bb.133:                              ;   in Loop: Header=BB9_14 Depth=1
	v_add_u32_e32 v1, s98, v59
	v_readlane_b32 s28, v169, 14
	v_mul_hi_u32 v10, s28, v1
	v_readlane_b32 s29, v169, 15
	v_add_u32_e32 v10, v1, v10
	v_lshrrev_b32_e32 v10, s29, v10
	v_mul_lo_u32 v10, v10, s56
	v_sub_u32_e32 v1, v1, v10
	v_add_u32_e32 v10, s98, v128
	v_mul_hi_u32 v11, s28, v10
	v_add_u32_e32 v11, v10, v11
	v_lshrrev_b32_e32 v11, s29, v11
	v_mul_lo_u32 v11, v11, s56
	v_sub_u32_e32 v12, v10, v11
	v_add_u32_e32 v10, s98, v130
	v_mul_hi_u32 v11, s28, v10
	;; [unrolled: 6-line block ×3, first 2 shown]
	v_add_u32_e32 v11, v10, v11
	v_lshrrev_b32_e32 v11, s29, v11
	v_mul_lo_u32 v11, v11, s56
	v_sub_u32_e32 v15, v10, v11
	v_and_b32_e32 v10, 64, v146
	v_add_u32_e32 v10, 64, v10
	v_xor_b32_e32 v11, 32, v146
	v_cmp_lt_i32_e32 vcc, v11, v10
	v_cndmask_b32_e32 v11, v146, v11, vcc
	s_add_i32 s23, s27, -1
	v_lshlrev_b32_e32 v147, 2, v11
	v_xor_b32_e32 v11, 16, v146
	s_cmp_lg_u64 s[96:97], 0
	v_cmp_lt_i32_e32 vcc, v11, v10
	s_cselect_b64 s[30:31], -1, 0
	v_cndmask_b32_e32 v10, v146, v11, vcc
	v_readlane_b32 s28, v168, 16
	s_add_u32 s25, s74, s48
	v_lshlrev_b32_e32 v148, 2, v10
	v_pk_mov_b32 v[10:11], s[96:97], s[96:97] op_sel:[0,1]
	v_readlane_b32 s29, v168, 17
	s_mov_b32 s34, s28
	s_addc_u32 s27, s94, s91
	v_mad_i64_i32 v[54:55], s[28:29], s34, v1, v[10:11]
	v_mov_b32_e32 v1, s27
	v_add_co_u32_e32 v56, vcc, s25, v115
	v_addc_co_u32_e32 v57, vcc, v116, v1, vcc
	v_add_co_u32_e32 v58, vcc, s25, v117
	v_addc_co_u32_e32 v1, vcc, v118, v1, vcc
	v_mad_i64_i32 v[48:49], s[28:29], s34, v15, v[10:11]
	v_mad_i64_i32 v[50:51], s[28:29], s34, v13, v[10:11]
	;; [unrolled: 1-line block ×3, first 2 shown]
	v_mov_b32_e32 v10, s27
	v_add_co_u32_e32 v60, vcc, s25, v119
	s_add_u32 s25, s64, s44
	v_addc_co_u32_e32 v15, vcc, v120, v10, vcc
	s_addc_u32 s22, s45, s22
	v_mov_b32_e32 v10, s22
	v_add_co_u32_e32 v62, vcc, s25, v121
	v_addc_co_u32_e32 v63, vcc, v122, v10, vcc
	v_add_co_u32_e32 v64, vcc, s25, v123
	v_addc_co_u32_e32 v17, vcc, v124, v10, vcc
	v_add_co_u32_e32 v66, vcc, s25, v125
	v_mov_b32_e32 v151, 0
	v_mov_b32_e32 v46, v42
	;; [unrolled: 1-line block ×3, first 2 shown]
	v_addc_co_u32_e32 v19, vcc, v126, v10, vcc
	v_mov_b32_e32 v158, 0
	v_mov_b32_e32 v160, 0xfeffffff
	s_mov_b32 s22, s23
	v_mov_b32_e32 v153, 0
	v_mov_b32_e32 v150, 0
	;; [unrolled: 1-line block ×9, first 2 shown]
	v_cndmask_b32_e64 v10, 0, 1, s[30:31]
	v_cmp_ne_u32_e64 s[28:29], 1, v10
	s_andn2_b64 vcc, exec, s[30:31]
	s_cbranch_vccnz .LBB9_137
.LBB9_134:                              ;   in Loop: Header=BB9_14 Depth=1
	v_mov_b32_e32 v10, 0
	v_mov_b32_e32 v11, 0
	;; [unrolled: 1-line block ×4, first 2 shown]
	s_and_saveexec_b64 s[34:35], s[52:53]
	s_cbranch_execz .LBB9_136
; %bb.135:                              ;   in Loop: Header=BB9_14 Depth=1
	v_add_co_u32_e32 v10, vcc, v54, v28
	v_addc_co_u32_e32 v11, vcc, 0, v55, vcc
	v_add_co_u32_e32 v12, vcc, v52, v28
	v_addc_co_u32_e32 v13, vcc, 0, v53, vcc
	flat_load_ushort v10, v[10:11]
	s_nop 0
	flat_load_ushort v11, v[12:13]
	v_add_co_u32_e32 v12, vcc, v50, v28
	v_addc_co_u32_e32 v13, vcc, 0, v51, vcc
	v_add_co_u32_e32 v162, vcc, v48, v28
	v_addc_co_u32_e32 v163, vcc, 0, v49, vcc
	flat_load_ushort v12, v[12:13]
	s_nop 0
	flat_load_ushort v13, v[162:163]
.LBB9_136:                              ;   in Loop: Header=BB9_14 Depth=1
	s_or_b64 exec, exec, s[34:35]
	s_waitcnt vmcnt(0) lgkmcnt(0)
	ds_write_b16 v90, v10 offset:11264
	ds_write_b16 v129, v11 offset:11264
	;; [unrolled: 1-line block ×4, first 2 shown]
.LBB9_137:                              ;   Parent Loop BB9_14 Depth=1
                                        ; =>  This Inner Loop Header: Depth=2
	buffer_store_dword v127, off, s[0:3], 0
	buffer_store_dword v127, off, s[0:3], 0 offset:4
	buffer_store_dword v127, off, s[0:3], 0 offset:8
	buffer_store_dword v127, off, s[0:3], 0 offset:12
	s_and_saveexec_b64 s[34:35], s[42:43]
	s_cbranch_execz .LBB9_139
; %bb.138:                              ;   in Loop: Header=BB9_137 Depth=2
	global_load_dwordx4 v[10:13], v[62:63], off
	s_waitcnt vmcnt(0)
	ds_write_b128 v72, v[10:13]
.LBB9_139:                              ;   in Loop: Header=BB9_137 Depth=2
	s_or_b64 exec, exec, s[34:35]
	v_add_co_u32_e32 v10, vcc, v64, v40
	v_addc_co_u32_e32 v11, vcc, 0, v17, vcc
	v_mov_b32_e32 v43, s9
	v_mov_b32_e32 v161, s8
	v_cndmask_b32_e64 v11, v43, v11, s[10:11]
	v_cndmask_b32_e64 v10, v161, v10, s[10:11]
	flat_load_dwordx4 v[10:13], v[10:11]
	v_add_co_u32_e32 v162, vcc, v66, v40
	v_addc_co_u32_e32 v163, vcc, 0, v19, vcc
	v_cndmask_b32_e64 v163, v43, v163, s[12:13]
	v_cndmask_b32_e64 v162, v161, v162, s[12:13]
	s_and_b64 vcc, exec, s[28:29]
	s_waitcnt vmcnt(0) lgkmcnt(0)
	ds_write_b128 v79, v[10:13]
	flat_load_dwordx4 v[10:13], v[162:163]
	s_waitcnt vmcnt(0) lgkmcnt(0)
	ds_write_b128 v138, v[10:13]
	s_waitcnt lgkmcnt(0)
	s_barrier
	ds_read2_b64 v[10:13], v73 offset1:4
	s_waitcnt lgkmcnt(0)
	v_mfma_f32_16x16x16f16 v[162:165], v[10:11], v[6:7], 0
	v_mfma_f32_16x16x16f16 v[10:13], v[12:13], v[8:9], v[162:165]
	s_nop 7
	s_nop 1
	ds_read2_b64 v[162:165], v73 offset0:8 offset1:12
	s_waitcnt lgkmcnt(0)
	v_mfma_f32_16x16x16f16 v[10:13], v[162:163], v[2:3], v[10:13]
	ds_read_b64 v[162:163], v73 offset:128
	s_waitcnt lgkmcnt(0)
	s_barrier
	v_mfma_f32_16x16x16f16 v[10:13], v[164:165], v[4:5], v[10:13]
	v_mfma_f32_16x16x16f16 v[10:13], v[162:163], v[44:45], v[10:13]
	s_cbranch_vccnz .LBB9_141
; %bb.140:                              ;   in Loop: Header=BB9_137 Depth=2
	v_add_u32_e32 v43, 0x2c00, v75
	ds_read2_b32 v[162:163], v43 offset1:1
	v_mov_b32_e32 v43, v42
	s_waitcnt lgkmcnt(0)
	v_cvt_f32_f16_e32 v164, v162
	v_cvt_f32_f16_e32 v166, v163
	v_cvt_f32_f16_sdwa v167, v163 dst_sel:DWORD dst_unused:UNUSED_PAD src0_sel:WORD_1
	v_cvt_f32_f16_sdwa v165, v162 dst_sel:DWORD dst_unused:UNUSED_PAD src0_sel:WORD_1
	s_nop 1
	v_pk_fma_f32 v[12:13], v[42:43], v[166:167], v[12:13]
	v_pk_fma_f32 v[10:11], v[46:47], v[164:165], v[10:11]
.LBB9_141:                              ;   in Loop: Header=BB9_137 Depth=2
	v_add_f32_e32 v43, 0x40051340, v10
	v_max_f32_e32 v161, v160, v160
	v_max_f32_e32 v43, v161, v43
	v_cndmask_b32_e64 v43, v160, v43, s[14:15]
	v_add_f32_e32 v161, 0x40051340, v11
	v_max_f32_e32 v162, v43, v43
	v_max_f32_e32 v161, v162, v161
	v_cndmask_b32_e64 v43, v43, v161, s[16:17]
	s_nop 1
	v_add_f32_e32 v161, 0x40051340, v12
	v_max_f32_e32 v162, v43, v43
	v_max_f32_e32 v161, v162, v161
	v_cndmask_b32_e64 v43, v43, v161, s[18:19]
	v_add_f32_e32 v161, 0x40051340, v13
	v_max_f32_e32 v162, v43, v43
	v_max_f32_e32 v161, v162, v161
	v_cndmask_b32_e64 v43, v43, v161, s[20:21]
	ds_bpermute_b32 v161, v147, v43
	v_max_f32_e32 v43, v43, v43
	buffer_store_dword v127, off, s[0:3], 0
	buffer_store_dword v127, off, s[0:3], 0 offset:4
	buffer_store_dword v127, off, s[0:3], 0 offset:8
	;; [unrolled: 1-line block ×3, first 2 shown]
	s_waitcnt lgkmcnt(0)
	v_max_f32_e32 v161, v161, v161
	v_max_f32_e32 v43, v43, v161
	ds_bpermute_b32 v161, v148, v43
	s_and_saveexec_b64 s[28:29], s[42:43]
	s_cbranch_execz .LBB9_143
; %bb.142:                              ;   in Loop: Header=BB9_137 Depth=2
	global_load_dwordx4 v[162:165], v[56:57], off
	s_waitcnt vmcnt(0)
	ds_write_b128 v72, v[162:165]
.LBB9_143:                              ;   in Loop: Header=BB9_137 Depth=2
	s_or_b64 exec, exec, s[28:29]
	s_waitcnt lgkmcnt(0)
	v_max_f32_e32 v161, v161, v161
	v_max_f32_e32 v43, v43, v43
	;; [unrolled: 1-line block ×3, first 2 shown]
	v_sub_f32_e32 v10, v10, v43
	v_mul_f32_e32 v161, 0x3fb8aa3b, v10
	v_fma_f32 v162, v10, s33, -v161
	v_rndne_f32_e32 v163, v161
	v_fmac_f32_e32 v162, 0x32a5705f, v10
	v_sub_f32_e32 v161, v161, v163
	v_add_f32_e32 v161, v161, v162
	v_exp_f32_e32 v161, v161
	v_cvt_i32_f32_e32 v162, v163
	v_cmp_ngt_f32_e32 vcc, s4, v10
	v_sub_f32_e32 v11, v11, v43
	v_cndmask_b32_e64 v12, v12, v12, s[16:17]
	v_ldexp_f32 v161, v161, v162
	v_cndmask_b32_e32 v161, 0, v161, vcc
	v_cmp_nlt_f32_e32 vcc, s61, v10
	v_cndmask_b32_e32 v10, v144, v161, vcc
	v_mul_f32_e32 v161, 0x3fb8aa3b, v11
	v_fma_f32 v162, v11, s33, -v161
	v_rndne_f32_e32 v163, v161
	v_fmac_f32_e32 v162, 0x32a5705f, v11
	v_sub_f32_e32 v161, v161, v163
	v_add_f32_e32 v161, v161, v162
	v_exp_f32_e32 v161, v161
	v_cvt_i32_f32_e32 v162, v163
	v_cmp_ngt_f32_e32 vcc, s4, v11
	v_cndmask_b32_e64 v10, 0, v10, s[14:15]
	v_sub_f32_e32 v12, v12, v43
	v_ldexp_f32 v161, v161, v162
	v_cndmask_b32_e32 v161, 0, v161, vcc
	v_cmp_nlt_f32_e32 vcc, s61, v11
	v_cndmask_b32_e32 v161, v144, v161, vcc
	v_add_f32_e32 v162, v161, v10
	v_mov_b32_e32 v11, s95
	v_cndmask_b32_e64 v161, v11, v161, s[16:17]
	v_cndmask_b32_e64 v11, v10, v162, s[16:17]
	v_mul_f32_e32 v162, 0x3fb8aa3b, v12
	v_fma_f32 v163, v12, s33, -v162
	v_rndne_f32_e32 v164, v162
	v_fmac_f32_e32 v163, 0x32a5705f, v12
	v_sub_f32_e32 v162, v162, v164
	v_add_f32_e32 v162, v162, v163
	v_exp_f32_e32 v162, v162
	v_cvt_i32_f32_e32 v163, v164
	v_cmp_ngt_f32_e32 vcc, s4, v12
	v_cndmask_b32_e64 v13, v13, v13, s[16:17]
	v_cvt_f16_f32_e32 v10, v10
	v_ldexp_f32 v162, v162, v163
	v_cndmask_b32_e32 v162, 0, v162, vcc
	v_cmp_nlt_f32_e32 vcc, s61, v12
	v_cndmask_b32_e32 v162, v144, v162, vcc
	v_mov_b32_e32 v12, s95
	v_add_f32_e32 v163, v11, v162
	v_cndmask_b32_e64 v162, v12, v162, s[18:19]
	v_sub_f32_e32 v12, v13, v43
	v_mul_f32_e32 v13, 0x3fb8aa3b, v12
	v_cndmask_b32_e64 v11, v11, v163, s[18:19]
	v_fma_f32 v163, v12, s33, -v13
	v_rndne_f32_e32 v164, v13
	v_fmac_f32_e32 v163, 0x32a5705f, v12
	v_sub_f32_e32 v13, v13, v164
	v_add_f32_e32 v13, v13, v163
	v_exp_f32_e32 v13, v13
	v_cvt_i32_f32_e32 v163, v164
	v_cmp_ngt_f32_e32 vcc, s4, v12
	s_add_i32 s22, s22, -1
	s_cmp_lg_u32 s22, 0
	v_ldexp_f32 v13, v13, v163
	v_cndmask_b32_e32 v13, 0, v13, vcc
	v_cmp_nlt_f32_e32 vcc, s61, v12
	v_cndmask_b32_e32 v163, v144, v13, vcc
	v_add_f32_e32 v12, v11, v163
	v_cndmask_b32_e64 v12, v11, v12, s[20:21]
	v_sub_f32_e32 v11, v160, v43
	v_mul_f32_e32 v13, 0x3fb8aa3b, v11
	v_fma_f32 v160, v11, s33, -v13
	v_rndne_f32_e32 v164, v13
	v_fmac_f32_e32 v160, 0x32a5705f, v11
	v_sub_f32_e32 v13, v13, v164
	v_add_f32_e32 v13, v13, v160
	v_exp_f32_e32 v13, v13
	v_cvt_i32_f32_e32 v160, v164
	v_cmp_ngt_f32_e32 vcc, s4, v11
	v_mov_b32_e32 v164, s9
	v_ldexp_f32 v13, v13, v160
	v_cndmask_b32_e32 v13, 0, v13, vcc
	v_cmp_nlt_f32_e32 vcc, s61, v11
	v_cndmask_b32_e32 v13, v144, v13, vcc
	v_cmp_le_f32_e32 vcc, s5, v11
	v_cndmask_b32_e32 v11, 0, v13, vcc
	v_fmac_f32_e32 v12, v158, v11
	v_cvt_f16_f32_e32 v11, v11
	v_pk_mul_f16 v158, v11, v151 op_sel_hi:[0,1]
	v_pk_mul_f16 v151, v11, v153 op_sel_hi:[0,1]
	v_cvt_f16_f32_e32 v153, v161
	v_pk_mul_f16 v150, v11, v150 op_sel_hi:[0,1]
	v_pk_mul_f16 v149, v11, v149 op_sel_hi:[0,1]
	;; [unrolled: 1-line block ×8, first 2 shown]
	v_mov_b32_e32 v11, s95
	v_cndmask_b32_e64 v11, v11, v163, s[20:21]
	v_pack_b32_f16 v10, v10, v153
	v_cvt_f16_f32_e32 v153, v162
	v_cvt_f16_f32_e32 v11, v11
	v_pack_b32_f16 v11, v153, v11
	v_add_co_u32_e32 v153, vcc, v58, v40
	v_addc_co_u32_e32 v159, vcc, 0, v1, vcc
	v_cndmask_b32_e64 v161, v164, v159, s[10:11]
	v_mov_b32_e32 v159, s8
	v_cndmask_b32_e64 v160, v159, v153, s[10:11]
	flat_load_dwordx4 v[160:163], v[160:161]
	v_add_co_u32_e32 v153, vcc, v60, v40
	s_waitcnt vmcnt(0) lgkmcnt(0)
	ds_write_b128 v79, v[160:163]
	v_addc_co_u32_e32 v160, vcc, 0, v15, vcc
	v_cndmask_b32_e64 v161, v164, v160, s[12:13]
	v_cndmask_b32_e64 v160, v159, v153, s[12:13]
	flat_load_dwordx4 v[160:163], v[160:161]
	v_add_co_u32_e32 v48, vcc, s82, v48
	v_addc_co_u32_e32 v49, vcc, 0, v49, vcc
	v_add_co_u32_e32 v50, vcc, s82, v50
	v_addc_co_u32_e32 v51, vcc, 0, v51, vcc
	;; [unrolled: 2-line block ×4, first 2 shown]
	v_add_co_u32_e32 v56, vcc, s92, v56
	s_waitcnt vmcnt(0) lgkmcnt(0)
	ds_write_b128 v138, v[160:163]
	s_waitcnt lgkmcnt(0)
	s_barrier
	ds_read_u16 v153, v77 offset:176
	ds_read_u16 v159, v77 offset:352
	v_cvt_f32_f16_e32 v162, v149
	v_cvt_f32_f16_sdwa v163, v149 dst_sel:DWORD dst_unused:UNUSED_PAD src0_sel:WORD_1
	ds_read_u16 v149, v78
	ds_read_u16 v166, v78 offset:32
	v_cvt_f32_f16_e32 v160, v150
	v_cvt_f32_f16_sdwa v161, v150 dst_sel:DWORD dst_unused:UNUSED_PAD src0_sel:WORD_1
	s_waitcnt lgkmcnt(1)
	v_perm_b32 v165, v149, v159, s24
	ds_read_u16 v149, v76
	ds_read_u16 v167, v76 offset:32
	s_waitcnt lgkmcnt(1)
	v_perm_b32 v164, v153, v149, s24
	s_nop 1
	v_mfma_f32_16x16x16f16 v[160:163], v[164:165], v[10:11], v[160:163]
	s_nop 7
	s_nop 2
	v_cvt_f16_f32_e32 v149, v160
	v_cvt_f16_f32_e32 v150, v161
	;; [unrolled: 1-line block ×4, first 2 shown]
	v_cvt_f32_f16_e32 v160, v158
	v_pack_b32_f16 v150, v149, v150
	v_cvt_f32_f16_sdwa v161, v158 dst_sel:DWORD dst_unused:UNUSED_PAD src0_sel:WORD_1
	v_pack_b32_f16 v149, v153, v159
	ds_read_u16 v153, v134 offset:176
	ds_read_u16 v159, v134 offset:352
	v_cvt_f32_f16_e32 v162, v151
	v_cvt_f32_f16_sdwa v163, v151 dst_sel:DWORD dst_unused:UNUSED_PAD src0_sel:WORD_1
	s_waitcnt lgkmcnt(1)
	v_perm_b32 v158, v153, v167, s24
	s_waitcnt lgkmcnt(0)
	v_perm_b32 v159, v166, v159, s24
	s_nop 1
	v_mfma_f32_16x16x16f16 v[158:161], v[158:159], v[10:11], v[160:163]
	s_nop 6
	ds_read_u16 v162, v76 offset:64
	ds_read_u16 v163, v135 offset:176
	;; [unrolled: 1-line block ×4, first 2 shown]
	v_cvt_f16_f32_e32 v151, v158
	v_cvt_f16_f32_e32 v153, v159
	;; [unrolled: 1-line block ×4, first 2 shown]
	v_cvt_f32_f16_e32 v160, v154
	v_pack_b32_f16 v151, v151, v153
	v_cvt_f32_f16_sdwa v161, v154 dst_sel:DWORD dst_unused:UNUSED_PAD src0_sel:WORD_1
	v_pack_b32_f16 v153, v158, v159
	v_cvt_f32_f16_e32 v158, v155
	v_cvt_f32_f16_sdwa v159, v155 dst_sel:DWORD dst_unused:UNUSED_PAD src0_sel:WORD_1
	s_waitcnt lgkmcnt(0)
	v_perm_b32 v155, v165, v164, s24
	v_perm_b32 v154, v163, v162, s24
	ds_read_u16 v162, v76 offset:96
	ds_read_u16 v163, v136 offset:176
	;; [unrolled: 1-line block ×4, first 2 shown]
	v_mfma_f32_16x16x16f16 v[158:161], v[154:155], v[10:11], v[158:161]
	s_nop 7
	s_nop 2
	v_cvt_f16_f32_e32 v154, v158
	v_cvt_f16_f32_e32 v155, v159
	;; [unrolled: 1-line block ×4, first 2 shown]
	v_cvt_f32_f16_e32 v160, v156
	v_pack_b32_f16 v155, v154, v155
	v_cvt_f32_f16_sdwa v161, v156 dst_sel:DWORD dst_unused:UNUSED_PAD src0_sel:WORD_1
	v_pack_b32_f16 v154, v158, v159
	v_cvt_f32_f16_e32 v158, v157
	v_cvt_f32_f16_sdwa v159, v157 dst_sel:DWORD dst_unused:UNUSED_PAD src0_sel:WORD_1
	s_waitcnt lgkmcnt(0)
	v_perm_b32 v157, v165, v164, s24
	v_perm_b32 v156, v163, v162, s24
	ds_read_u16 v162, v76 offset:128
	ds_read_u16 v164, v137 offset:176
	;; [unrolled: 1-line block ×4, first 2 shown]
	v_mfma_f32_16x16x16f16 v[156:159], v[156:157], v[10:11], v[158:161]
	s_waitcnt lgkmcnt(0)
	v_perm_b32 v163, v165, v163, s24
	v_perm_b32 v162, v164, v162, s24
	s_nop 3
	v_cvt_f32_f16_e32 v160, v13
	v_cvt_f32_f16_sdwa v161, v13 dst_sel:DWORD dst_unused:UNUSED_PAD src0_sel:WORD_1
	s_barrier
	s_nop 0
	v_cvt_f16_f32_e32 v156, v156
	v_cvt_f16_f32_e32 v157, v157
	;; [unrolled: 1-line block ×4, first 2 shown]
	v_pack_b32_f16 v157, v156, v157
	v_pack_b32_f16 v156, v158, v159
	v_cvt_f32_f16_e32 v158, v152
	v_cvt_f32_f16_sdwa v159, v152 dst_sel:DWORD dst_unused:UNUSED_PAD src0_sel:WORD_1
	s_nop 1
	v_mfma_f32_16x16x16f16 v[158:161], v[162:163], v[10:11], v[158:161]
	s_nop 7
	s_nop 2
	v_cvt_f16_f32_e32 v10, v158
	v_cvt_f16_f32_e32 v11, v159
	;; [unrolled: 1-line block ×4, first 2 shown]
	v_pack_b32_f16 v152, v10, v11
	v_mov_b32_e32 v10, s93
	v_addc_co_u32_e32 v57, vcc, v57, v10, vcc
	v_add_co_u32_e32 v58, vcc, s92, v58
	v_addc_co_u32_e32 v1, vcc, v1, v10, vcc
	v_add_co_u32_e32 v60, vcc, s92, v60
	;; [unrolled: 2-line block ×3, first 2 shown]
	v_mov_b32_e32 v10, s7
	v_addc_co_u32_e32 v63, vcc, v63, v10, vcc
	v_add_co_u32_e32 v64, vcc, s6, v64
	v_addc_co_u32_e32 v17, vcc, v17, v10, vcc
	v_add_co_u32_e32 v66, vcc, s6, v66
	v_pack_b32_f16 v159, v13, v158
	v_addc_co_u32_e32 v19, vcc, v19, v10, vcc
	s_cbranch_scc0 .LBB9_146
; %bb.144:                              ;   in Loop: Header=BB9_137 Depth=2
	v_mov_b32_e32 v158, v12
	v_mov_b32_e32 v160, v43
	v_cndmask_b32_e64 v10, 0, 1, s[30:31]
	v_cmp_ne_u32_e64 s[28:29], 1, v10
	s_andn2_b64 vcc, exec, s[30:31]
	s_cbranch_vccz .LBB9_134
	s_branch .LBB9_137
.LBB9_145:                              ;   in Loop: Header=BB9_14 Depth=1
	v_mov_b32_e32 v12, 0
	v_mov_b32_e32 v43, 0xfeffffff
	;; [unrolled: 1-line block ×11, first 2 shown]
.LBB9_146:                              ;   in Loop: Header=BB9_14 Depth=1
	s_lshl_b32 s94, s23, 6
	v_readlane_b32 s22, v169, 4
	s_sub_i32 s25, s22, s94
	s_cmp_lg_u64 s[96:97], 0
	s_cselect_b64 s[34:35], -1, 0
	s_cmp_eq_u64 s[96:97], 0
	v_readlane_b32 s23, v169, 5
	s_cbranch_scc1 .LBB9_152
; %bb.147:                              ;   in Loop: Header=BB9_14 Depth=1
	v_cmp_le_i32_e32 vcc, s25, v14
                                        ; implicit-def: $sgpr22
	s_and_saveexec_b64 s[28:29], vcc
	s_xor_b64 s[28:29], exec, s[28:29]
	s_cbranch_execz .LBB9_149
; %bb.148:                              ;   in Loop: Header=BB9_14 Depth=1
	ds_write_b16 v90, v127 offset:11264
	ds_write_b16 v129, v127 offset:11264
	s_mov_b32 s22, 0
.LBB9_149:                              ;   in Loop: Header=BB9_14 Depth=1
	s_or_saveexec_b64 s[28:29], s[28:29]
	v_mov_b32_e32 v1, s22
	v_mov_b32_e32 v10, s22
	s_xor_b64 exec, exec, s[28:29]
	s_cbranch_execz .LBB9_151
; %bb.150:                              ;   in Loop: Header=BB9_14 Depth=1
	s_lshl_b64 s[22:23], s[94:95], 1
	s_add_u32 s22, s96, s22
	s_addc_u32 s23, s97, s23
	v_lshlrev_b32_e32 v1, 1, v14
	v_add_co_u32_e32 v13, vcc, s22, v1
	v_mov_b32_e32 v1, s23
	v_addc_co_u32_e32 v15, vcc, 0, v1, vcc
	v_add_u32_e32 v1, s98, v59
	v_readlane_b32 s36, v169, 14
	v_mul_hi_u32 v10, s36, v1
	v_readlane_b32 s37, v169, 15
	v_add_u32_e32 v10, v1, v10
	v_lshrrev_b32_e32 v10, s37, v10
	v_mul_lo_u32 v10, v10, s56
	v_sub_u32_e32 v1, v1, v10
	v_readlane_b32 s30, v168, 14
	v_mad_i64_i32 v[10:11], s[22:23], v1, s30, 0
	v_lshlrev_b64 v[10:11], 1, v[10:11]
	v_add_co_u32_e32 v10, vcc, v13, v10
	v_addc_co_u32_e32 v11, vcc, v15, v11, vcc
	flat_load_ushort v1, v[10:11]
	v_add_u32_e32 v10, s98, v128
	v_mul_hi_u32 v11, s36, v10
	v_add_u32_e32 v11, v10, v11
	v_lshrrev_b32_e32 v11, s37, v11
	v_mul_lo_u32 v11, v11, s56
	v_sub_u32_e32 v10, v10, v11
	v_mad_i64_i32 v[10:11], s[22:23], v10, s30, 0
	v_lshlrev_b64 v[10:11], 1, v[10:11]
	v_add_co_u32_e32 v10, vcc, v13, v10
	v_addc_co_u32_e32 v11, vcc, v15, v11, vcc
	flat_load_ushort v10, v[10:11]
	v_readlane_b32 s31, v168, 15
	s_waitcnt vmcnt(0) lgkmcnt(0)
	ds_write_b16 v90, v1 offset:11264
	ds_write_b16 v129, v10 offset:11264
	v_add_u32_e32 v1, s98, v130
	v_mul_hi_u32 v10, s36, v1
	v_add_u32_e32 v10, v1, v10
	v_lshrrev_b32_e32 v10, s37, v10
	v_mul_lo_u32 v10, v10, s56
	v_sub_u32_e32 v1, v1, v10
	v_mad_i64_i32 v[10:11], s[22:23], v1, s30, 0
	v_lshlrev_b64 v[10:11], 1, v[10:11]
	v_add_co_u32_e32 v10, vcc, v13, v10
	v_addc_co_u32_e32 v11, vcc, v15, v11, vcc
	flat_load_ushort v1, v[10:11]
	v_add_u32_e32 v10, s98, v132
	v_mul_hi_u32 v11, s36, v10
	v_add_u32_e32 v11, v10, v11
	v_lshrrev_b32_e32 v11, s37, v11
	v_mul_lo_u32 v11, v11, s56
	v_sub_u32_e32 v10, v10, v11
	v_mad_i64_i32 v[10:11], s[22:23], v10, s30, 0
	v_lshlrev_b64 v[10:11], 1, v[10:11]
	v_add_co_u32_e32 v10, vcc, v13, v10
	v_addc_co_u32_e32 v11, vcc, v15, v11, vcc
	flat_load_ushort v10, v[10:11]
.LBB9_151:                              ;   in Loop: Header=BB9_14 Depth=1
	s_or_b64 exec, exec, s[28:29]
	s_waitcnt vmcnt(0) lgkmcnt(0)
	ds_write_b16 v131, v1 offset:11264
	ds_write_b16 v133, v10 offset:11264
.LBB9_152:                              ;   in Loop: Header=BB9_14 Depth=1
	s_mul_i32 s22, s94, s81
	s_mul_hi_u32 s23, s94, s80
	s_add_i32 s23, s23, s22
	s_mul_i32 s22, s94, s80
	s_lshl_b64 s[22:23], s[22:23], 2
	s_add_u32 s22, s87, s22
	s_addc_u32 s23, s26, s23
	buffer_store_dword v127, off, s[0:3], 0
	buffer_store_dword v127, off, s[0:3], 0 offset:4
	buffer_store_dword v127, off, s[0:3], 0 offset:8
	;; [unrolled: 1-line block ×3, first 2 shown]
	s_and_saveexec_b64 s[28:29], s[42:43]
	s_cbranch_execz .LBB9_154
; %bb.153:                              ;   in Loop: Header=BB9_14 Depth=1
	v_mov_b32_e32 v1, s23
	v_add_co_u32_e32 v10, vcc, s22, v26
	v_addc_co_u32_e32 v1, vcc, v1, v27, vcc
	v_lshlrev_b32_e32 v11, 2, v18
	v_add_co_u32_e32 v10, vcc, v10, v11
	v_addc_co_u32_e32 v1, vcc, 0, v1, vcc
	v_add_co_u32_e32 v10, vcc, 0x80, v10
	v_addc_co_u32_e32 v1, vcc, 0, v1, vcc
	v_mov_b32_e32 v11, s9
	v_cmp_gt_i32_e32 vcc, s25, v71
	v_cndmask_b32_e32 v11, v11, v1, vcc
	v_mov_b32_e32 v1, s8
	v_cndmask_b32_e32 v10, v1, v10, vcc
	flat_load_dwordx4 v[46:49], v[10:11]
	s_waitcnt vmcnt(0) lgkmcnt(0)
	ds_write_b128 v72, v[46:49]
.LBB9_154:                              ;   in Loop: Header=BB9_14 Depth=1
	s_or_b64 exec, exec, s[28:29]
	v_mov_b32_e32 v1, s23
	v_add_co_u32_e32 v10, vcc, s22, v36
	v_addc_co_u32_e32 v1, vcc, v1, v37, vcc
	v_lshlrev_b32_e32 v46, 2, v20
	v_add_co_u32_e32 v10, vcc, v10, v46
	v_addc_co_u32_e32 v1, vcc, 0, v1, vcc
	v_mov_b32_e32 v13, s9
	v_cmp_gt_i32_e64 s[30:31], s25, v41
	v_cndmask_b32_e64 v11, v13, v1, s[30:31]
	v_mov_b32_e32 v1, s8
	v_cndmask_b32_e64 v10, v1, v10, s[30:31]
	flat_load_dwordx4 v[48:51], v[10:11]
	v_mov_b32_e32 v10, s23
	v_add_co_u32_e32 v11, vcc, s22, v38
	v_addc_co_u32_e32 v10, vcc, v10, v39, vcc
	v_add_co_u32_e32 v15, vcc, v11, v46
	v_addc_co_u32_e32 v10, vcc, 0, v10, vcc
	v_cmp_gt_i32_e64 s[28:29], s25, v91
	v_cndmask_b32_e64 v11, v13, v10, s[28:29]
	v_cndmask_b32_e64 v10, v1, v15, s[28:29]
	s_andn2_b64 vcc, exec, s[34:35]
	s_waitcnt vmcnt(0) lgkmcnt(0)
	ds_write_b128 v79, v[48:51]
	flat_load_dwordx4 v[48:51], v[10:11]
	s_waitcnt vmcnt(0) lgkmcnt(0)
	ds_write_b128 v138, v[48:51]
	s_waitcnt lgkmcnt(0)
	s_barrier
	ds_read2_b64 v[48:51], v73 offset1:4
	s_waitcnt lgkmcnt(0)
	v_mfma_f32_16x16x16f16 v[52:55], v[48:49], v[6:7], 0
	v_mfma_f32_16x16x16f16 v[6:9], v[50:51], v[8:9], v[52:55]
	ds_read2_b64 v[48:51], v73 offset0:8 offset1:12
	s_waitcnt lgkmcnt(0)
	v_mfma_f32_16x16x16f16 v[6:9], v[48:49], v[2:3], v[6:9]
	v_mfma_f32_16x16x16f16 v[2:5], v[50:51], v[4:5], v[6:9]
	s_nop 7
	s_nop 1
	ds_read_b64 v[6:7], v73 offset:128
	s_waitcnt lgkmcnt(0)
	v_mfma_f32_16x16x16f16 v[2:5], v[6:7], v[44:45], v[2:5]
	s_barrier
	s_cbranch_vccnz .LBB9_156
; %bb.155:                              ;   in Loop: Header=BB9_14 Depth=1
	v_add_u32_e32 v1, 0x2c00, v75
	ds_read2_b32 v[6:7], v1 offset1:1
	s_waitcnt lgkmcnt(0)
	v_cvt_f32_f16_e32 v8, v6
	v_cvt_f32_f16_e32 v10, v7
	v_cvt_f32_f16_sdwa v11, v7 dst_sel:DWORD dst_unused:UNUSED_PAD src0_sel:WORD_1
	v_cvt_f32_f16_sdwa v9, v6 dst_sel:DWORD dst_unused:UNUSED_PAD src0_sel:WORD_1
	s_nop 1
	v_pk_fma_f32 v[4:5], v[42:43], v[10:11], v[4:5] op_sel_hi:[0,1,1]
	v_pk_fma_f32 v[2:3], v[42:43], v[8:9], v[2:3] op_sel_hi:[0,1,1]
.LBB9_156:                              ;   in Loop: Header=BB9_14 Depth=1
	v_add_f32_e32 v1, 0x40051340, v2
	v_max_f32_e32 v6, v43, v43
	v_max_f32_e32 v1, v6, v1
	v_cmp_gt_u32_e64 s[40:41], s25, v74
	v_cndmask_b32_e64 v1, v43, v1, s[40:41]
	v_add_f32_e32 v6, 0x40051340, v3
	v_max_f32_e32 v7, v1, v1
	v_max_f32_e32 v6, v7, v6
	v_cmp_gt_u32_e64 s[38:39], s25, v139
	v_cndmask_b32_e64 v1, v1, v6, s[38:39]
	;; [unrolled: 5-line block ×4, first 2 shown]
	v_and_b32_e32 v6, 64, v146
	v_add_u32_e32 v6, 64, v6
	v_xor_b32_e32 v7, 32, v146
	v_cmp_lt_i32_e32 vcc, v7, v6
	v_cndmask_b32_e32 v7, v146, v7, vcc
	v_lshlrev_b32_e32 v13, 2, v7
	ds_bpermute_b32 v7, v13, v1
	v_max_f32_e32 v1, v1, v1
	s_mul_i32 s22, s94, s63
	s_mul_hi_u32 s23, s94, s62
	s_add_i32 s23, s23, s22
	s_waitcnt lgkmcnt(0)
	v_max_f32_e32 v7, v7, v7
	v_max_f32_e32 v1, v1, v7
	v_xor_b32_e32 v7, 16, v146
	v_cmp_lt_i32_e32 vcc, v7, v6
	v_cndmask_b32_e32 v6, v146, v7, vcc
	v_lshlrev_b32_e32 v15, 2, v6
	ds_bpermute_b32 v6, v15, v1
	s_mul_i32 s22, s94, s62
	s_lshl_b64 s[26:27], s[22:23], 2
	s_add_u32 s23, s88, s26
	s_addc_u32 s22, s89, s27
	buffer_store_dword v127, off, s[0:3], 0
	buffer_store_dword v127, off, s[0:3], 0 offset:4
	buffer_store_dword v127, off, s[0:3], 0 offset:8
	;; [unrolled: 1-line block ×3, first 2 shown]
	s_and_saveexec_b64 s[96:97], s[42:43]
	s_cbranch_execz .LBB9_158
; %bb.157:                              ;   in Loop: Header=BB9_14 Depth=1
	v_mov_b32_e32 v7, s22
	v_add_co_u32_e32 v8, vcc, s23, v24
	v_addc_co_u32_e32 v7, vcc, v7, v25, vcc
	v_lshlrev_b32_e32 v9, 2, v18
	v_add_co_u32_e32 v8, vcc, v8, v9
	v_addc_co_u32_e32 v7, vcc, 0, v7, vcc
	v_add_co_u32_e32 v8, vcc, 0x80, v8
	v_addc_co_u32_e32 v7, vcc, 0, v7, vcc
	v_mov_b32_e32 v9, s9
	v_cmp_gt_i32_e32 vcc, s25, v71
	v_cndmask_b32_e32 v9, v9, v7, vcc
	v_mov_b32_e32 v7, s8
	v_cndmask_b32_e32 v8, v7, v8, vcc
	flat_load_dwordx4 v[8:11], v[8:9]
	s_waitcnt vmcnt(0) lgkmcnt(0)
	ds_write_b128 v72, v[8:11]
.LBB9_158:                              ;   in Loop: Header=BB9_14 Depth=1
	s_or_b64 exec, exec, s[96:97]
	s_waitcnt lgkmcnt(0)
	v_max_f32_e32 v6, v6, v6
	v_max_f32_e32 v1, v1, v1
	;; [unrolled: 1-line block ×3, first 2 shown]
	v_sub_f32_e32 v1, v2, v6
	v_mul_f32_e32 v2, 0x3fb8aa3b, v1
	v_fma_f32 v7, v1, s33, -v2
	v_rndne_f32_e32 v8, v2
	v_fmac_f32_e32 v7, 0x32a5705f, v1
	v_sub_f32_e32 v2, v2, v8
	v_add_f32_e32 v2, v2, v7
	v_exp_f32_e32 v2, v2
	v_cvt_i32_f32_e32 v7, v8
	v_cmp_ngt_f32_e32 vcc, s4, v1
	v_cndmask_b32_e64 v4, v4, v4, s[38:39]
	v_cndmask_b32_e64 v5, v5, v5, s[38:39]
	v_ldexp_f32 v2, v2, v7
	v_cndmask_b32_e32 v2, 0, v2, vcc
	v_cmp_nlt_f32_e32 vcc, s61, v1
	v_cndmask_b32_e32 v1, v144, v2, vcc
	v_cndmask_b32_e64 v2, 0, v1, s[40:41]
	v_sub_f32_e32 v1, v3, v6
	v_mul_f32_e32 v3, 0x3fb8aa3b, v1
	v_fma_f32 v7, v1, s33, -v3
	v_rndne_f32_e32 v8, v3
	v_fmac_f32_e32 v7, 0x32a5705f, v1
	v_sub_f32_e32 v3, v3, v8
	v_add_f32_e32 v3, v3, v7
	v_exp_f32_e32 v3, v3
	v_cvt_i32_f32_e32 v7, v8
	v_cmp_ngt_f32_e32 vcc, s4, v1
	v_mov_b32_e32 v47, s9
	v_mov_b32_e32 v48, s8
	v_ldexp_f32 v3, v3, v7
	v_cndmask_b32_e32 v3, 0, v3, vcc
	v_cmp_nlt_f32_e32 vcc, s61, v1
	v_cndmask_b32_e32 v3, v144, v3, vcc
	v_mov_b32_e32 v1, s95
	v_add_f32_e32 v7, v3, v2
	v_cndmask_b32_e64 v42, v1, v3, s[38:39]
	v_sub_f32_e32 v3, v4, v6
	v_mul_f32_e32 v4, 0x3fb8aa3b, v3
	v_cndmask_b32_e64 v1, v2, v7, s[38:39]
	v_fma_f32 v7, v3, s33, -v4
	v_rndne_f32_e32 v8, v4
	v_fmac_f32_e32 v7, 0x32a5705f, v3
	v_sub_f32_e32 v4, v4, v8
	v_add_f32_e32 v4, v4, v7
	v_exp_f32_e32 v4, v4
	v_cvt_i32_f32_e32 v7, v8
	v_cmp_ngt_f32_e32 vcc, s4, v3
	v_cvt_f16_f32_e32 v2, v2
	v_cvt_f16_f32_e32 v42, v42
	v_ldexp_f32 v4, v4, v7
	v_cndmask_b32_e32 v4, 0, v4, vcc
	v_cmp_nlt_f32_e32 vcc, s61, v3
	v_cndmask_b32_e32 v3, v144, v4, vcc
	v_mov_b32_e32 v4, s95
	v_add_f32_e32 v7, v1, v3
	v_cndmask_b32_e64 v44, v4, v3, s[36:37]
	v_sub_f32_e32 v3, v5, v6
	v_mul_f32_e32 v4, 0x3fb8aa3b, v3
	v_cndmask_b32_e64 v1, v1, v7, s[36:37]
	v_fma_f32 v5, v3, s33, -v4
	v_rndne_f32_e32 v7, v4
	v_fmac_f32_e32 v5, 0x32a5705f, v3
	v_sub_f32_e32 v4, v4, v7
	v_add_f32_e32 v4, v4, v5
	v_exp_f32_e32 v4, v4
	v_cvt_i32_f32_e32 v5, v7
	v_cmp_ngt_f32_e32 vcc, s4, v3
	v_pack_b32_f16 v2, v2, v42
	v_cvt_f16_f32_e32 v42, v44
	v_ldexp_f32 v4, v4, v5
	v_cndmask_b32_e32 v4, 0, v4, vcc
	v_cmp_nlt_f32_e32 vcc, s61, v3
	v_cndmask_b32_e32 v45, v144, v4, vcc
	v_add_f32_e32 v3, v1, v45
	v_cndmask_b32_e64 v7, v1, v3, s[34:35]
	v_sub_f32_e32 v1, v43, v6
	v_mul_f32_e32 v3, 0x3fb8aa3b, v1
	v_fma_f32 v4, v1, s33, -v3
	v_rndne_f32_e32 v5, v3
	v_fmac_f32_e32 v4, 0x32a5705f, v1
	v_sub_f32_e32 v3, v3, v5
	v_add_f32_e32 v3, v3, v4
	v_exp_f32_e32 v3, v3
	v_cvt_i32_f32_e32 v4, v5
	v_cmp_ngt_f32_e32 vcc, s4, v1
	v_mov_b32_e32 v43, s22
	s_cmp_eq_u64 s[46:47], 0
	v_ldexp_f32 v3, v3, v4
	v_cndmask_b32_e32 v3, 0, v3, vcc
	v_cmp_nlt_f32_e32 vcc, s61, v1
	v_cndmask_b32_e32 v3, v144, v3, vcc
	v_cmp_le_f32_e32 vcc, s5, v1
	v_cndmask_b32_e32 v1, 0, v3, vcc
	v_cvt_f16_f32_e32 v3, v1
	v_fmac_f32_e32 v7, v12, v1
	v_pk_mul_f16 v4, v3, v150 op_sel_hi:[0,1]
	v_pk_mul_f16 v1, v3, v149 op_sel_hi:[0,1]
	;; [unrolled: 1-line block ×10, first 2 shown]
	v_mov_b32_e32 v3, s95
	v_cndmask_b32_e64 v3, v3, v45, s[34:35]
	v_cvt_f16_f32_e32 v3, v3
	v_pack_b32_f16 v3, v42, v3
	v_add_co_u32_e32 v42, vcc, s23, v32
	v_addc_co_u32_e32 v43, vcc, v43, v33, vcc
	v_add_co_u32_e32 v42, vcc, v42, v46
	v_addc_co_u32_e32 v43, vcc, 0, v43, vcc
	v_cndmask_b32_e64 v43, v47, v43, s[30:31]
	v_cndmask_b32_e64 v42, v48, v42, s[30:31]
	flat_load_dwordx4 v[42:45], v[42:43]
	s_waitcnt vmcnt(0) lgkmcnt(0)
	ds_write_b128 v79, v[42:45]
	v_add_co_u32_e32 v42, vcc, s23, v34
	v_mov_b32_e32 v43, s22
	v_addc_co_u32_e32 v43, vcc, v43, v35, vcc
	v_add_co_u32_e32 v42, vcc, v42, v46
	v_addc_co_u32_e32 v43, vcc, 0, v43, vcc
	v_cndmask_b32_e64 v43, v47, v43, s[28:29]
	v_cndmask_b32_e64 v42, v48, v42, s[28:29]
	flat_load_dwordx4 v[42:45], v[42:43]
	s_cselect_b64 s[22:23], -1, 0
	s_xor_b64 s[26:27], s[54:55], -1
	s_or_b64 s[22:23], s[26:27], s[22:23]
	s_waitcnt vmcnt(0) lgkmcnt(0)
	ds_write_b128 v138, v[42:45]
	s_waitcnt lgkmcnt(0)
	s_barrier
	ds_read_u16 v46, v77 offset:176
	ds_read_u16 v47, v77 offset:352
	v_cvt_f32_f16_e32 v44, v1
	v_cvt_f32_f16_sdwa v45, v1 dst_sel:DWORD dst_unused:UNUSED_PAD src0_sel:WORD_1
	ds_read_u16 v1, v78
	ds_read_u16 v48, v78 offset:32
	v_cvt_f32_f16_e32 v42, v4
	v_cvt_f32_f16_sdwa v43, v4 dst_sel:DWORD dst_unused:UNUSED_PAD src0_sel:WORD_1
	s_waitcnt lgkmcnt(1)
	v_perm_b32 v47, v1, v47, s24
	ds_read_u16 v1, v76
	ds_read_u16 v49, v76 offset:32
	s_waitcnt lgkmcnt(1)
	v_perm_b32 v46, v46, v1, s24
	s_nop 1
	v_mfma_f32_16x16x16f16 v[42:45], v[46:47], v[2:3], v[42:45]
	ds_read_u16 v46, v134 offset:176
	ds_read_u16 v47, v134 offset:352
	s_waitcnt lgkmcnt(1)
	v_perm_b32 v46, v46, v49, s24
	s_waitcnt lgkmcnt(0)
	v_perm_b32 v47, v48, v47, s24
	s_nop 4
	v_cvt_f16_f32_e32 v1, v42
	v_cvt_f16_f32_e32 v4, v43
	v_cvt_f16_f32_e32 v42, v44
	v_cvt_f16_f32_e32 v43, v45
	v_cvt_f32_f16_e32 v44, v5
	v_pack_b32_f16 v4, v1, v4
	v_cvt_f32_f16_sdwa v45, v5 dst_sel:DWORD dst_unused:UNUSED_PAD src0_sel:WORD_1
	v_pack_b32_f16 v1, v42, v43
	v_cvt_f32_f16_e32 v42, v8
	v_cvt_f32_f16_sdwa v43, v8 dst_sel:DWORD dst_unused:UNUSED_PAD src0_sel:WORD_1
	s_nop 1
	v_mfma_f32_16x16x16f16 v[42:45], v[46:47], v[2:3], v[42:45]
	ds_read_u16 v46, v76 offset:64
	ds_read_u16 v48, v135 offset:176
	ds_read_u16 v47, v135 offset:352
	ds_read_u16 v49, v78 offset:64
	s_waitcnt lgkmcnt(2)
	v_perm_b32 v46, v48, v46, s24
	s_waitcnt lgkmcnt(0)
	v_perm_b32 v47, v49, v47, s24
	s_nop 2
	v_cvt_f16_f32_e32 v5, v42
	v_cvt_f16_f32_e32 v8, v43
	v_cvt_f16_f32_e32 v42, v44
	v_cvt_f16_f32_e32 v43, v45
	v_cvt_f32_f16_e32 v44, v9
	v_pack_b32_f16 v8, v5, v8
	v_cvt_f32_f16_sdwa v45, v9 dst_sel:DWORD dst_unused:UNUSED_PAD src0_sel:WORD_1
	v_pack_b32_f16 v5, v42, v43
	v_cvt_f32_f16_e32 v42, v10
	v_cvt_f32_f16_sdwa v43, v10 dst_sel:DWORD dst_unused:UNUSED_PAD src0_sel:WORD_1
	s_nop 1
	v_mfma_f32_16x16x16f16 v[42:45], v[46:47], v[2:3], v[42:45]
	ds_read_u16 v46, v76 offset:96
	ds_read_u16 v48, v136 offset:176
	;; [unrolled: 21-line block ×3, first 2 shown]
	ds_read_u16 v47, v137 offset:352
	ds_read_u16 v49, v78 offset:128
	s_waitcnt lgkmcnt(0)
	s_barrier
	v_perm_b32 v46, v48, v46, s24
	v_perm_b32 v47, v49, v47, s24
	s_nop 2
	v_cvt_f16_f32_e32 v11, v42
	v_cvt_f16_f32_e32 v12, v43
	;; [unrolled: 1-line block ×4, first 2 shown]
	v_cvt_f32_f16_e32 v44, v17
	v_pack_b32_f16 v12, v11, v12
	v_cvt_f32_f16_sdwa v45, v17 dst_sel:DWORD dst_unused:UNUSED_PAD src0_sel:WORD_1
	v_pack_b32_f16 v11, v42, v43
	v_cvt_f32_f16_e32 v42, v19
	v_cvt_f32_f16_sdwa v43, v19 dst_sel:DWORD dst_unused:UNUSED_PAD src0_sel:WORD_1
	s_nop 1
	v_mfma_f32_16x16x16f16 v[42:45], v[46:47], v[2:3], v[42:45]
	s_nop 7
	s_nop 2
	v_cvt_f16_f32_e32 v2, v42
	v_cvt_f16_f32_e32 v3, v43
	;; [unrolled: 1-line block ×4, first 2 shown]
	v_pack_b32_f16 v2, v2, v3
	v_pack_b32_f16 v3, v17, v19
	ds_bpermute_b32 v17, v13, v7
	s_waitcnt lgkmcnt(0)
	v_add_f32_e32 v7, v7, v17
	ds_bpermute_b32 v17, v15, v7
	s_waitcnt lgkmcnt(0)
	v_add_f32_e32 v7, v7, v17
	s_and_saveexec_b64 s[26:27], s[22:23]
	s_xor_b64 s[28:29], exec, s[26:27]
	s_andn2_saveexec_b64 s[28:29], s[28:29]
	s_cbranch_execz .LBB9_160
; %bb.159:                              ;   in Loop: Header=BB9_14 Depth=1
	global_load_dword v17, v127, s[46:47]
	v_max_f32_e32 v42, v6, v6
	s_waitcnt vmcnt(0)
	v_max_f32_e32 v19, v17, v17
	v_max_f32_e32 v42, v42, v19
	v_sub_f32_e32 v6, v6, v42
	v_mul_f32_e32 v19, 0x3fb8aa3b, v6
	v_fma_f32 v43, v6, s33, -v19
	v_rndne_f32_e32 v44, v19
	v_fmac_f32_e32 v43, 0x32a5705f, v6
	v_sub_f32_e32 v19, v19, v44
	v_add_f32_e32 v19, v19, v43
	v_exp_f32_e32 v19, v19
	v_cvt_i32_f32_e32 v43, v44
	v_cmp_ngt_f32_e32 vcc, s4, v6
	v_sub_f32_e32 v17, v17, v42
	v_ldexp_f32 v19, v19, v43
	v_cndmask_b32_e32 v19, 0, v19, vcc
	v_cmp_nlt_f32_e32 vcc, s61, v6
	v_cndmask_b32_e32 v19, v144, v19, vcc
	v_cmp_le_f32_e32 vcc, s5, v6
	v_cndmask_b32_e32 v6, 0, v19, vcc
	v_cvt_f16_f32_e32 v19, v6
	v_cmp_ngt_f32_e32 vcc, s4, v17
	v_pk_mul_f16 v4, v19, v4 op_sel_hi:[0,1]
	v_pk_mul_f16 v1, v19, v1 op_sel_hi:[0,1]
	;; [unrolled: 1-line block ×10, first 2 shown]
	v_mul_f32_e32 v19, 0x3fb8aa3b, v17
	v_fma_f32 v43, v17, s33, -v19
	v_rndne_f32_e32 v44, v19
	v_fmac_f32_e32 v43, 0x32a5705f, v17
	v_sub_f32_e32 v19, v19, v44
	v_add_f32_e32 v19, v19, v43
	v_exp_f32_e32 v19, v19
	v_cvt_i32_f32_e32 v43, v44
	v_ldexp_f32 v19, v19, v43
	v_cndmask_b32_e32 v19, 0, v19, vcc
	v_cmp_nlt_f32_e32 vcc, s61, v17
	v_cndmask_b32_e32 v43, v144, v19, vcc
	v_fmac_f32_e32 v43, v7, v6
	v_pk_mov_b32 v[6:7], v[42:43], v[42:43] op_sel:[0,1]
.LBB9_160:                              ;   in Loop: Header=BB9_14 Depth=1
	s_or_b64 exec, exec, s[28:29]
	s_and_saveexec_b64 s[28:29], s[58:59]
	s_cbranch_execz .LBB9_162
; %bb.161:                              ;   in Loop: Header=BB9_14 Depth=1
	v_add_u32_e32 v17, 0, v92
	ds_write2_b32 v17, v6, v7 offset0:40 offset1:41
.LBB9_162:                              ;   in Loop: Header=BB9_14 Depth=1
	s_or_b64 exec, exec, s[28:29]
	s_waitcnt lgkmcnt(0)
	s_barrier
	s_mov_b64 s[22:23], exec
	v_readlane_b32 s26, v168, 12
	v_readlane_b32 s27, v168, 13
	s_and_b64 s[26:27], s[22:23], s[26:27]
	s_xor_b64 s[28:29], s[26:27], s[22:23]
	s_mov_b64 exec, s[26:27]
	s_cbranch_execz .LBB9_164
; %bb.163:                              ;   in Loop: Header=BB9_14 Depth=1
	s_barrier
	s_waitcnt lgkmcnt(0)
                                        ; implicit-def: $vgpr13
                                        ; implicit-def: $vgpr15
.LBB9_164:                              ;   in Loop: Header=BB9_14 Depth=1
	s_andn2_saveexec_b64 s[28:29], s[28:29]
	s_cbranch_execz .LBB9_166
; %bb.165:                              ;   in Loop: Header=BB9_14 Depth=1
	v_add_u32_e32 v17, 0, v92
	ds_read_b64 v[6:7], v17 offset:160
	s_waitcnt lgkmcnt(0)
	s_barrier
	ds_bpermute_b32 v19, v13, v6
	v_max_f32_e32 v42, v6, v6
	s_waitcnt lgkmcnt(0)
	v_max_f32_e32 v19, v19, v19
	v_max_f32_e32 v19, v42, v19
	ds_bpermute_b32 v42, v15, v19
	s_waitcnt lgkmcnt(0)
	v_max_f32_e32 v42, v42, v42
	v_max_f32_e32 v19, v19, v42
	v_sub_f32_e32 v6, v6, v19
	v_mul_f32_e32 v19, 0x3fb8aa3b, v6
	v_fma_f32 v42, v6, s33, -v19
	v_rndne_f32_e32 v43, v19
	v_fmac_f32_e32 v42, 0x32a5705f, v6
	v_sub_f32_e32 v19, v19, v43
	v_add_f32_e32 v19, v19, v42
	v_cvt_i32_f32_e32 v43, v43
	v_exp_f32_e32 v19, v19
	v_cmp_ngt_f32_e32 vcc, s4, v6
	v_ldexp_f32 v19, v19, v43
	v_cndmask_b32_e32 v19, 0, v19, vcc
	v_cmp_nlt_f32_e32 vcc, s61, v6
	v_cndmask_b32_e32 v6, v144, v19, vcc
	v_mul_f32_e32 v19, v7, v6
	ds_bpermute_b32 v13, v13, v19
	s_waitcnt lgkmcnt(0)
	v_fmac_f32_e32 v13, v7, v6
	ds_bpermute_b32 v7, v15, v13
	s_waitcnt lgkmcnt(0)
	v_add_f32_e32 v7, v13, v7
	ds_write_b64 v17, v[6:7] offset:160
.LBB9_166:                              ;   in Loop: Header=BB9_14 Depth=1
	s_or_b64 exec, exec, s[28:29]
	ds_write2_b32 v93, v4, v1 offset1:1
	ds_write2_b32 v93, v8, v5 offset0:8 offset1:9
	ds_write2_b32 v93, v10, v9 offset0:16 offset1:17
	ds_write2_b32 v93, v12, v11 offset0:24 offset1:25
	ds_write2_b32 v93, v2, v3 offset0:32 offset1:33
	s_waitcnt lgkmcnt(0)
	s_barrier
	s_and_saveexec_b64 s[28:29], s[54:55]
	s_cbranch_execz .LBB9_12
; %bb.167:                              ;   in Loop: Header=BB9_14 Depth=1
	v_add_u32_e32 v1, s98, v80
	v_cmp_gt_i32_e32 vcc, s56, v1
	v_mov_b32_e32 v2, 0x47
	s_and_saveexec_b64 s[30:31], vcc
	s_cbranch_execz .LBB9_169
; %bb.168:                              ;   in Loop: Header=BB9_14 Depth=1
	v_add_u32_e32 v10, 0, v95
	ds_read2_b32 v[2:3], v10 offset0:40 offset1:41
	ds_read2st64_b32 v[4:5], v96 offset1:11
	v_add_u32_e32 v6, 0xa0, v10
	ds_read2st64_b32 v[6:7], v6 offset0:11 offset1:22
	ds_read2st64_b32 v[8:9], v96 offset0:22 offset1:33
	ds_read_b32 v10, v10 offset:8608
	v_readlane_b32 s22, v168, 2
	v_mad_u64_u32 v[12:13], s[22:23], v1, s22, v[30:31]
	s_waitcnt lgkmcnt(3)
	v_cvt_f32_f16_sdwa v43, v4 dst_sel:DWORD dst_unused:UNUSED_PAD src0_sel:WORD_1
	v_cvt_f32_f16_e32 v42, v4
	v_cvt_f32_f16_sdwa v45, v5 dst_sel:DWORD dst_unused:UNUSED_PAD src0_sel:WORD_1
	v_cvt_f32_f16_e32 v44, v5
	v_ashrrev_i32_e32 v13, 31, v12
	v_pk_fma_f32 v[42:43], v[2:3], v[42:43], 0 op_sel_hi:[0,1,0]
	s_waitcnt lgkmcnt(2)
	v_mov_b32_e32 v2, v7
	v_pk_fma_f32 v[4:5], v[6:7], v[44:45], v[42:43] op_sel_hi:[0,1,1]
	s_waitcnt lgkmcnt(1)
	v_cvt_f32_f16_sdwa v43, v8 dst_sel:DWORD dst_unused:UNUSED_PAD src0_sel:WORD_1
	v_cvt_f32_f16_e32 v42, v8
	v_cvt_f32_f16_sdwa v7, v9 dst_sel:DWORD dst_unused:UNUSED_PAD src0_sel:WORD_1
	v_cvt_f32_f16_e32 v6, v9
	v_lshlrev_b64 v[12:13], 3, v[12:13]
	v_pk_fma_f32 v[4:5], v[2:3], v[42:43], v[4:5] op_sel_hi:[0,1,1]
	v_add_co_u32_e32 v12, vcc, s70, v12
	v_mov_b32_e32 v1, s71
	s_waitcnt lgkmcnt(0)
	v_pk_fma_f32 v[4:5], v[10:11], v[6:7], v[4:5] op_sel_hi:[0,1,1]
	v_addc_co_u32_e32 v13, vcc, v1, v13, vcc
	v_div_scale_f32 v1, s[22:23], v3, v3, v5
	v_rcp_f32_e32 v2, v1
	v_fma_f32 v6, -v1, v2, 1.0
	v_fmac_f32_e32 v2, v6, v2
	v_div_scale_f32 v6, vcc, v5, v3, v5
	v_mul_f32_e32 v7, v6, v2
	v_fma_f32 v8, -v1, v7, v6
	v_fmac_f32_e32 v7, v8, v2
	v_fma_f32 v1, -v1, v7, v6
	v_div_fmas_f32 v1, v1, v2, v7
	v_div_fixup_f32 v5, v1, v3, v5
	v_div_scale_f32 v1, s[22:23], v3, v3, v4
	v_rcp_f32_e32 v2, v1
	v_fma_f32 v6, -v1, v2, 1.0
	v_fmac_f32_e32 v2, v6, v2
	v_div_scale_f32 v6, vcc, v4, v3, v4
	v_mul_f32_e32 v7, v6, v2
	v_fma_f32 v8, -v1, v7, v6
	v_fmac_f32_e32 v7, v8, v2
	v_fma_f32 v1, -v1, v7, v6
	v_div_fmas_f32 v1, v1, v2, v7
	v_div_fixup_f32 v4, v1, v3, v4
	v_mov_b32_e32 v2, 0
	global_store_dwordx2 v[12:13], v[4:5], off
.LBB9_169:                              ;   in Loop: Header=BB9_14 Depth=1
	s_or_b64 exec, exec, s[30:31]
	v_cmp_gt_i32_e32 vcc, s51, v2
	s_mov_b64 s[34:35], -1
	s_and_saveexec_b64 s[30:31], vcc
; %bb.170:                              ;   in Loop: Header=BB9_14 Depth=1
	v_cmp_eq_u32_e32 vcc, 0, v2
	s_orn2_b64 s[34:35], vcc, exec
; %bb.171:                              ;   in Loop: Header=BB9_14 Depth=1
	s_or_b64 exec, exec, s[30:31]
	s_and_saveexec_b64 s[30:31], s[34:35]
	s_cbranch_execz .LBB9_204
; %bb.172:                              ;   in Loop: Header=BB9_14 Depth=1
	v_add_u32_e32 v1, s98, v82
	v_cmp_gt_i32_e32 vcc, s56, v1
	v_mov_b32_e32 v2, 0x47
	s_and_saveexec_b64 s[34:35], vcc
	s_cbranch_execz .LBB9_174
; %bb.173:                              ;   in Loop: Header=BB9_14 Depth=1
	v_add_u32_e32 v10, 0, v97
	ds_read2_b32 v[2:3], v10 offset0:40 offset1:41
	ds_read2st64_b32 v[4:5], v98 offset1:11
	v_add_u32_e32 v6, 0xa0, v10
	ds_read2st64_b32 v[6:7], v6 offset0:11 offset1:22
	ds_read2st64_b32 v[8:9], v98 offset0:22 offset1:33
	ds_read_b32 v10, v10 offset:8608
	v_readlane_b32 s22, v168, 2
	v_mad_u64_u32 v[12:13], s[22:23], v1, s22, v[30:31]
	s_waitcnt lgkmcnt(3)
	v_cvt_f32_f16_sdwa v43, v4 dst_sel:DWORD dst_unused:UNUSED_PAD src0_sel:WORD_1
	v_cvt_f32_f16_e32 v42, v4
	v_cvt_f32_f16_sdwa v45, v5 dst_sel:DWORD dst_unused:UNUSED_PAD src0_sel:WORD_1
	v_cvt_f32_f16_e32 v44, v5
	v_ashrrev_i32_e32 v13, 31, v12
	v_pk_fma_f32 v[42:43], v[2:3], v[42:43], 0 op_sel_hi:[0,1,0]
	s_waitcnt lgkmcnt(2)
	v_mov_b32_e32 v2, v7
	v_pk_fma_f32 v[4:5], v[6:7], v[44:45], v[42:43] op_sel_hi:[0,1,1]
	s_waitcnt lgkmcnt(1)
	v_cvt_f32_f16_sdwa v43, v8 dst_sel:DWORD dst_unused:UNUSED_PAD src0_sel:WORD_1
	v_cvt_f32_f16_e32 v42, v8
	v_cvt_f32_f16_sdwa v7, v9 dst_sel:DWORD dst_unused:UNUSED_PAD src0_sel:WORD_1
	v_cvt_f32_f16_e32 v6, v9
	v_lshlrev_b64 v[12:13], 3, v[12:13]
	v_pk_fma_f32 v[4:5], v[2:3], v[42:43], v[4:5] op_sel_hi:[0,1,1]
	v_add_co_u32_e32 v12, vcc, s70, v12
	v_mov_b32_e32 v1, s71
	s_waitcnt lgkmcnt(0)
	v_pk_fma_f32 v[4:5], v[10:11], v[6:7], v[4:5] op_sel_hi:[0,1,1]
	v_addc_co_u32_e32 v13, vcc, v1, v13, vcc
	v_div_scale_f32 v1, s[22:23], v3, v3, v5
	v_rcp_f32_e32 v2, v1
	v_fma_f32 v6, -v1, v2, 1.0
	v_fmac_f32_e32 v2, v6, v2
	v_div_scale_f32 v6, vcc, v5, v3, v5
	v_mul_f32_e32 v7, v6, v2
	v_fma_f32 v8, -v1, v7, v6
	v_fmac_f32_e32 v7, v8, v2
	v_fma_f32 v1, -v1, v7, v6
	v_div_fmas_f32 v1, v1, v2, v7
	v_div_fixup_f32 v5, v1, v3, v5
	v_div_scale_f32 v1, s[22:23], v3, v3, v4
	v_rcp_f32_e32 v2, v1
	v_fma_f32 v6, -v1, v2, 1.0
	v_fmac_f32_e32 v2, v6, v2
	v_div_scale_f32 v6, vcc, v4, v3, v4
	v_mul_f32_e32 v7, v6, v2
	v_fma_f32 v8, -v1, v7, v6
	v_fmac_f32_e32 v7, v8, v2
	v_fma_f32 v1, -v1, v7, v6
	v_div_fmas_f32 v1, v1, v2, v7
	v_div_fixup_f32 v4, v1, v3, v4
	v_mov_b32_e32 v2, 0
	global_store_dwordx2 v[12:13], v[4:5], off
.LBB9_174:                              ;   in Loop: Header=BB9_14 Depth=1
	s_or_b64 exec, exec, s[34:35]
	v_cmp_gt_i32_e32 vcc, s51, v2
	s_mov_b64 s[34:35], -1
	s_and_saveexec_b64 s[36:37], vcc
; %bb.175:                              ;   in Loop: Header=BB9_14 Depth=1
	v_cmp_eq_u32_e32 vcc, 0, v2
	s_orn2_b64 s[34:35], vcc, exec
; %bb.176:                              ;   in Loop: Header=BB9_14 Depth=1
	s_or_b64 exec, exec, s[36:37]
	s_and_b64 exec, exec, s[34:35]
	s_cbranch_execz .LBB9_204
; %bb.177:                              ;   in Loop: Header=BB9_14 Depth=1
	v_add_u32_e32 v1, s98, v83
	v_cmp_gt_i32_e32 vcc, s56, v1
	v_mov_b32_e32 v2, 0x47
	s_and_saveexec_b64 s[34:35], vcc
	s_cbranch_execz .LBB9_179
; %bb.178:                              ;   in Loop: Header=BB9_14 Depth=1
	v_add_u32_e32 v10, 0, v99
	ds_read2_b32 v[2:3], v10 offset0:40 offset1:41
	ds_read2st64_b32 v[4:5], v100 offset1:11
	v_add_u32_e32 v6, 0xa0, v10
	ds_read2st64_b32 v[6:7], v6 offset0:11 offset1:22
	ds_read2st64_b32 v[8:9], v100 offset0:22 offset1:33
	ds_read_b32 v10, v10 offset:8608
	v_readlane_b32 s22, v168, 2
	v_mad_u64_u32 v[12:13], s[22:23], v1, s22, v[30:31]
	s_waitcnt lgkmcnt(3)
	v_cvt_f32_f16_sdwa v43, v4 dst_sel:DWORD dst_unused:UNUSED_PAD src0_sel:WORD_1
	v_cvt_f32_f16_e32 v42, v4
	v_cvt_f32_f16_sdwa v45, v5 dst_sel:DWORD dst_unused:UNUSED_PAD src0_sel:WORD_1
	v_cvt_f32_f16_e32 v44, v5
	v_ashrrev_i32_e32 v13, 31, v12
	v_pk_fma_f32 v[42:43], v[2:3], v[42:43], 0 op_sel_hi:[0,1,0]
	s_waitcnt lgkmcnt(2)
	v_mov_b32_e32 v2, v7
	v_pk_fma_f32 v[4:5], v[6:7], v[44:45], v[42:43] op_sel_hi:[0,1,1]
	s_waitcnt lgkmcnt(1)
	v_cvt_f32_f16_sdwa v43, v8 dst_sel:DWORD dst_unused:UNUSED_PAD src0_sel:WORD_1
	v_cvt_f32_f16_e32 v42, v8
	v_cvt_f32_f16_sdwa v7, v9 dst_sel:DWORD dst_unused:UNUSED_PAD src0_sel:WORD_1
	v_cvt_f32_f16_e32 v6, v9
	v_lshlrev_b64 v[12:13], 3, v[12:13]
	v_pk_fma_f32 v[4:5], v[2:3], v[42:43], v[4:5] op_sel_hi:[0,1,1]
	v_add_co_u32_e32 v12, vcc, s70, v12
	v_mov_b32_e32 v1, s71
	s_waitcnt lgkmcnt(0)
	v_pk_fma_f32 v[4:5], v[10:11], v[6:7], v[4:5] op_sel_hi:[0,1,1]
	v_addc_co_u32_e32 v13, vcc, v1, v13, vcc
	v_div_scale_f32 v1, s[22:23], v3, v3, v5
	v_rcp_f32_e32 v2, v1
	v_fma_f32 v6, -v1, v2, 1.0
	v_fmac_f32_e32 v2, v6, v2
	v_div_scale_f32 v6, vcc, v5, v3, v5
	v_mul_f32_e32 v7, v6, v2
	v_fma_f32 v8, -v1, v7, v6
	v_fmac_f32_e32 v7, v8, v2
	v_fma_f32 v1, -v1, v7, v6
	v_div_fmas_f32 v1, v1, v2, v7
	v_div_fixup_f32 v5, v1, v3, v5
	v_div_scale_f32 v1, s[22:23], v3, v3, v4
	v_rcp_f32_e32 v2, v1
	v_fma_f32 v6, -v1, v2, 1.0
	v_fmac_f32_e32 v2, v6, v2
	v_div_scale_f32 v6, vcc, v4, v3, v4
	v_mul_f32_e32 v7, v6, v2
	v_fma_f32 v8, -v1, v7, v6
	v_fmac_f32_e32 v7, v8, v2
	v_fma_f32 v1, -v1, v7, v6
	v_div_fmas_f32 v1, v1, v2, v7
	v_div_fixup_f32 v4, v1, v3, v4
	v_mov_b32_e32 v2, 0
	global_store_dwordx2 v[12:13], v[4:5], off
.LBB9_179:                              ;   in Loop: Header=BB9_14 Depth=1
	s_or_b64 exec, exec, s[34:35]
	v_cmp_gt_i32_e32 vcc, s51, v2
	s_mov_b64 s[34:35], -1
	s_and_saveexec_b64 s[36:37], vcc
; %bb.180:                              ;   in Loop: Header=BB9_14 Depth=1
	v_cmp_eq_u32_e32 vcc, 0, v2
	s_orn2_b64 s[34:35], vcc, exec
; %bb.181:                              ;   in Loop: Header=BB9_14 Depth=1
	s_or_b64 exec, exec, s[36:37]
	s_and_b64 exec, exec, s[34:35]
	s_cbranch_execz .LBB9_204
; %bb.182:                              ;   in Loop: Header=BB9_14 Depth=1
	v_add_u32_e32 v1, s98, v84
	v_cmp_gt_i32_e32 vcc, s56, v1
	v_mov_b32_e32 v2, 0x47
	s_and_saveexec_b64 s[34:35], vcc
	s_cbranch_execz .LBB9_184
; %bb.183:                              ;   in Loop: Header=BB9_14 Depth=1
	v_add_u32_e32 v10, 0, v101
	ds_read2_b32 v[2:3], v10 offset0:40 offset1:41
	ds_read2st64_b32 v[4:5], v102 offset1:11
	v_add_u32_e32 v6, 0xa0, v10
	ds_read2st64_b32 v[6:7], v6 offset0:11 offset1:22
	ds_read2st64_b32 v[8:9], v102 offset0:22 offset1:33
	ds_read_b32 v10, v10 offset:8608
	v_readlane_b32 s22, v168, 2
	v_mad_u64_u32 v[12:13], s[22:23], v1, s22, v[30:31]
	s_waitcnt lgkmcnt(3)
	v_cvt_f32_f16_sdwa v43, v4 dst_sel:DWORD dst_unused:UNUSED_PAD src0_sel:WORD_1
	v_cvt_f32_f16_e32 v42, v4
	v_cvt_f32_f16_sdwa v45, v5 dst_sel:DWORD dst_unused:UNUSED_PAD src0_sel:WORD_1
	v_cvt_f32_f16_e32 v44, v5
	v_ashrrev_i32_e32 v13, 31, v12
	v_pk_fma_f32 v[42:43], v[2:3], v[42:43], 0 op_sel_hi:[0,1,0]
	s_waitcnt lgkmcnt(2)
	v_mov_b32_e32 v2, v7
	v_pk_fma_f32 v[4:5], v[6:7], v[44:45], v[42:43] op_sel_hi:[0,1,1]
	s_waitcnt lgkmcnt(1)
	v_cvt_f32_f16_sdwa v43, v8 dst_sel:DWORD dst_unused:UNUSED_PAD src0_sel:WORD_1
	v_cvt_f32_f16_e32 v42, v8
	v_cvt_f32_f16_sdwa v7, v9 dst_sel:DWORD dst_unused:UNUSED_PAD src0_sel:WORD_1
	v_cvt_f32_f16_e32 v6, v9
	v_lshlrev_b64 v[12:13], 3, v[12:13]
	v_pk_fma_f32 v[4:5], v[2:3], v[42:43], v[4:5] op_sel_hi:[0,1,1]
	v_add_co_u32_e32 v12, vcc, s70, v12
	v_mov_b32_e32 v1, s71
	s_waitcnt lgkmcnt(0)
	v_pk_fma_f32 v[4:5], v[10:11], v[6:7], v[4:5] op_sel_hi:[0,1,1]
	v_addc_co_u32_e32 v13, vcc, v1, v13, vcc
	v_div_scale_f32 v1, s[22:23], v3, v3, v5
	v_rcp_f32_e32 v2, v1
	v_fma_f32 v6, -v1, v2, 1.0
	v_fmac_f32_e32 v2, v6, v2
	v_div_scale_f32 v6, vcc, v5, v3, v5
	v_mul_f32_e32 v7, v6, v2
	v_fma_f32 v8, -v1, v7, v6
	v_fmac_f32_e32 v7, v8, v2
	v_fma_f32 v1, -v1, v7, v6
	v_div_fmas_f32 v1, v1, v2, v7
	v_div_fixup_f32 v5, v1, v3, v5
	v_div_scale_f32 v1, s[22:23], v3, v3, v4
	v_rcp_f32_e32 v2, v1
	v_fma_f32 v6, -v1, v2, 1.0
	v_fmac_f32_e32 v2, v6, v2
	v_div_scale_f32 v6, vcc, v4, v3, v4
	v_mul_f32_e32 v7, v6, v2
	v_fma_f32 v8, -v1, v7, v6
	v_fmac_f32_e32 v7, v8, v2
	v_fma_f32 v1, -v1, v7, v6
	v_div_fmas_f32 v1, v1, v2, v7
	v_div_fixup_f32 v4, v1, v3, v4
	v_mov_b32_e32 v2, 0
	global_store_dwordx2 v[12:13], v[4:5], off
.LBB9_184:                              ;   in Loop: Header=BB9_14 Depth=1
	s_or_b64 exec, exec, s[34:35]
	v_cmp_gt_i32_e32 vcc, s51, v2
	s_mov_b64 s[34:35], -1
	s_and_saveexec_b64 s[36:37], vcc
; %bb.185:                              ;   in Loop: Header=BB9_14 Depth=1
	v_cmp_eq_u32_e32 vcc, 0, v2
	s_orn2_b64 s[34:35], vcc, exec
; %bb.186:                              ;   in Loop: Header=BB9_14 Depth=1
	s_or_b64 exec, exec, s[36:37]
	s_and_b64 exec, exec, s[34:35]
	s_cbranch_execz .LBB9_204
; %bb.187:                              ;   in Loop: Header=BB9_14 Depth=1
	v_add_u32_e32 v1, s98, v85
	v_cmp_gt_i32_e32 vcc, s56, v1
	v_mov_b32_e32 v2, 0x47
	s_and_saveexec_b64 s[34:35], vcc
	s_cbranch_execz .LBB9_189
; %bb.188:                              ;   in Loop: Header=BB9_14 Depth=1
	v_add_u32_e32 v10, 0, v103
	ds_read2_b32 v[2:3], v10 offset0:40 offset1:41
	ds_read2st64_b32 v[4:5], v104 offset1:11
	v_add_u32_e32 v6, 0xa0, v10
	ds_read2st64_b32 v[6:7], v6 offset0:11 offset1:22
	ds_read2st64_b32 v[8:9], v104 offset0:22 offset1:33
	ds_read_b32 v10, v10 offset:8608
	v_readlane_b32 s22, v168, 2
	v_mad_u64_u32 v[12:13], s[22:23], v1, s22, v[30:31]
	s_waitcnt lgkmcnt(3)
	v_cvt_f32_f16_sdwa v43, v4 dst_sel:DWORD dst_unused:UNUSED_PAD src0_sel:WORD_1
	v_cvt_f32_f16_e32 v42, v4
	v_cvt_f32_f16_sdwa v45, v5 dst_sel:DWORD dst_unused:UNUSED_PAD src0_sel:WORD_1
	v_cvt_f32_f16_e32 v44, v5
	v_ashrrev_i32_e32 v13, 31, v12
	v_pk_fma_f32 v[42:43], v[2:3], v[42:43], 0 op_sel_hi:[0,1,0]
	s_waitcnt lgkmcnt(2)
	v_mov_b32_e32 v2, v7
	v_pk_fma_f32 v[4:5], v[6:7], v[44:45], v[42:43] op_sel_hi:[0,1,1]
	s_waitcnt lgkmcnt(1)
	v_cvt_f32_f16_sdwa v43, v8 dst_sel:DWORD dst_unused:UNUSED_PAD src0_sel:WORD_1
	v_cvt_f32_f16_e32 v42, v8
	v_cvt_f32_f16_sdwa v7, v9 dst_sel:DWORD dst_unused:UNUSED_PAD src0_sel:WORD_1
	v_cvt_f32_f16_e32 v6, v9
	v_lshlrev_b64 v[12:13], 3, v[12:13]
	v_pk_fma_f32 v[4:5], v[2:3], v[42:43], v[4:5] op_sel_hi:[0,1,1]
	v_add_co_u32_e32 v12, vcc, s70, v12
	v_mov_b32_e32 v1, s71
	s_waitcnt lgkmcnt(0)
	v_pk_fma_f32 v[4:5], v[10:11], v[6:7], v[4:5] op_sel_hi:[0,1,1]
	v_addc_co_u32_e32 v13, vcc, v1, v13, vcc
	v_div_scale_f32 v1, s[22:23], v3, v3, v5
	v_rcp_f32_e32 v2, v1
	v_fma_f32 v6, -v1, v2, 1.0
	v_fmac_f32_e32 v2, v6, v2
	v_div_scale_f32 v6, vcc, v5, v3, v5
	v_mul_f32_e32 v7, v6, v2
	v_fma_f32 v8, -v1, v7, v6
	v_fmac_f32_e32 v7, v8, v2
	v_fma_f32 v1, -v1, v7, v6
	v_div_fmas_f32 v1, v1, v2, v7
	v_div_fixup_f32 v5, v1, v3, v5
	v_div_scale_f32 v1, s[22:23], v3, v3, v4
	v_rcp_f32_e32 v2, v1
	v_fma_f32 v6, -v1, v2, 1.0
	v_fmac_f32_e32 v2, v6, v2
	v_div_scale_f32 v6, vcc, v4, v3, v4
	v_mul_f32_e32 v7, v6, v2
	v_fma_f32 v8, -v1, v7, v6
	v_fmac_f32_e32 v7, v8, v2
	v_fma_f32 v1, -v1, v7, v6
	v_div_fmas_f32 v1, v1, v2, v7
	v_div_fixup_f32 v4, v1, v3, v4
	v_mov_b32_e32 v2, 0
	global_store_dwordx2 v[12:13], v[4:5], off
.LBB9_189:                              ;   in Loop: Header=BB9_14 Depth=1
	s_or_b64 exec, exec, s[34:35]
	v_cmp_gt_i32_e32 vcc, s51, v2
	s_mov_b64 s[34:35], -1
	s_and_saveexec_b64 s[36:37], vcc
; %bb.190:                              ;   in Loop: Header=BB9_14 Depth=1
	v_cmp_eq_u32_e32 vcc, 0, v2
	s_orn2_b64 s[34:35], vcc, exec
; %bb.191:                              ;   in Loop: Header=BB9_14 Depth=1
	s_or_b64 exec, exec, s[36:37]
	s_and_b64 exec, exec, s[34:35]
	s_cbranch_execz .LBB9_204
; %bb.192:                              ;   in Loop: Header=BB9_14 Depth=1
	v_add_u32_e32 v1, s98, v86
	v_cmp_gt_i32_e32 vcc, s56, v1
	v_mov_b32_e32 v2, 0x47
	s_and_saveexec_b64 s[34:35], vcc
	s_cbranch_execz .LBB9_194
; %bb.193:                              ;   in Loop: Header=BB9_14 Depth=1
	v_add_u32_e32 v10, 0, v105
	ds_read2_b32 v[2:3], v10 offset0:40 offset1:41
	ds_read2st64_b32 v[4:5], v106 offset1:11
	v_add_u32_e32 v6, 0xa0, v10
	ds_read2st64_b32 v[6:7], v6 offset0:11 offset1:22
	ds_read2st64_b32 v[8:9], v106 offset0:22 offset1:33
	ds_read_b32 v10, v10 offset:8608
	v_readlane_b32 s22, v168, 2
	v_mad_u64_u32 v[12:13], s[22:23], v1, s22, v[30:31]
	s_waitcnt lgkmcnt(3)
	v_cvt_f32_f16_sdwa v43, v4 dst_sel:DWORD dst_unused:UNUSED_PAD src0_sel:WORD_1
	v_cvt_f32_f16_e32 v42, v4
	v_cvt_f32_f16_sdwa v45, v5 dst_sel:DWORD dst_unused:UNUSED_PAD src0_sel:WORD_1
	v_cvt_f32_f16_e32 v44, v5
	v_ashrrev_i32_e32 v13, 31, v12
	v_pk_fma_f32 v[42:43], v[2:3], v[42:43], 0 op_sel_hi:[0,1,0]
	s_waitcnt lgkmcnt(2)
	v_mov_b32_e32 v2, v7
	v_pk_fma_f32 v[4:5], v[6:7], v[44:45], v[42:43] op_sel_hi:[0,1,1]
	s_waitcnt lgkmcnt(1)
	v_cvt_f32_f16_sdwa v43, v8 dst_sel:DWORD dst_unused:UNUSED_PAD src0_sel:WORD_1
	v_cvt_f32_f16_e32 v42, v8
	v_cvt_f32_f16_sdwa v7, v9 dst_sel:DWORD dst_unused:UNUSED_PAD src0_sel:WORD_1
	v_cvt_f32_f16_e32 v6, v9
	v_lshlrev_b64 v[12:13], 3, v[12:13]
	v_pk_fma_f32 v[4:5], v[2:3], v[42:43], v[4:5] op_sel_hi:[0,1,1]
	v_add_co_u32_e32 v12, vcc, s70, v12
	v_mov_b32_e32 v1, s71
	s_waitcnt lgkmcnt(0)
	v_pk_fma_f32 v[4:5], v[10:11], v[6:7], v[4:5] op_sel_hi:[0,1,1]
	v_addc_co_u32_e32 v13, vcc, v1, v13, vcc
	v_div_scale_f32 v1, s[22:23], v3, v3, v5
	v_rcp_f32_e32 v2, v1
	v_fma_f32 v6, -v1, v2, 1.0
	v_fmac_f32_e32 v2, v6, v2
	v_div_scale_f32 v6, vcc, v5, v3, v5
	v_mul_f32_e32 v7, v6, v2
	v_fma_f32 v8, -v1, v7, v6
	v_fmac_f32_e32 v7, v8, v2
	v_fma_f32 v1, -v1, v7, v6
	v_div_fmas_f32 v1, v1, v2, v7
	v_div_fixup_f32 v5, v1, v3, v5
	v_div_scale_f32 v1, s[22:23], v3, v3, v4
	v_rcp_f32_e32 v2, v1
	v_fma_f32 v6, -v1, v2, 1.0
	v_fmac_f32_e32 v2, v6, v2
	v_div_scale_f32 v6, vcc, v4, v3, v4
	v_mul_f32_e32 v7, v6, v2
	v_fma_f32 v8, -v1, v7, v6
	v_fmac_f32_e32 v7, v8, v2
	v_fma_f32 v1, -v1, v7, v6
	v_div_fmas_f32 v1, v1, v2, v7
	v_div_fixup_f32 v4, v1, v3, v4
	v_mov_b32_e32 v2, 0
	global_store_dwordx2 v[12:13], v[4:5], off
.LBB9_194:                              ;   in Loop: Header=BB9_14 Depth=1
	s_or_b64 exec, exec, s[34:35]
	v_cmp_gt_i32_e32 vcc, s51, v2
	s_mov_b64 s[34:35], -1
	s_and_saveexec_b64 s[36:37], vcc
; %bb.195:                              ;   in Loop: Header=BB9_14 Depth=1
	v_cmp_eq_u32_e32 vcc, 0, v2
	s_orn2_b64 s[34:35], vcc, exec
; %bb.196:                              ;   in Loop: Header=BB9_14 Depth=1
	s_or_b64 exec, exec, s[36:37]
	s_and_b64 exec, exec, s[34:35]
	s_cbranch_execz .LBB9_204
; %bb.197:                              ;   in Loop: Header=BB9_14 Depth=1
	v_add_u32_e32 v1, s98, v87
	v_cmp_gt_i32_e32 vcc, s56, v1
	v_mov_b32_e32 v2, 0x47
	s_and_saveexec_b64 s[34:35], vcc
	s_cbranch_execz .LBB9_199
; %bb.198:                              ;   in Loop: Header=BB9_14 Depth=1
	v_add_u32_e32 v10, 0, v107
	ds_read2_b32 v[2:3], v10 offset0:40 offset1:41
	ds_read2st64_b32 v[4:5], v108 offset1:11
	v_add_u32_e32 v6, 0xa0, v10
	ds_read2st64_b32 v[6:7], v6 offset0:11 offset1:22
	ds_read2st64_b32 v[8:9], v108 offset0:22 offset1:33
	ds_read_b32 v10, v10 offset:8608
	v_readlane_b32 s22, v168, 2
	v_mad_u64_u32 v[12:13], s[22:23], v1, s22, v[30:31]
	s_waitcnt lgkmcnt(3)
	v_cvt_f32_f16_sdwa v43, v4 dst_sel:DWORD dst_unused:UNUSED_PAD src0_sel:WORD_1
	v_cvt_f32_f16_e32 v42, v4
	v_cvt_f32_f16_sdwa v45, v5 dst_sel:DWORD dst_unused:UNUSED_PAD src0_sel:WORD_1
	v_cvt_f32_f16_e32 v44, v5
	v_ashrrev_i32_e32 v13, 31, v12
	v_pk_fma_f32 v[42:43], v[2:3], v[42:43], 0 op_sel_hi:[0,1,0]
	s_waitcnt lgkmcnt(2)
	v_mov_b32_e32 v2, v7
	v_pk_fma_f32 v[4:5], v[6:7], v[44:45], v[42:43] op_sel_hi:[0,1,1]
	s_waitcnt lgkmcnt(1)
	v_cvt_f32_f16_sdwa v43, v8 dst_sel:DWORD dst_unused:UNUSED_PAD src0_sel:WORD_1
	v_cvt_f32_f16_e32 v42, v8
	v_cvt_f32_f16_sdwa v7, v9 dst_sel:DWORD dst_unused:UNUSED_PAD src0_sel:WORD_1
	v_cvt_f32_f16_e32 v6, v9
	v_lshlrev_b64 v[12:13], 3, v[12:13]
	v_pk_fma_f32 v[4:5], v[2:3], v[42:43], v[4:5] op_sel_hi:[0,1,1]
	v_add_co_u32_e32 v12, vcc, s70, v12
	v_mov_b32_e32 v1, s71
	s_waitcnt lgkmcnt(0)
	v_pk_fma_f32 v[4:5], v[10:11], v[6:7], v[4:5] op_sel_hi:[0,1,1]
	v_addc_co_u32_e32 v13, vcc, v1, v13, vcc
	v_div_scale_f32 v1, s[22:23], v3, v3, v5
	v_rcp_f32_e32 v2, v1
	v_fma_f32 v6, -v1, v2, 1.0
	v_fmac_f32_e32 v2, v6, v2
	v_div_scale_f32 v6, vcc, v5, v3, v5
	v_mul_f32_e32 v7, v6, v2
	v_fma_f32 v8, -v1, v7, v6
	v_fmac_f32_e32 v7, v8, v2
	v_fma_f32 v1, -v1, v7, v6
	v_div_fmas_f32 v1, v1, v2, v7
	v_div_fixup_f32 v5, v1, v3, v5
	v_div_scale_f32 v1, s[22:23], v3, v3, v4
	v_rcp_f32_e32 v2, v1
	v_fma_f32 v6, -v1, v2, 1.0
	v_fmac_f32_e32 v2, v6, v2
	v_div_scale_f32 v6, vcc, v4, v3, v4
	v_mul_f32_e32 v7, v6, v2
	v_fma_f32 v8, -v1, v7, v6
	v_fmac_f32_e32 v7, v8, v2
	v_fma_f32 v1, -v1, v7, v6
	v_div_fmas_f32 v1, v1, v2, v7
	v_div_fixup_f32 v4, v1, v3, v4
	v_mov_b32_e32 v2, 0
	global_store_dwordx2 v[12:13], v[4:5], off
.LBB9_199:                              ;   in Loop: Header=BB9_14 Depth=1
	s_or_b64 exec, exec, s[34:35]
	v_cmp_gt_i32_e32 vcc, s51, v2
	s_mov_b64 s[34:35], -1
	s_and_saveexec_b64 s[36:37], vcc
; %bb.200:                              ;   in Loop: Header=BB9_14 Depth=1
	v_cmp_eq_u32_e32 vcc, 0, v2
	s_orn2_b64 s[34:35], vcc, exec
; %bb.201:                              ;   in Loop: Header=BB9_14 Depth=1
	s_or_b64 exec, exec, s[36:37]
	s_and_b64 exec, exec, s[34:35]
	s_cbranch_execz .LBB9_204
; %bb.202:                              ;   in Loop: Header=BB9_14 Depth=1
	v_add_u32_e32 v1, s98, v88
	v_cmp_gt_i32_e32 vcc, s56, v1
	s_and_b64 exec, exec, vcc
	s_cbranch_execz .LBB9_204
; %bb.203:                              ;   in Loop: Header=BB9_14 Depth=1
	v_add_u32_e32 v10, 0, v109
	ds_read2_b32 v[2:3], v10 offset0:40 offset1:41
	ds_read2st64_b32 v[4:5], v110 offset1:11
	v_add_u32_e32 v6, 0xa0, v10
	ds_read2st64_b32 v[6:7], v6 offset0:11 offset1:22
	ds_read2st64_b32 v[8:9], v110 offset0:22 offset1:33
	ds_read_b32 v10, v10 offset:8608
	v_readlane_b32 s22, v168, 2
	v_mad_u64_u32 v[12:13], s[22:23], v1, s22, v[30:31]
	s_waitcnt lgkmcnt(3)
	v_cvt_f32_f16_sdwa v43, v4 dst_sel:DWORD dst_unused:UNUSED_PAD src0_sel:WORD_1
	v_cvt_f32_f16_e32 v42, v4
	v_cvt_f32_f16_sdwa v45, v5 dst_sel:DWORD dst_unused:UNUSED_PAD src0_sel:WORD_1
	v_cvt_f32_f16_e32 v44, v5
	v_ashrrev_i32_e32 v13, 31, v12
	v_pk_fma_f32 v[42:43], v[2:3], v[42:43], 0 op_sel_hi:[0,1,0]
	s_waitcnt lgkmcnt(2)
	v_mov_b32_e32 v2, v7
	v_pk_fma_f32 v[4:5], v[6:7], v[44:45], v[42:43] op_sel_hi:[0,1,1]
	s_waitcnt lgkmcnt(1)
	v_cvt_f32_f16_sdwa v43, v8 dst_sel:DWORD dst_unused:UNUSED_PAD src0_sel:WORD_1
	v_cvt_f32_f16_e32 v42, v8
	v_cvt_f32_f16_sdwa v7, v9 dst_sel:DWORD dst_unused:UNUSED_PAD src0_sel:WORD_1
	v_cvt_f32_f16_e32 v6, v9
	v_lshlrev_b64 v[12:13], 3, v[12:13]
	v_pk_fma_f32 v[4:5], v[2:3], v[42:43], v[4:5] op_sel_hi:[0,1,1]
	v_add_co_u32_e32 v12, vcc, s70, v12
	v_mov_b32_e32 v1, s71
	s_waitcnt lgkmcnt(0)
	v_pk_fma_f32 v[4:5], v[10:11], v[6:7], v[4:5] op_sel_hi:[0,1,1]
	v_addc_co_u32_e32 v13, vcc, v1, v13, vcc
	v_div_scale_f32 v1, s[22:23], v3, v3, v5
	v_rcp_f32_e32 v2, v1
	v_fma_f32 v6, -v1, v2, 1.0
	v_fmac_f32_e32 v2, v6, v2
	v_div_scale_f32 v6, vcc, v5, v3, v5
	v_mul_f32_e32 v7, v6, v2
	v_fma_f32 v8, -v1, v7, v6
	v_fmac_f32_e32 v7, v8, v2
	v_fma_f32 v1, -v1, v7, v6
	v_div_fmas_f32 v1, v1, v2, v7
	v_div_fixup_f32 v5, v1, v3, v5
	v_div_scale_f32 v1, s[22:23], v3, v3, v4
	v_rcp_f32_e32 v2, v1
	v_fma_f32 v6, -v1, v2, 1.0
	v_fmac_f32_e32 v2, v6, v2
	v_div_scale_f32 v6, vcc, v4, v3, v4
	v_mul_f32_e32 v7, v6, v2
	v_fma_f32 v8, -v1, v7, v6
	v_fmac_f32_e32 v7, v8, v2
	v_fma_f32 v1, -v1, v7, v6
	v_div_fmas_f32 v1, v1, v2, v7
	v_div_fixup_f32 v4, v1, v3, v4
	global_store_dwordx2 v[12:13], v[4:5], off
.LBB9_204:                              ;   in Loop: Header=BB9_14 Depth=1
	s_or_b64 exec, exec, s[30:31]
	v_add_u32_e32 v2, s98, v81
	v_cmp_gt_i32_e32 vcc, s56, v2
	v_mov_b32_e32 v1, 0x47
	s_and_saveexec_b64 s[30:31], vcc
	s_cbranch_execz .LBB9_206
; %bb.205:                              ;   in Loop: Header=BB9_14 Depth=1
	v_add_u32_e32 v8, 0x80, v112
	ds_read2st64_b32 v[4:5], v8 offset1:11
	v_readlane_b32 s22, v168, 2
	v_add_u32_e32 v10, 0, v111
	v_mul_lo_u32 v1, v2, s22
	ds_read2_b32 v[2:3], v10 offset0:40 offset1:41
	v_add_u32_e32 v6, 0xa0, v10
	s_waitcnt lgkmcnt(1)
	v_cvt_f32_f16_sdwa v43, v4 dst_sel:DWORD dst_unused:UNUSED_PAD src0_sel:WORD_1
	v_cvt_f32_f16_e32 v42, v4
	ds_read2st64_b32 v[6:7], v6 offset0:11 offset1:22
	ds_read2st64_b32 v[8:9], v8 offset0:22 offset1:33
	ds_read_b32 v10, v10 offset:8608
	v_cvt_f32_f16_sdwa v45, v5 dst_sel:DWORD dst_unused:UNUSED_PAD src0_sel:WORD_1
	v_cvt_f32_f16_e32 v44, v5
	s_waitcnt lgkmcnt(3)
	v_pk_fma_f32 v[42:43], v[2:3], v[42:43], 0 op_sel_hi:[0,1,0]
	s_waitcnt lgkmcnt(2)
	v_mov_b32_e32 v2, v7
	v_ashrrev_i32_e32 v11, 31, v1
	v_pk_fma_f32 v[4:5], v[6:7], v[44:45], v[42:43] op_sel_hi:[0,1,1]
	s_waitcnt lgkmcnt(1)
	v_cvt_f32_f16_sdwa v43, v8 dst_sel:DWORD dst_unused:UNUSED_PAD src0_sel:WORD_1
	v_cvt_f32_f16_e32 v42, v8
	v_cvt_f32_f16_sdwa v7, v9 dst_sel:DWORD dst_unused:UNUSED_PAD src0_sel:WORD_1
	v_cvt_f32_f16_e32 v6, v9
	v_add_co_u32_e32 v12, vcc, v1, v16
	v_addc_co_u32_e32 v13, vcc, 0, v11, vcc
	v_lshlrev_b64 v[12:13], 3, v[12:13]
	v_pk_fma_f32 v[4:5], v[2:3], v[42:43], v[4:5] op_sel_hi:[0,1,1]
	v_add_co_u32_e32 v12, vcc, s70, v12
	v_mov_b32_e32 v1, s71
	s_waitcnt lgkmcnt(0)
	v_pk_fma_f32 v[4:5], v[10:11], v[6:7], v[4:5] op_sel_hi:[0,1,1]
	v_addc_co_u32_e32 v13, vcc, v1, v13, vcc
	v_div_scale_f32 v1, s[22:23], v3, v3, v5
	v_rcp_f32_e32 v2, v1
	v_fma_f32 v6, -v1, v2, 1.0
	v_fmac_f32_e32 v2, v6, v2
	v_div_scale_f32 v6, vcc, v5, v3, v5
	v_mul_f32_e32 v7, v6, v2
	v_fma_f32 v8, -v1, v7, v6
	v_fmac_f32_e32 v7, v8, v2
	v_fma_f32 v1, -v1, v7, v6
	v_div_fmas_f32 v1, v1, v2, v7
	v_div_fixup_f32 v5, v1, v3, v5
	v_div_scale_f32 v1, s[22:23], v3, v3, v4
	v_rcp_f32_e32 v2, v1
	v_fma_f32 v6, -v1, v2, 1.0
	v_fmac_f32_e32 v2, v6, v2
	v_div_scale_f32 v6, vcc, v4, v3, v4
	v_mul_f32_e32 v7, v6, v2
	v_fma_f32 v8, -v1, v7, v6
	v_fmac_f32_e32 v7, v8, v2
	v_fma_f32 v1, -v1, v7, v6
	v_div_fmas_f32 v1, v1, v2, v7
	v_div_fixup_f32 v4, v1, v3, v4
	v_mov_b32_e32 v1, 0
	global_store_dwordx2 v[12:13], v[4:5], off offset:256
.LBB9_206:                              ;   in Loop: Header=BB9_14 Depth=1
	s_or_b64 exec, exec, s[30:31]
	v_cmp_gt_i32_e32 vcc, s51, v1
	s_mov_b64 s[30:31], -1
	s_and_saveexec_b64 s[34:35], vcc
; %bb.207:                              ;   in Loop: Header=BB9_14 Depth=1
	v_cmp_eq_u32_e32 vcc, 0, v1
	s_orn2_b64 s[30:31], vcc, exec
; %bb.208:                              ;   in Loop: Header=BB9_14 Depth=1
	s_or_b64 exec, exec, s[34:35]
	s_and_b64 exec, exec, s[30:31]
	s_cbranch_execz .LBB9_12
; %bb.209:                              ;   in Loop: Header=BB9_14 Depth=1
	v_add_u32_e32 v1, s98, v89
	v_cmp_gt_i32_e32 vcc, s56, v1
	s_and_b64 exec, exec, vcc
	s_cbranch_execz .LBB9_12
; %bb.210:                              ;   in Loop: Header=BB9_14 Depth=1
	v_add_u32_e32 v8, 0x80, v114
	ds_read2st64_b32 v[4:5], v8 offset1:11
	v_add_u32_e32 v10, 0, v113
	ds_read2_b32 v[2:3], v10 offset0:40 offset1:41
	v_add_u32_e32 v6, 0xa0, v10
	ds_read2st64_b32 v[6:7], v6 offset0:11 offset1:22
	ds_read2st64_b32 v[8:9], v8 offset0:22 offset1:33
	ds_read_b32 v10, v10 offset:8608
	s_waitcnt lgkmcnt(4)
	v_cvt_f32_f16_sdwa v43, v4 dst_sel:DWORD dst_unused:UNUSED_PAD src0_sel:WORD_1
	v_cvt_f32_f16_e32 v42, v4
	v_cvt_f32_f16_sdwa v45, v5 dst_sel:DWORD dst_unused:UNUSED_PAD src0_sel:WORD_1
	v_cvt_f32_f16_e32 v44, v5
	v_readlane_b32 s22, v168, 2
	s_waitcnt lgkmcnt(3)
	v_pk_fma_f32 v[42:43], v[2:3], v[42:43], 0 op_sel_hi:[0,1,0]
	v_mul_lo_u32 v1, v1, s22
	s_waitcnt lgkmcnt(2)
	v_pk_fma_f32 v[4:5], v[6:7], v[44:45], v[42:43] op_sel_hi:[0,1,1]
	s_waitcnt lgkmcnt(1)
	v_cvt_f32_f16_sdwa v43, v8 dst_sel:DWORD dst_unused:UNUSED_PAD src0_sel:WORD_1
	v_cvt_f32_f16_e32 v42, v8
	v_mov_b32_e32 v2, v7
	v_cvt_f32_f16_sdwa v7, v9 dst_sel:DWORD dst_unused:UNUSED_PAD src0_sel:WORD_1
	v_cvt_f32_f16_e32 v6, v9
	v_ashrrev_i32_e32 v11, 31, v1
	v_add_co_u32_e32 v12, vcc, v1, v16
	v_addc_co_u32_e32 v13, vcc, 0, v11, vcc
	v_lshlrev_b64 v[12:13], 3, v[12:13]
	v_pk_fma_f32 v[4:5], v[2:3], v[42:43], v[4:5] op_sel_hi:[0,1,1]
	v_add_co_u32_e32 v12, vcc, s70, v12
	v_mov_b32_e32 v1, s71
	s_waitcnt lgkmcnt(0)
	v_pk_fma_f32 v[4:5], v[10:11], v[6:7], v[4:5] op_sel_hi:[0,1,1]
	v_addc_co_u32_e32 v13, vcc, v1, v13, vcc
	v_div_scale_f32 v1, s[22:23], v3, v3, v5
	v_rcp_f32_e32 v2, v1
	v_fma_f32 v6, -v1, v2, 1.0
	v_fmac_f32_e32 v2, v6, v2
	v_div_scale_f32 v6, vcc, v5, v3, v5
	v_mul_f32_e32 v7, v6, v2
	v_fma_f32 v8, -v1, v7, v6
	v_fmac_f32_e32 v7, v8, v2
	v_fma_f32 v1, -v1, v7, v6
	v_div_fmas_f32 v1, v1, v2, v7
	v_div_fixup_f32 v5, v1, v3, v5
	v_div_scale_f32 v1, s[22:23], v3, v3, v4
	v_rcp_f32_e32 v2, v1
	v_fma_f32 v6, -v1, v2, 1.0
	v_fmac_f32_e32 v2, v6, v2
	v_div_scale_f32 v6, vcc, v4, v3, v4
	v_mul_f32_e32 v7, v6, v2
	v_fma_f32 v8, -v1, v7, v6
	v_fmac_f32_e32 v7, v8, v2
	v_fma_f32 v1, -v1, v7, v6
	v_div_fmas_f32 v1, v1, v2, v7
	v_div_fixup_f32 v4, v1, v3, v4
	global_store_dwordx2 v[12:13], v[4:5], off offset:256
	s_branch .LBB9_12
.LBB9_211:
	s_mov_b32 s56, s36
	v_readlane_b32 s57, v169, 23
	s_andn2_b64 vcc, exec, s[28:29]
	s_cbranch_vccz .LBB9_214
.LBB9_212:
	s_endpgm
.LBB9_213:
	v_readlane_b32 s20, v169, 53
	v_readlane_b32 s64, v169, 63
	;; [unrolled: 1-line block ×10, first 2 shown]
	s_andn2_b64 vcc, exec, s[28:29]
	s_cbranch_vccnz .LBB9_212
.LBB9_214:
	v_readlane_b32 s10, v169, 7
	s_abs_i32 s4, s10
	v_cvt_f32_u32_e32 v1, s4
	s_sub_i32 s7, 0, s4
	s_abs_i32 s6, s86
	s_xor_b32 s5, s86, s10
	v_rcp_iflag_f32_e32 v1, v1
	s_ashr_i32 s5, s5, 31
	v_readlane_b32 s14, v169, 6
	v_readlane_b32 s11, v169, 3
	v_mul_f32_e32 v1, 0x4f7ffffe, v1
	v_cvt_u32_f32_e32 v1, v1
	v_readlane_b32 s40, v169, 31
	v_readlane_b32 s46, v169, 37
	;; [unrolled: 1-line block ×3, first 2 shown]
	v_readfirstlane_b32 s8, v1
	s_mul_i32 s7, s7, s8
	s_mul_hi_u32 s7, s8, s7
	s_add_i32 s8, s8, s7
	s_mul_hi_u32 s7, s6, s8
	s_mul_i32 s8, s7, s4
	s_sub_i32 s6, s6, s8
	s_add_i32 s9, s7, 1
	s_sub_i32 s8, s6, s4
	s_cmp_ge_u32 s6, s4
	s_cselect_b32 s7, s9, s7
	s_cselect_b32 s6, s8, s6
	s_add_i32 s8, s7, 1
	s_cmp_ge_u32 s6, s4
	s_cselect_b32 s4, s8, s7
	s_abs_i32 s6, s14
	v_cvt_f32_u32_e32 v1, s6
	s_xor_b32 s4, s4, s5
	s_sub_i32 s7, 0, s6
	s_sub_i32 s12, s4, s5
	v_rcp_iflag_f32_e32 v1, v1
	s_mul_i32 s4, s12, s10
	s_sub_i32 s4, s86, s4
	s_abs_i32 s8, s4
	v_mul_f32_e32 v1, 0x4f7ffffe, v1
	v_cvt_u32_f32_e32 v1, v1
	s_xor_b32 s5, s4, s14
	s_ashr_i32 s5, s5, 31
	v_readlane_b32 s41, v169, 32
	v_readfirstlane_b32 s9, v1
	s_mul_i32 s7, s7, s9
	s_mul_hi_u32 s7, s9, s7
	s_add_i32 s9, s9, s7
	s_mul_hi_u32 s7, s8, s9
	s_mul_i32 s9, s7, s6
	s_sub_i32 s8, s8, s9
	s_add_i32 s10, s7, 1
	s_sub_i32 s9, s8, s6
	s_cmp_ge_u32 s8, s6
	s_cselect_b32 s7, s10, s7
	s_cselect_b32 s8, s9, s8
	s_add_i32 s9, s7, 1
	s_cmp_ge_u32 s8, s6
	s_cselect_b32 s6, s9, s7
	s_abs_i32 s7, s11
	v_cvt_f32_u32_e32 v1, s7
	s_xor_b32 s6, s6, s5
	s_sub_i32 s8, 0, s7
	s_sub_i32 s13, s6, s5
	v_rcp_iflag_f32_e32 v1, v1
	s_mul_i32 s5, s13, s14
	s_sub_i32 s5, s4, s5
	s_abs_i32 s6, s5
	v_mul_f32_e32 v1, 0x4f7ffffe, v1
	v_cvt_u32_f32_e32 v1, v1
	s_xor_b32 s4, s5, s11
	s_ashr_i32 s4, s4, 31
	v_readlane_b32 s42, v169, 33
	v_readfirstlane_b32 s9, v1
	s_mul_i32 s8, s8, s9
	s_mul_hi_u32 s8, s9, s8
	s_add_i32 s9, s9, s8
	s_mul_hi_u32 s8, s6, s9
	s_mul_i32 s9, s8, s7
	s_sub_i32 s6, s6, s9
	s_add_i32 s10, s8, 1
	s_sub_i32 s9, s6, s7
	s_cmp_ge_u32 s6, s7
	s_cselect_b32 s8, s10, s8
	s_cselect_b32 s6, s9, s6
	s_add_i32 s9, s8, 1
	s_cmp_ge_u32 s6, s7
	s_cselect_b32 s6, s9, s8
	s_xor_b32 s6, s6, s4
	s_sub_i32 s4, s6, s4
	s_mul_i32 s6, s4, s11
	s_sub_i32 s5, s5, s6
	s_abs_i32 s16, s5
	s_ashr_i32 s14, s12, 31
	s_mul_hi_u32 s15, s16, s39
	s_cmp_eq_u64 s[46:47], 0
	s_mov_b64 s[8:9], 0
	v_readlane_b32 s43, v169, 34
	v_readlane_b32 s44, v169, 35
	;; [unrolled: 1-line block ×11, first 2 shown]
	s_cbranch_scc1 .LBB9_216
; %bb.215:
	s_abs_i32 s6, s18
	v_cvt_f32_u32_e32 v1, s6
	s_sub_i32 s8, 0, s6
	s_abs_i32 s7, s12
	v_readlane_b32 s10, v169, 21
	v_rcp_iflag_f32_e32 v1, v1
	v_readlane_b32 s11, v169, 22
	v_mul_f32_e32 v1, 0x4f7ffffe, v1
	v_cvt_u32_f32_e32 v1, v1
	v_readfirstlane_b32 s9, v1
	s_mul_i32 s8, s8, s9
	s_mul_hi_u32 s8, s9, s8
	s_add_i32 s9, s9, s8
	s_mul_hi_u32 s8, s7, s9
	s_mul_i32 s8, s8, s6
	s_sub_i32 s7, s7, s8
	s_sub_i32 s8, s7, s6
	s_cmp_ge_u32 s7, s6
	s_cselect_b32 s7, s8, s7
	s_sub_i32 s8, s7, s6
	s_cmp_ge_u32 s7, s6
	s_cselect_b32 s6, s8, s7
	s_xor_b32 s6, s6, s14
	s_sub_i32 s6, s6, s14
	s_ashr_i32 s7, s6, 31
	s_mul_i32 s8, s6, s11
	s_mul_hi_u32 s9, s6, s10
	s_add_i32 s8, s9, s8
	s_mul_i32 s7, s7, s10
	s_add_i32 s7, s8, s7
	s_mul_i32 s6, s6, s10
	s_add_u32 s8, s46, s6
	s_addc_u32 s9, s47, s7
.LBB9_216:
	s_ashr_i32 s18, s5, 31
	v_readlane_b32 s5, v169, 2
	s_mul_i32 s17, s13, s5
	s_add_i32 s17, s17, s4
	v_cmp_le_f32_e64 s[4:5], s21, 0
	s_and_b64 vcc, exec, s[4:5]
	v_mov_b32_e32 v12, 1.0
	s_cbranch_vccnz .LBB9_218
; %bb.217:
	v_readlane_b32 s5, v169, 18
	s_sub_i32 s4, s17, s5
	s_lshl_b32 s4, s4, 1
	s_add_i32 s6, s17, 1
	s_or_b32 s7, s4, 1
	s_cmp_lt_u32 s17, s5
	s_cselect_b64 vcc, -1, 0
	s_and_b64 s[4:5], vcc, exec
	v_mov_b32_e32 v1, s23
	v_mov_b32_e32 v2, s22
	s_cselect_b32 s4, s6, s7
	v_cndmask_b32_e32 v18, v1, v2, vcc
	v_cvt_f32_i32_e32 v1, s4
	v_cmp_neq_f32_e32 vcc, 1.0, v18
	s_mov_b32 s4, 0x3f2aaaab
	s_movk_i32 s6, 0x204
	v_cndmask_b32_e32 v19, 1.0, v1, vcc
	v_cmp_eq_f32_e32 vcc, 0, v19
	v_cndmask_b32_e64 v20, |v18|, 1.0, vcc
	v_frexp_mant_f32_e32 v1, v20
	v_cmp_gt_f32_e64 s[4:5], s4, v1
	v_cndmask_b32_e64 v2, 1.0, 2.0, s[4:5]
	v_mul_f32_e32 v1, v1, v2
	v_add_f32_e32 v2, 1.0, v1
	v_rcp_f32_e32 v10, v2
	v_add_f32_e32 v3, -1.0, v2
	v_sub_f32_e32 v5, v1, v3
	v_add_f32_e32 v3, -1.0, v1
	v_mul_f32_e32 v1, v3, v10
	v_mul_f32_e32 v4, v2, v1
	v_fma_f32 v6, v1, v2, -v4
	v_fmac_f32_e32 v6, v1, v5
	v_add_f32_e32 v2, v4, v6
	v_sub_f32_e32 v5, v3, v2
	v_pk_add_f32 v[8:9], v[2:3], v[4:5] neg_lo:[0,1] neg_hi:[0,1]
	v_mov_b32_e32 v7, v2
	v_pk_add_f32 v[2:3], v[8:9], v[6:7] neg_lo:[0,1] neg_hi:[0,1]
	v_add_f32_e32 v2, v2, v3
	v_add_f32_e32 v2, v5, v2
	v_mul_f32_e32 v3, v10, v2
	v_add_f32_e32 v2, v1, v3
	v_sub_f32_e32 v1, v2, v1
	v_sub_f32_e32 v1, v3, v1
	v_mul_f32_e32 v3, v2, v2
	v_fma_f32 v5, v2, v2, -v3
	v_add_f32_e32 v4, v1, v1
	v_fmac_f32_e32 v5, v2, v4
	v_add_f32_e32 v4, v3, v5
	v_mov_b32_e32 v6, 0x3e91f4c4
	v_fmac_f32_e32 v6, 0x3e76c4e1, v4
	v_mov_b32_e32 v7, 0x3ecccdef
	v_fmac_f32_e32 v7, v4, v6
	v_sub_f32_e32 v3, v4, v3
	v_sub_f32_e32 v12, v5, v3
	v_mul_f32_e32 v3, v4, v7
	v_fma_f32 v5, v4, v7, -v3
	v_fmac_f32_e32 v5, v12, v7
	v_add_f32_e32 v6, v3, v5
	v_add_f32_e32 v7, 0x3f2aaaaa, v6
	v_sub_f32_e32 v3, v6, v3
	v_sub_f32_e32 v3, v5, v3
	v_add_f32_e32 v5, 0xbf2aaaaa, v7
	v_add_f32_e32 v3, 0x31739010, v3
	v_sub_f32_e32 v5, v6, v5
	v_pk_mul_f32 v[8:9], v[2:3], v[4:5]
	v_fma_f32 v6, v4, v2, -v8
	v_pk_add_f32 v[10:11], v[2:3], v[4:5]
	v_fmac_f32_e32 v6, v4, v1
	v_mov_b32_e32 v9, v11
	v_fmac_f32_e32 v6, v12, v2
	v_pk_add_f32 v[4:5], v[8:9], v[6:7]
	v_sub_f32_e32 v3, v4, v8
	v_sub_f32_e32 v3, v6, v3
	;; [unrolled: 1-line block ×3, first 2 shown]
	v_add_f32_e32 v9, v11, v6
	v_mov_b32_e32 v6, v5
	v_pk_mul_f32 v[6:7], v[4:5], v[6:7]
	v_cvt_f64_f32_e32 v[10:11], v20
	v_frexp_exp_i32_f64_e32 v7, v[10:11]
	v_subbrev_co_u32_e64 v7, s[4:5], 0, v7, s[4:5]
	v_cvt_f32_i32_e32 v7, v7
	v_fma_f32 v8, v4, v5, -v6
	v_fmac_f32_e32 v8, v4, v9
	s_mov_b32 s4, 0x3f317218
	v_mul_f32_e32 v4, 0x3f317218, v7
	v_fmac_f32_e32 v8, v3, v5
	v_fma_f32 v10, v7, s4, -v4
	v_fmac_f32_e32 v10, 0xb102e308, v7
	v_ldexp_f32 v11, v2, 1
	v_add_f32_e32 v5, v6, v8
	v_pk_add_f32 v[2:3], v[4:5], v[10:11]
	v_mov_b32_e32 v12, v5
	v_mov_b32_e32 v13, v3
	;; [unrolled: 1-line block ×3, first 2 shown]
	v_pk_add_f32 v[6:7], v[12:13], v[6:7] neg_lo:[0,1] neg_hi:[0,1]
	v_mov_b32_e32 v9, v5
	v_ldexp_f32 v1, v1, 1
	v_pk_add_f32 v[6:7], v[8:9], v[6:7] neg_lo:[0,1] neg_hi:[0,1]
	v_add_f32_e32 v1, v1, v6
	v_add_f32_e32 v5, v1, v7
	v_pk_add_f32 v[6:7], v[2:3], v[4:5] neg_lo:[0,1] neg_hi:[0,1]
	v_pk_add_f32 v[8:9], v[2:3], v[4:5]
	v_mov_b32_e32 v12, v6
	v_mov_b32_e32 v13, v9
	;; [unrolled: 1-line block ×3, first 2 shown]
	v_pk_add_f32 v[12:13], v[10:11], v[12:13]
	v_mov_b32_e32 v4, v13
	v_pk_add_f32 v[14:15], v[4:5], v[2:3] neg_lo:[0,1] neg_hi:[0,1]
	v_mov_b32_e32 v1, v14
	v_mov_b32_e32 v12, v9
	;; [unrolled: 1-line block ×4, first 2 shown]
	v_pk_add_f32 v[6:7], v[10:11], v[6:7] neg_lo:[0,1] neg_hi:[0,1]
	v_pk_add_f32 v[16:17], v[8:9], v[0:1] neg_lo:[0,1] neg_hi:[0,1]
	;; [unrolled: 1-line block ×3, first 2 shown]
	v_mov_b32_e32 v10, v5
	v_pk_add_f32 v[2:3], v[10:11], v[2:3] neg_lo:[0,1] neg_hi:[0,1]
	v_mov_b32_e32 v16, v6
	v_pk_add_f32 v[8:9], v[16:17], v[2:3]
	v_mov_b32_e32 v10, v9
	v_pk_add_f32 v[10:11], v[8:9], v[10:11]
	v_pk_add_f32 v[4:5], v[4:5], v[10:11]
	v_mov_b32_e32 v7, v13
	v_mov_b32_e32 v9, v4
	v_pk_add_f32 v[12:13], v[8:9], v[6:7] neg_lo:[0,1] neg_hi:[0,1]
	v_mov_b32_e32 v3, v10
	v_sub_f32_e32 v1, v8, v12
	v_pk_add_f32 v[2:3], v[2:3], v[12:13] neg_lo:[0,1] neg_hi:[0,1]
	v_sub_f32_e32 v1, v6, v1
	v_add_f32_e32 v1, v2, v1
	v_add_f32_e32 v1, v1, v3
	;; [unrolled: 1-line block ×3, first 2 shown]
	v_sub_f32_e32 v3, v2, v4
	v_sub_f32_e32 v1, v1, v3
	v_mul_f32_e32 v3, v19, v2
	v_fma_f32 v2, v19, v2, -v3
	v_fmac_f32_e32 v2, v19, v1
	v_add_f32_e32 v1, v3, v2
	v_cmp_class_f32_e64 s[4:5], v3, s6
	v_sub_f32_e32 v4, v1, v3
	v_cndmask_b32_e64 v1, v1, v3, s[4:5]
	s_mov_b32 s10, 0x42b17218
	v_mov_b32_e32 v3, 0x37000000
	v_cmp_eq_f32_e64 s[4:5], s10, v1
	v_cndmask_b32_e64 v3, 0, v3, s[4:5]
	v_sub_f32_e32 v2, v2, v4
	v_sub_f32_e32 v4, v1, v3
	s_mov_b32 s4, 0x3fb8aa3b
	v_mul_f32_e32 v5, 0x3fb8aa3b, v4
	v_fma_f32 v6, v4, s4, -v5
	v_rndne_f32_e32 v7, v5
	v_fmac_f32_e32 v6, 0x32a5705f, v4
	v_sub_f32_e32 v5, v5, v7
	v_add_f32_e32 v5, v5, v6
	v_exp_f32_e32 v5, v5
	v_cvt_i32_f32_e32 v6, v7
	s_mov_b32 s7, 0x7f800000
	v_cmp_neq_f32_e64 s[4:5], |v1|, s7
	v_cndmask_b32_e64 v1, 0, v2, s[4:5]
	s_mov_b32 s4, 0xc2ce8ed0
	v_ldexp_f32 v2, v5, v6
	v_cmp_ngt_f32_e64 s[4:5], s4, v4
	v_add_f32_e32 v1, v3, v1
	v_cndmask_b32_e64 v2, 0, v2, s[4:5]
	v_mov_b32_e32 v3, 0x7f800000
	v_cmp_nlt_f32_e64 s[4:5], s10, v4
	v_cndmask_b32_e64 v2, v3, v2, s[4:5]
	v_fma_f32 v1, v2, v1, v2
	v_cmp_class_f32_e64 s[4:5], v2, s6
	v_trunc_f32_e32 v4, v19
	v_cndmask_b32_e64 v1, v1, v2, s[4:5]
	v_cndmask_b32_e64 v2, v18, 1.0, vcc
	v_cmp_eq_f32_e32 vcc, v4, v19
	v_mul_f32_e32 v4, 0.5, v19
	v_trunc_f32_e32 v6, v4
	v_cmp_neq_f32_e64 s[4:5], v6, v4
	s_and_b64 s[4:5], vcc, s[4:5]
	v_cndmask_b32_e64 v4, 1.0, v2, s[4:5]
	s_brev_b32 s19, -2
	v_mov_b32_e32 v5, 0x7fc00000
	v_bfi_b32 v1, s19, v1, v4
	v_cndmask_b32_e32 v4, v5, v1, vcc
	v_cmp_gt_f32_e32 vcc, 0, v2
	v_cndmask_b32_e32 v1, v1, v4, vcc
	v_cmp_eq_f32_e32 vcc, s7, v20
	v_cmp_eq_f32_e64 s[6:7], 0, v2
	v_cmp_gt_f32_e64 s[10:11], 0, v19
	s_xor_b64 s[10:11], s[10:11], s[6:7]
	v_cndmask_b32_e64 v3, v3, 0, s[10:11]
	v_cndmask_b32_e64 v4, 0, v2, s[4:5]
	v_bfi_b32 v3, s19, v3, v4
	s_or_b64 vcc, vcc, s[6:7]
	v_cndmask_b32_e32 v1, v1, v3, vcc
	v_cmp_o_f32_e32 vcc, v2, v2
	v_cndmask_b32_e32 v12, v5, v1, vcc
.LBB9_218:
	s_mul_i32 s5, s15, s85
	v_readlane_b32 s4, v169, 30
	s_sub_i32 s5, s16, s5
	s_xor_b32 s4, s18, s4
	s_add_i32 s6, s15, 1
	s_sub_i32 s7, s5, s85
	s_cmp_ge_u32 s5, s85
	s_cselect_b32 s6, s6, s15
	s_cselect_b32 s5, s7, s5
	s_add_i32 s7, s6, 1
	s_cmp_ge_u32 s5, s85
	s_cselect_b32 s5, s7, s6
	s_xor_b32 s5, s5, s4
	v_readlane_b32 s40, v169, 31
	s_sub_i32 s4, s5, s4
	v_readlane_b32 s50, v169, 41
	v_readlane_b32 s51, v169, 42
	;; [unrolled: 1-line block ×9, first 2 shown]
	s_cmp_eq_u64 s[50:51], 0
	v_mov_b32_e32 v8, s27
	v_readlane_b32 s46, v169, 37
	v_readlane_b32 s47, v169, 38
	;; [unrolled: 1-line block ×6, first 2 shown]
	s_cbranch_scc1 .LBB9_220
; %bb.219:
	v_readlane_b32 s5, v169, 0
	s_mul_i32 s5, s12, s5
	s_add_i32 s6, s4, s5
	s_ashr_i32 s7, s6, 31
	s_lshl_b64 s[6:7], s[6:7], 2
	s_add_u32 s6, s50, s6
	s_addc_u32 s7, s51, s7
	v_mov_b32_e32 v1, 0
	global_load_dword v1, v1, s[6:7]
	s_waitcnt vmcnt(0)
	v_ashrrev_i32_e32 v2, 31, v1
	v_lshrrev_b32_e32 v2, 26, v2
	v_add_u32_e32 v1, v1, v2
	v_ashrrev_i32_e32 v1, 6, v1
	v_min_i32_e32 v8, s27, v1
.LBB9_220:
	v_readlane_b32 s10, v169, 8
	v_readlane_b32 s11, v169, 9
	s_mul_i32 s5, s12, s11
	s_ashr_i32 s6, s5, 31
	s_add_u32 s5, s40, s5
	s_mul_i32 s17, s17, s10
	s_addc_u32 s6, s41, s6
	s_ashr_i32 s7, s17, 31
	v_and_b32_e32 v48, 0x3ff, v0
	s_add_u32 s10, s5, s17
	v_lshrrev_b32_e32 v50, 5, v48
	s_addc_u32 s11, s6, s7
	s_lshl_b32 s35, s4, 4
	v_add_u32_e32 v0, v50, v21
	v_add_u32_e32 v1, s35, v0
	v_and_b32_e32 v20, 31, v48
	v_cmp_le_i32_e32 vcc, s56, v1
	s_and_saveexec_b64 s[4:5], vcc
	s_xor_b64 s[4:5], exec, s[4:5]
	s_cbranch_execz .LBB9_222
; %bb.221:
	v_mad_u32_u24 v1, v0, 44, v20
	v_lshl_add_u32 v1, v1, 2, 0
	v_mov_b32_e32 v2, 0
	ds_write_b32 v1, v2
                                        ; implicit-def: $vgpr1
.LBB9_222:
	s_andn2_saveexec_b64 s[4:5], s[4:5]
	s_cbranch_execz .LBB9_224
; %bb.223:
	v_mad_u64_u32 v[2:3], s[6:7], v1, s57, v[20:21]
	v_ashrrev_i32_e32 v3, 31, v2
	v_lshlrev_b64 v[2:3], 3, v[2:3]
	v_mov_b32_e32 v1, s11
	v_add_co_u32_e32 v2, vcc, s10, v2
	v_addc_co_u32_e32 v3, vcc, v1, v3, vcc
	global_load_dwordx2 v[2:3], v[2:3], off
	s_waitcnt vmcnt(0)
	v_cvt_f16_f32_e32 v1, v2
	v_cvt_f16_f32_e32 v2, v3
	v_mad_u32_u24 v3, v0, 44, v20
	v_pack_b32_f16 v1, v1, v2
	v_pk_mul_f16 v1, v29, v1
	v_lshl_add_u32 v2, v3, 2, 0
	ds_write_b32 v2, v1
.LBB9_224:
	s_or_b64 exec, exec, s[4:5]
	v_add_u32_e32 v0, 8, v0
	v_add_u32_e32 v1, s35, v0
	v_cmp_le_i32_e32 vcc, s56, v1
	s_and_saveexec_b64 s[4:5], vcc
	s_xor_b64 s[4:5], exec, s[4:5]
	s_cbranch_execz .LBB9_226
; %bb.225:
	v_mad_u32_u24 v0, v0, 44, v20
	v_lshl_add_u32 v0, v0, 2, 0
	v_mov_b32_e32 v1, 0
	ds_write_b32 v0, v1
                                        ; implicit-def: $vgpr1
                                        ; implicit-def: $vgpr0
.LBB9_226:
	s_andn2_saveexec_b64 s[4:5], s[4:5]
	s_cbranch_execz .LBB9_228
; %bb.227:
	v_mad_u64_u32 v[2:3], s[6:7], v1, s57, v[20:21]
	v_ashrrev_i32_e32 v3, 31, v2
	v_lshlrev_b64 v[2:3], 3, v[2:3]
	v_mov_b32_e32 v1, s11
	v_add_co_u32_e32 v2, vcc, s10, v2
	v_addc_co_u32_e32 v3, vcc, v1, v3, vcc
	global_load_dwordx2 v[2:3], v[2:3], off
	v_mad_u32_u24 v0, v0, 44, v20
	v_lshl_add_u32 v0, v0, 2, 0
	s_waitcnt vmcnt(0)
	v_cvt_f16_f32_e32 v1, v2
	v_cvt_f16_f32_e32 v2, v3
	v_pack_b32_f16 v1, v1, v2
	v_pk_mul_f16 v1, v29, v1
	ds_write_b32 v0, v1
.LBB9_228:
	s_or_b64 exec, exec, s[4:5]
	v_lshrrev_b32_e32 v49, 3, v48
	v_lshl_add_u32 v70, v59, 3, v49
	v_cmp_gt_u32_e32 vcc, 16, v70
	s_and_saveexec_b64 s[4:5], vcc
	s_cbranch_execz .LBB9_233
; %bb.229:
	v_or_b32_e32 v0, s35, v70
	v_cmp_le_i32_e32 vcc, s56, v0
	s_and_saveexec_b64 s[6:7], vcc
	s_xor_b64 s[6:7], exec, s[6:7]
	s_cbranch_execz .LBB9_231
; %bb.230:
	v_and_b32_e32 v0, 7, v48
	v_mad_u32_u24 v0, v70, 44, v0
	v_lshl_add_u32 v0, v0, 2, 0
	v_mov_b32_e32 v1, 0
	ds_write_b32 v0, v1 offset:128
                                        ; implicit-def: $vgpr0
                                        ; implicit-def: $vgpr29
.LBB9_231:
	s_andn2_saveexec_b64 s[6:7], s[6:7]
	s_cbranch_execz .LBB9_233
; %bb.232:
	v_mul_lo_u32 v0, v0, s57
	v_and_b32_e32 v2, 7, v48
	v_ashrrev_i32_e32 v1, 31, v0
	v_add_co_u32_e32 v0, vcc, v0, v2
	v_addc_co_u32_e32 v1, vcc, 0, v1, vcc
	v_lshlrev_b64 v[0:1], 3, v[0:1]
	v_mov_b32_e32 v3, s11
	v_add_co_u32_e32 v0, vcc, s10, v0
	v_addc_co_u32_e32 v1, vcc, v3, v1, vcc
	global_load_dwordx2 v[0:1], v[0:1], off offset:256
	v_mad_u32_u24 v2, v70, 44, v2
	s_waitcnt vmcnt(0)
	v_cvt_f16_f32_e32 v0, v0
	v_cvt_f16_f32_e32 v1, v1
	v_pack_b32_f16 v0, v0, v1
	v_pk_mul_f16 v0, v29, v0
	v_lshl_add_u32 v1, v2, 2, 0
	ds_write_b32 v1, v0 offset:128
.LBB9_233:
	s_or_b64 exec, exec, s[4:5]
	v_readlane_b32 s6, v169, 19
	v_readlane_b32 s7, v169, 20
	s_mul_i32 s4, s12, s7
	s_mul_hi_u32 s5, s12, s6
	s_add_i32 s4, s5, s4
	s_mul_i32 s5, s14, s6
	v_readlane_b32 s16, v169, 26
	s_add_i32 s4, s4, s5
	s_mul_i32 s5, s12, s6
	v_readlane_b32 s19, v169, 29
	s_add_u32 s5, s44, s5
	s_mul_i32 s6, s13, s19
	s_addc_u32 s4, s45, s4
	s_ashr_i32 s7, s6, 31
	v_readlane_b32 s17, v169, 27
	s_add_u32 s33, s5, s6
	s_addc_u32 s34, s4, s7
	s_mul_i32 s4, s12, s17
	s_mul_hi_u32 s5, s12, s16
	s_add_i32 s4, s5, s4
	s_mul_i32 s14, s14, s16
	s_add_i32 s4, s4, s14
	s_mul_i32 s12, s12, s16
	s_add_u32 s5, s42, s12
	v_and_b32_e32 v9, 0xff0, v65
	s_movk_i32 s12, 0xb0
	v_and_b32_e32 v51, 15, v48
	v_and_b32_e32 v52, 0x7e, v49
	v_mad_u32_u24 v0, v9, s12, 0
	v_mul_u32_u24_e32 v72, 0xb0, v51
	v_lshlrev_b32_e32 v73, 2, v52
	v_add3_u32 v10, v0, v72, v73
	v_readlane_b32 s6, v169, 24
	s_waitcnt lgkmcnt(0)
	s_barrier
	ds_read2_b64 v[4:7], v10 offset1:4
	ds_read2_b64 v[0:3], v10 offset0:8 offset1:12
	ds_read_b64 v[16:17], v10 offset:128
	v_readlane_b32 s7, v169, 25
	s_mul_i32 s13, s13, s7
	s_addc_u32 s4, s43, s4
	s_ashr_i32 s6, s13, 31
	v_add_u32_e32 v76, -1, v8
	s_add_u32 s36, s5, s13
	v_cmp_ge_i32_e32 vcc, s38, v76
	v_mul_lo_u32 v22, s80, v70
	v_mul_lo_u32 v14, s62, v70
	s_addc_u32 s37, s4, s6
	s_mov_b32 s39, 0
	s_and_b64 vcc, exec, vcc
	v_mov_b32_e32 v53, 0
	v_or_b32_e32 v71, v9, v51
	v_lshlrev_b32_e32 v75, 1, v48
	v_lshrrev_b32_e32 v74, 1, v48
	v_ashrrev_i32_e32 v23, 31, v22
	v_add_u32_e32 v55, 32, v70
	v_lshl_add_u32 v18, s80, 5, v22
	v_lshrrev_b32_e32 v56, 2, v48
	v_ashrrev_i32_e32 v15, 31, v14
	v_lshlrev_b32_e32 v25, 1, v51
	v_readlane_b32 s18, v169, 28
	s_waitcnt lgkmcnt(0)
	s_barrier
	s_cbranch_vccnz .LBB9_247
; %bb.234:
	v_add_u32_e32 v13, s35, v59
	v_mov_b32_e32 v8, s9
	v_add_co_u32_e32 v78, vcc, s8, v75
	v_readlane_b32 s10, v169, 14
	v_add_u32_e32 v19, 8, v13
	v_addc_co_u32_e32 v79, vcc, 0, v8, vcc
	v_mul_hi_u32 v8, s10, v13
	v_mul_hi_u32 v24, s10, v19
	v_readlane_b32 s11, v169, 15
	v_add_u32_e32 v8, v13, v8
	v_add_u32_e32 v24, v19, v24
	v_lshrrev_b32_e32 v8, s11, v8
	v_lshrrev_b32_e32 v24, s11, v24
	v_mul_lo_u32 v8, v8, s56
	v_mul_u32_u24_e32 v10, 0x90, v59
	v_mul_lo_u32 v24, v24, s56
	v_sub_u32_e32 v8, v13, v8
	v_add3_u32 v80, 0, v10, v75
	v_add_u32_e32 v10, 4, v13
	v_sub_u32_e32 v19, v19, v24
	v_add_u32_e32 v13, 12, v13
	v_mad_i64_i32 v[32:33], s[6:7], v19, s70, 0
	v_mul_hi_u32 v19, s10, v13
	v_add_u32_e32 v19, v13, v19
	v_lshrrev_b32_e32 v19, s11, v19
	v_mul_lo_u32 v19, v19, s56
	v_sub_u32_e32 v13, v13, v19
	v_mad_i64_i32 v[34:35], s[6:7], v13, s70, 0
	v_mbcnt_hi_u32_b32 v13, -1, v68
	v_and_b32_e32 v19, 64, v13
	v_add_u32_e32 v19, 64, v19
	v_xor_b32_e32 v24, 32, v13
	v_mul_hi_u32 v11, s10, v10
	v_cmp_lt_i32_e32 vcc, v24, v19
	v_add_u32_e32 v11, v10, v11
	v_cndmask_b32_e32 v24, v13, v24, vcc
	v_lshrrev_b32_e32 v11, s11, v11
	v_lshlrev_b32_e32 v84, 2, v24
	v_xor_b32_e32 v24, 16, v13
	v_mul_lo_u32 v11, v11, s56
	v_cmp_lt_i32_e32 vcc, v24, v19
	v_sub_u32_e32 v10, v10, v11
	v_cndmask_b32_e32 v13, v13, v24, vcc
	v_and_b32_e32 v28, 48, v61
	v_and_b32_e32 v30, 0xfc, v56
	v_mad_i64_i32 v[8:9], s[6:7], v8, s70, 0
	v_mad_i64_i32 v[10:11], s[6:7], v10, s70, 0
	v_lshlrev_b32_e32 v85, 2, v13
	v_lshl_add_u32 v13, v59, 5, v74
	v_lshlrev_b32_e32 v26, 2, v48
	v_mad_u32_u24 v29, v28, s12, 0
	v_add_u32_e32 v31, v28, v30
	v_add_u16_e32 v28, v28, v30
	v_cmp_gt_u32_e64 s[6:7], 64, v13
	v_mad_u32_u24 v19, v13, s12, 0
	v_mul_lo_u32 v36, s80, v13
	v_and_b32_e32 v24, 4, v26
	v_lshrrev_b16_e32 v28, 1, v28
	v_mul_lo_u32 v42, s62, v13
	v_or_b32_e32 v13, 3, v56
	v_lshlrev_b32_e32 v27, 2, v24
	s_movk_i32 s10, 0x80
	v_mul_u32_u24_e32 v38, 0x90, v71
	v_lshlrev_b32_e32 v28, 2, v28
	v_mul_u32_u24_e32 v13, 0xb0, v13
	v_and_b32_e32 v40, 28, v26
	v_add3_u32 v86, v19, v27, s10
	v_mul_u32_u24_e32 v27, 0xb0, v70
	v_add3_u32 v44, 0, v38, v28
	v_mul_u32_u24_e32 v28, 0x58, v30
	v_mul_u32_u24_e32 v30, 0xb0, v30
	v_mul_lo_u32 v46, s62, v55
	v_add3_u32 v90, v29, v13, v25
	v_lshlrev_b32_e32 v13, 2, v40
	s_cmp_lg_u64 s[8:9], 0
	s_mov_b64 s[26:27], src_private_base
	v_ashrrev_i32_e32 v37, 31, v36
	v_ashrrev_i32_e32 v19, 31, v18
	;; [unrolled: 1-line block ×3, first 2 shown]
	v_or_b32_e32 v28, v28, v51
	v_ashrrev_i32_e32 v47, 31, v46
	v_add3_u32 v89, v29, v30, v25
	v_add3_u32 v95, 0, v27, v13
	s_cselect_b64 s[24:25], -1, 0
	v_cmp_gt_u32_e64 s[4:5], 64, v48
	v_mov_b32_e32 v77, 0
	v_add_u32_e32 v81, 0x240, v80
	v_add_u32_e32 v82, 0x480, v80
	;; [unrolled: 1-line block ×3, first 2 shown]
	s_mov_b32 s26, 0
	v_cmp_gt_u32_e64 s[22:23], 64, v70
	v_cmp_gt_u32_e64 s[10:11], 32, v70
	v_add3_u32 v87, v29, v72, v73
	v_cmp_gt_u32_e64 s[12:13], 64, v31
	v_cmp_gt_u32_e64 s[14:15], 63, v31
	v_cmp_gt_u32_e64 s[16:17], 62, v31
	v_cmp_gt_u32_e64 s[18:19], 61, v31
	v_lshl_add_u32 v88, v28, 1, v29
	v_add_u32_e32 v91, 32, v89
	v_add_u32_e32 v92, 64, v89
	;; [unrolled: 1-line block ×5, first 2 shown]
	v_mov_b32_e32 v26, v12
	v_mov_b32_e32 v27, v12
	s_lshl_b32 s28, s38, 6
	v_mov_b32_e32 v100, 0xfeffffff
	v_lshlrev_b64 v[28:29], 1, v[8:9]
	v_lshlrev_b64 v[30:31], 1, v[10:11]
	;; [unrolled: 1-line block ×6, first 2 shown]
	v_lshlrev_b32_e32 v97, 2, v40
	v_lshlrev_b64 v[40:41], 2, v[18:19]
	v_add_u32_e32 v19, 0x2c00, v44
	v_lshlrev_b64 v[42:43], 2, v[42:43]
	s_mov_b32 s40, 0x3fb8aa3b
	s_mov_b32 s41, 0xc2ce8ed0
	;; [unrolled: 1-line block ×4, first 2 shown]
	v_lshlrev_b64 v[44:45], 2, v[14:15]
	v_lshlrev_b64 v[46:47], 2, v[46:47]
	s_mov_b32 s44, 0x5040100
	v_mov_b32_e32 v98, 0x7f800000
	v_mov_b32_e32 v99, 0
	;; [unrolled: 1-line block ×12, first 2 shown]
.LBB9_235:                              ; =>This Inner Loop Header: Depth=1
	v_cndmask_b32_e64 v8, 0, 1, s[24:25]
	v_cmp_ne_u32_e64 s[20:21], 1, v8
	s_andn2_b64 vcc, exec, s[24:25]
	s_ashr_i32 s29, s28, 31
	s_cbranch_vccnz .LBB9_239
; %bb.236:                              ;   in Loop: Header=BB9_235 Depth=1
	v_mov_b32_e32 v8, 0
	v_mov_b32_e32 v9, 0
	;; [unrolled: 1-line block ×4, first 2 shown]
	s_and_saveexec_b64 s[30:31], s[4:5]
	s_cbranch_execz .LBB9_238
; %bb.237:                              ;   in Loop: Header=BB9_235 Depth=1
	s_lshl_b64 s[46:47], s[28:29], 1
	v_mov_b32_e32 v8, s47
	v_add_co_u32_e32 v13, vcc, s46, v78
	v_addc_co_u32_e32 v101, vcc, v79, v8, vcc
	v_add_co_u32_e32 v8, vcc, v13, v28
	v_addc_co_u32_e32 v9, vcc, v101, v29, vcc
	;; [unrolled: 2-line block ×5, first 2 shown]
	flat_load_ushort v8, v[8:9]
	s_nop 0
	flat_load_ushort v9, v[10:11]
	s_nop 0
	flat_load_ushort v10, v[102:103]
	flat_load_ushort v11, v[104:105]
.LBB9_238:                              ;   in Loop: Header=BB9_235 Depth=1
	s_or_b64 exec, exec, s[30:31]
	s_waitcnt vmcnt(0) lgkmcnt(0)
	ds_write_b16 v80, v8 offset:11264
	ds_write_b16 v81, v9 offset:11264
	ds_write_b16 v82, v10 offset:11264
	ds_write_b16 v83, v11 offset:11264
.LBB9_239:                              ;   in Loop: Header=BB9_235 Depth=1
	s_mul_hi_i32 s31, s28, s80
	s_mul_i32 s30, s28, s80
	s_lshl_b64 s[30:31], s[30:31], 2
	s_add_u32 s29, s36, s30
	s_addc_u32 s45, s37, s31
	buffer_store_dword v77, off, s[0:3], 0
	buffer_store_dword v77, off, s[0:3], 0 offset:4
	buffer_store_dword v77, off, s[0:3], 0 offset:8
	;; [unrolled: 1-line block ×3, first 2 shown]
	s_and_saveexec_b64 s[30:31], s[6:7]
	s_cbranch_execz .LBB9_241
; %bb.240:                              ;   in Loop: Header=BB9_235 Depth=1
	v_mov_b32_e32 v8, s45
	v_add_co_u32_e32 v9, vcc, s29, v36
	v_addc_co_u32_e32 v10, vcc, v8, v37, vcc
	v_lshlrev_b32_e32 v8, 2, v24
	v_add_co_u32_e32 v8, vcc, v9, v8
	v_addc_co_u32_e32 v9, vcc, 0, v10, vcc
	global_load_dwordx4 v[8:11], v[8:9], off offset:128
	s_waitcnt vmcnt(0)
	ds_write_b128 v86, v[8:11]
.LBB9_241:                              ;   in Loop: Header=BB9_235 Depth=1
	s_or_b64 exec, exec, s[30:31]
	v_mov_b32_e32 v8, s45
	v_add_co_u32_e32 v9, vcc, s29, v38
	v_addc_co_u32_e32 v8, vcc, v8, v39, vcc
	v_add_co_u32_e32 v10, vcc, v9, v97
	v_addc_co_u32_e32 v8, vcc, 0, v8, vcc
	v_mov_b32_e32 v13, s27
	v_mov_b32_e32 v101, s26
	v_cndmask_b32_e64 v9, v13, v8, s[22:23]
	v_cndmask_b32_e64 v8, v101, v10, s[22:23]
	flat_load_dwordx4 v[8:11], v[8:9]
	v_mov_b32_e32 v102, s45
	v_add_co_u32_e32 v103, vcc, s29, v40
	v_addc_co_u32_e32 v102, vcc, v102, v41, vcc
	v_add_co_u32_e32 v103, vcc, v103, v97
	v_addc_co_u32_e32 v104, vcc, 0, v102, vcc
	v_cndmask_b32_e64 v102, v101, v103, s[10:11]
	v_cndmask_b32_e64 v103, v13, v104, s[10:11]
	s_and_b64 vcc, exec, s[20:21]
	s_waitcnt vmcnt(0) lgkmcnt(0)
	ds_write_b128 v95, v[8:11]
	flat_load_dwordx4 v[8:11], v[102:103]
	s_waitcnt vmcnt(0) lgkmcnt(0)
	ds_write_b128 v96, v[8:11]
	s_waitcnt lgkmcnt(0)
	s_barrier
	ds_read2_b64 v[8:11], v87 offset1:4
	s_waitcnt lgkmcnt(0)
	v_mfma_f32_16x16x16f16 v[102:105], v[8:9], v[4:5], 0
	v_mfma_f32_16x16x16f16 v[8:11], v[10:11], v[6:7], v[102:105]
	s_nop 7
	s_nop 1
	ds_read2_b64 v[102:105], v87 offset0:8 offset1:12
	s_waitcnt lgkmcnt(0)
	v_mfma_f32_16x16x16f16 v[8:11], v[102:103], v[0:1], v[8:11]
	ds_read_b64 v[102:103], v87 offset:128
	s_waitcnt lgkmcnt(0)
	s_barrier
	v_mfma_f32_16x16x16f16 v[8:11], v[104:105], v[2:3], v[8:11]
	v_mfma_f32_16x16x16f16 v[8:11], v[102:103], v[16:17], v[8:11]
	s_cbranch_vccnz .LBB9_243
; %bb.242:                              ;   in Loop: Header=BB9_235 Depth=1
	ds_read2_b32 v[102:103], v19 offset1:1
	v_mov_b32_e32 v13, v12
	s_waitcnt lgkmcnt(0)
	v_cvt_f32_f16_e32 v104, v102
	v_cvt_f32_f16_e32 v106, v103
	v_cvt_f32_f16_sdwa v107, v103 dst_sel:DWORD dst_unused:UNUSED_PAD src0_sel:WORD_1
	v_cvt_f32_f16_sdwa v105, v102 dst_sel:DWORD dst_unused:UNUSED_PAD src0_sel:WORD_1
	s_nop 2
	v_pk_fma_f32 v[10:11], v[12:13], v[106:107], v[10:11]
	v_pk_fma_f32 v[8:9], v[26:27], v[104:105], v[8:9]
.LBB9_243:                              ;   in Loop: Header=BB9_235 Depth=1
	v_add_f32_e32 v13, 0x40051340, v8
	v_max_f32_e32 v101, v100, v100
	v_max_f32_e32 v13, v101, v13
	v_cndmask_b32_e64 v13, v100, v13, s[12:13]
	v_add_f32_e32 v101, 0x40051340, v9
	v_max_f32_e32 v102, v13, v13
	v_max_f32_e32 v101, v102, v101
	v_cndmask_b32_e64 v13, v13, v101, s[14:15]
	s_nop 1
	v_add_f32_e32 v101, 0x40051340, v10
	v_max_f32_e32 v102, v13, v13
	v_max_f32_e32 v101, v102, v101
	v_cndmask_b32_e64 v13, v13, v101, s[16:17]
	v_add_f32_e32 v101, 0x40051340, v11
	v_max_f32_e32 v102, v13, v13
	v_max_f32_e32 v101, v102, v101
	v_cndmask_b32_e64 v13, v13, v101, s[18:19]
	ds_bpermute_b32 v101, v84, v13
	v_max_f32_e32 v13, v13, v13
	s_mul_hi_i32 s21, s28, s62
	s_mul_i32 s20, s28, s62
	s_lshl_b64 s[20:21], s[20:21], 2
	s_waitcnt lgkmcnt(0)
	v_max_f32_e32 v101, v101, v101
	v_max_f32_e32 v13, v13, v101
	ds_bpermute_b32 v101, v85, v13
	s_add_u32 s29, s33, s20
	s_addc_u32 s30, s34, s21
	buffer_store_dword v77, off, s[0:3], 0
	buffer_store_dword v77, off, s[0:3], 0 offset:4
	buffer_store_dword v77, off, s[0:3], 0 offset:8
	;; [unrolled: 1-line block ×3, first 2 shown]
	s_and_saveexec_b64 s[20:21], s[6:7]
	s_cbranch_execz .LBB9_245
; %bb.244:                              ;   in Loop: Header=BB9_235 Depth=1
	v_mov_b32_e32 v102, s30
	v_add_co_u32_e32 v103, vcc, s29, v42
	v_addc_co_u32_e32 v104, vcc, v102, v43, vcc
	v_lshlrev_b32_e32 v102, 2, v24
	v_add_co_u32_e32 v102, vcc, v103, v102
	v_addc_co_u32_e32 v103, vcc, 0, v104, vcc
	global_load_dwordx4 v[102:105], v[102:103], off offset:128
	s_waitcnt vmcnt(0)
	ds_write_b128 v86, v[102:105]
.LBB9_245:                              ;   in Loop: Header=BB9_235 Depth=1
	s_or_b64 exec, exec, s[20:21]
	v_mov_b32_e32 v102, s30
	v_add_co_u32_e32 v103, vcc, s29, v44
	v_addc_co_u32_e32 v102, vcc, v102, v45, vcc
	v_add_co_u32_e32 v104, vcc, v103, v97
	v_addc_co_u32_e32 v102, vcc, 0, v102, vcc
	v_mov_b32_e32 v107, s27
	v_mov_b32_e32 v108, s26
	v_cndmask_b32_e64 v103, v107, v102, s[22:23]
	v_cndmask_b32_e64 v102, v108, v104, s[22:23]
	flat_load_dwordx4 v[102:105], v[102:103]
	s_waitcnt lgkmcnt(0)
	v_max_f32_e32 v101, v101, v101
	v_max_f32_e32 v109, v13, v13
	v_cndmask_b32_e64 v111, v10, v10, s[14:15]
	v_mov_b32_e32 v112, s30
	v_max_f32_e32 v10, v109, v101
	v_add_co_u32_e32 v101, vcc, s29, v46
	v_addc_co_u32_e32 v109, vcc, v112, v47, vcc
	v_sub_f32_e32 v112, v8, v10
	v_add_co_u32_e32 v8, vcc, v101, v97
	v_sub_f32_e32 v113, v9, v10
	v_sub_f32_e32 v114, v100, v10
	v_addc_co_u32_e32 v9, vcc, 0, v109, vcc
	v_mul_f32_e32 v100, 0x3fb8aa3b, v112
	v_cndmask_b32_e64 v8, v108, v8, s[10:11]
	v_cndmask_b32_e64 v9, v107, v9, s[10:11]
	v_rndne_f32_e32 v101, v100
	v_fma_f32 v107, v112, s40, -v100
	v_sub_f32_e32 v125, v100, v101
	v_cvt_i32_f32_e32 v126, v101
	v_cndmask_b32_e64 v110, v11, v11, s[14:15]
	v_sub_f32_e32 v111, v111, v10
	v_mul_f32_e32 v108, 0x3fb8aa3b, v113
	v_sub_f32_e32 v110, v110, v10
	v_mul_f32_e32 v109, 0x3fb8aa3b, v111
	v_fma_f32 v117, v113, s40, -v108
	v_rndne_f32_e32 v118, v108
	v_fmac_f32_e32 v107, 0x32a5705f, v112
	v_mul_f32_e32 v115, 0x3fb8aa3b, v110
	v_fma_f32 v119, v111, s40, -v109
	v_rndne_f32_e32 v120, v109
	v_fmac_f32_e32 v117, 0x32a5705f, v113
	v_add_f32_e32 v107, v125, v107
	v_mul_f32_e32 v116, 0x3fb8aa3b, v114
	v_fma_f32 v121, v110, s40, -v115
	v_rndne_f32_e32 v122, v115
	v_fmac_f32_e32 v119, 0x32a5705f, v111
	v_exp_f32_e32 v107, v107
	v_fma_f32 v123, v114, s40, -v116
	v_rndne_f32_e32 v124, v116
	v_fmac_f32_e32 v121, 0x32a5705f, v110
	v_fmac_f32_e32 v123, 0x32a5705f, v114
	v_ldexp_f32 v107, v107, v126
	v_cmp_ngt_f32_e32 vcc, s41, v112
	v_cndmask_b32_e32 v107, 0, v107, vcc
	v_cmp_ngt_f32_e32 vcc, s41, v113
	v_mov_b32_e32 v13, s39
	v_mov_b32_e32 v106, s39
	;; [unrolled: 1-line block ×3, first 2 shown]
	s_add_i32 s38, s38, 1
	s_add_i32 s28, s28, 64
	s_waitcnt vmcnt(0)
	ds_write_b128 v95, v[102:105]
	flat_load_dwordx4 v[100:103], v[8:9]
	v_sub_f32_e32 v8, v108, v118
	v_sub_f32_e32 v104, v109, v120
	v_add_f32_e32 v8, v8, v117
	v_cvt_i32_f32_e32 v9, v118
	v_sub_f32_e32 v108, v115, v122
	v_add_f32_e32 v104, v104, v119
	v_exp_f32_e32 v8, v8
	v_cvt_i32_f32_e32 v105, v120
	v_sub_f32_e32 v115, v116, v124
	v_add_f32_e32 v108, v108, v121
	v_exp_f32_e32 v104, v104
	v_cvt_i32_f32_e32 v109, v122
	v_add_f32_e32 v115, v115, v123
	v_exp_f32_e32 v108, v108
	v_cvt_i32_f32_e32 v116, v124
	v_exp_f32_e32 v115, v115
	v_ldexp_f32 v8, v8, v9
	v_ldexp_f32 v9, v104, v105
	v_cndmask_b32_e32 v8, 0, v8, vcc
	v_cmp_ngt_f32_e32 vcc, s41, v111
	v_ldexp_f32 v104, v108, v109
	v_cndmask_b32_e32 v9, 0, v9, vcc
	v_cmp_ngt_f32_e32 vcc, s41, v110
	;; [unrolled: 3-line block ×3, first 2 shown]
	v_cndmask_b32_e32 v105, 0, v105, vcc
	v_cmp_nlt_f32_e32 vcc, s42, v112
	v_cndmask_b32_e32 v107, v98, v107, vcc
	v_cmp_nlt_f32_e32 vcc, s42, v113
	;; [unrolled: 2-line block ×5, first 2 shown]
	v_cndmask_b32_e32 v105, v98, v105, vcc
	v_cmp_le_f32_e32 vcc, s43, v114
	v_cndmask_b32_e32 v112, 0, v105, vcc
	v_cndmask_b32_e64 v8, 0, v107, s[12:13]
	v_cndmask_b32_e64 v13, v13, v108, s[14:15]
	;; [unrolled: 1-line block ×4, first 2 shown]
	v_cvt_f16_f32_e32 v113, v112
	v_add_f32_e32 v105, v108, v8
	v_cvt_f16_f32_e32 v107, v8
	v_cvt_f16_f32_e32 v13, v13
	;; [unrolled: 1-line block ×4, first 2 shown]
	v_cndmask_b32_e64 v8, v8, v105, s[14:15]
	v_add_f32_e32 v9, v8, v9
	v_cndmask_b32_e64 v114, v8, v9, s[16:17]
	v_pk_mul_f16 v66, v113, v66 op_sel_hi:[0,1]
	v_pk_mul_f16 v64, v113, v64 op_sel_hi:[0,1]
	v_add_f32_e32 v115, v114, v104
	v_pk_mul_f16 v63, v113, v63 op_sel_hi:[0,1]
	v_pk_mul_f16 v116, v113, v62 op_sel_hi:[0,1]
	v_pack_b32_f16 v8, v107, v13
	v_pack_b32_f16 v9, v106, v11
	v_cvt_f32_f16_e32 v104, v66
	v_cvt_f32_f16_sdwa v105, v66 dst_sel:DWORD dst_unused:UNUSED_PAD src0_sel:WORD_1
	v_cvt_f32_f16_e32 v106, v64
	v_cvt_f32_f16_sdwa v107, v64 dst_sel:DWORD dst_unused:UNUSED_PAD src0_sel:WORD_1
	;; [unrolled: 2-line block ×3, first 2 shown]
	v_pk_mul_f16 v69, v113, v69 op_sel_hi:[0,1]
	v_cvt_f32_f16_e32 v110, v69
	v_pk_mul_f16 v58, v113, v58 op_sel_hi:[0,1]
	v_pk_mul_f16 v57, v113, v57 op_sel_hi:[0,1]
	;; [unrolled: 1-line block ×4, first 2 shown]
	v_cmp_lt_i32_e32 vcc, s38, v76
	s_and_b64 vcc, exec, vcc
	s_waitcnt vmcnt(0) lgkmcnt(0)
	ds_write_b128 v96, v[100:103]
	s_waitcnt lgkmcnt(0)
	s_barrier
	ds_read_u16 v11, v89 offset:176
	ds_read_u16 v13, v89 offset:352
	ds_read_u16 v62, v90
	ds_read_u16 v64, v88
	ds_read_u16 v66, v88 offset:32
	ds_read_u16 v117, v88 offset:64
	;; [unrolled: 1-line block ×4, first 2 shown]
	s_waitcnt lgkmcnt(5)
	v_perm_b32 v63, v62, v13, s44
	s_waitcnt lgkmcnt(4)
	v_perm_b32 v62, v11, v64, s44
	ds_read_u16 v11, v91 offset:176
	ds_read_u16 v13, v91 offset:352
	;; [unrolled: 1-line block ×7, first 2 shown]
	v_mfma_f32_16x16x16f16 v[100:103], v[62:63], v[8:9], v[104:107]
	s_waitcnt lgkmcnt(2)
	v_perm_b32 v63, v111, v13, s44
	v_perm_b32 v62, v11, v66, s44
	v_cvt_f32_f16_sdwa v111, v69 dst_sel:DWORD dst_unused:UNUSED_PAD src0_sel:WORD_1
	s_nop 2
	v_cvt_f32_f16_e32 v104, v58
	v_cvt_f32_f16_sdwa v105, v58 dst_sel:DWORD dst_unused:UNUSED_PAD src0_sel:WORD_1
	v_cvt_f32_f16_e32 v106, v57
	v_cvt_f32_f16_sdwa v107, v57 dst_sel:DWORD dst_unused:UNUSED_PAD src0_sel:WORD_1
	v_mfma_f32_16x16x16f16 v[108:111], v[62:63], v[8:9], v[108:111]
	s_waitcnt lgkmcnt(1)
	v_perm_b32 v63, v121, v120, s44
	v_perm_b32 v62, v64, v117, s44
	v_cvt_f16_f32_e32 v58, v102
	ds_read_u16 v123, v90 offset:128
	v_pk_mul_f16 v11, v113, v54 op_sel_hi:[0,1]
	v_cvt_f16_f32_e32 v54, v100
	v_cvt_f16_f32_e32 v57, v101
	v_mfma_f32_16x16x16f16 v[104:107], v[62:63], v[8:9], v[104:107]
	v_cvt_f16_f32_e32 v62, v103
	s_nop 0
	v_cvt_f16_f32_e32 v63, v108
	v_cvt_f16_f32_e32 v69, v109
	v_pack_b32_f16 v66, v54, v57
	v_pack_b32_f16 v64, v58, v62
	v_cvt_f32_f16_e32 v100, v116
	v_pack_b32_f16 v63, v63, v69
	ds_read_u16 v58, v93 offset:176
	ds_read_u16 v69, v93 offset:352
	s_nop 0
	v_cvt_f16_f32_e32 v54, v104
	v_cvt_f16_f32_e32 v57, v105
	v_cvt_f32_f16_sdwa v101, v116 dst_sel:DWORD dst_unused:UNUSED_PAD src0_sel:WORD_1
	s_waitcnt lgkmcnt(1)
	v_perm_b32 v104, v58, v118, s44
	s_waitcnt lgkmcnt(0)
	v_perm_b32 v105, v122, v69, s44
	v_cvt_f32_f16_e32 v102, v60
	v_cvt_f32_f16_sdwa v103, v60 dst_sel:DWORD dst_unused:UNUSED_PAD src0_sel:WORD_1
	v_cndmask_b32_e64 v13, v114, v115, s[18:19]
	v_cvt_f16_f32_e32 v62, v106
	v_cvt_f16_f32_e32 v106, v107
	ds_read_u16 v107, v94 offset:176
	ds_read_u16 v109, v94 offset:352
	v_fmac_f32_e32 v13, v99, v112
	v_cvt_f16_f32_e32 v99, v110
	v_cvt_f16_f32_e32 v108, v111
	v_mfma_f32_16x16x16f16 v[100:103], v[104:105], v[8:9], v[100:103]
	s_waitcnt lgkmcnt(0)
	v_perm_b32 v109, v123, v109, s44
	v_pack_b32_f16 v58, v54, v57
	v_pack_b32_f16 v69, v99, v108
	v_perm_b32 v108, v107, v119, s44
	v_pack_b32_f16 v57, v62, v106
	v_cvt_f32_f16_e32 v104, v11
	v_cvt_f32_f16_sdwa v105, v11 dst_sel:DWORD dst_unused:UNUSED_PAD src0_sel:WORD_1
	v_cvt_f32_f16_e32 v106, v53
	v_cvt_f32_f16_sdwa v107, v53 dst_sel:DWORD dst_unused:UNUSED_PAD src0_sel:WORD_1
	s_nop 0
	v_cvt_f16_f32_e32 v54, v100
	v_cvt_f16_f32_e32 v11, v101
	v_cvt_f16_f32_e32 v53, v102
	v_cvt_f16_f32_e32 v60, v103
	v_mfma_f32_16x16x16f16 v[100:103], v[108:109], v[8:9], v[104:107]
	v_pack_b32_f16 v62, v54, v11
	v_pack_b32_f16 v60, v53, v60
	s_barrier
	s_nop 7
	v_cvt_f16_f32_e32 v8, v100
	v_cvt_f16_f32_e32 v9, v101
	;; [unrolled: 1-line block ×4, first 2 shown]
	v_pack_b32_f16 v54, v8, v9
	v_pack_b32_f16 v53, v99, v100
	s_cbranch_vccz .LBB9_248
; %bb.246:                              ;   in Loop: Header=BB9_235 Depth=1
	v_mov_b32_e32 v99, v13
	v_mov_b32_e32 v100, v10
	s_branch .LBB9_235
.LBB9_247:
	v_mov_b32_e32 v13, 0
	v_mov_b32_e32 v10, 0xfeffffff
	;; [unrolled: 1-line block ×11, first 2 shown]
.LBB9_248:
	s_lshl_b32 s20, s38, 6
	v_readlane_b32 s4, v169, 4
	s_sub_i32 s22, s4, s20
	s_cmp_lg_u64 s[8:9], 0
	s_cselect_b64 s[10:11], -1, 0
	s_ashr_i32 s21, s20, 31
	s_cmp_eq_u64 s[8:9], 0
	v_readlane_b32 s5, v169, 5
	s_cbranch_scc1 .LBB9_258
; %bb.249:
	s_lshl_b64 s[4:5], s[20:21], 1
	s_add_u32 s4, s8, s4
	s_addc_u32 s5, s9, s5
	v_mov_b32_e32 v9, s5
	v_add_co_u32_e64 v8, s[4:5], s4, v75
	v_cmp_gt_i32_e32 vcc, s22, v48
	v_mov_b32_e32 v11, 0
	v_addc_co_u32_e64 v9, s[4:5], 0, v9, s[4:5]
	v_mov_b32_e32 v24, 0
	s_and_saveexec_b64 s[6:7], vcc
	s_cbranch_execz .LBB9_251
; %bb.250:
	v_add_u32_e32 v19, s35, v59
	v_readlane_b32 s4, v169, 14
	v_mul_hi_u32 v24, s4, v19
	v_readlane_b32 s5, v169, 15
	v_add_u32_e32 v24, v19, v24
	v_lshrrev_b32_e32 v24, s5, v24
	v_mul_lo_u32 v24, v24, s56
	v_sub_u32_e32 v19, v19, v24
	v_mad_i64_i32 v[26:27], s[4:5], v19, s70, 0
	v_lshlrev_b64 v[26:27], 1, v[26:27]
	v_add_co_u32_e64 v26, s[4:5], v8, v26
	v_addc_co_u32_e64 v27, s[4:5], v9, v27, s[4:5]
	flat_load_ushort v24, v[26:27]
.LBB9_251:
	s_or_b64 exec, exec, s[6:7]
	s_movk_i32 s4, 0x90
	v_mad_u32_u24 v19, v59, s4, 0
	v_lshl_add_u32 v26, v48, 1, v19
	s_waitcnt vmcnt(0) lgkmcnt(0)
	ds_write_b16 v26, v24 offset:11264
	s_and_saveexec_b64 s[6:7], vcc
	s_cbranch_execz .LBB9_253
; %bb.252:
	v_add3_u32 v11, v59, s35, 4
	v_readlane_b32 s4, v169, 14
	v_mul_hi_u32 v24, s4, v11
	v_readlane_b32 s5, v169, 15
	v_add_u32_e32 v24, v11, v24
	v_lshrrev_b32_e32 v24, s5, v24
	v_mul_lo_u32 v24, v24, s56
	v_sub_u32_e32 v11, v11, v24
	v_mad_i64_i32 v[26:27], s[4:5], v11, s70, 0
	v_lshlrev_b64 v[26:27], 1, v[26:27]
	v_add_co_u32_e64 v26, s[4:5], v8, v26
	v_addc_co_u32_e64 v27, s[4:5], v9, v27, s[4:5]
	flat_load_ushort v11, v[26:27]
.LBB9_253:
	s_or_b64 exec, exec, s[6:7]
	v_add_u32_e32 v19, 0x240, v19
	v_lshl_add_u32 v24, v48, 1, v19
	s_waitcnt vmcnt(0) lgkmcnt(0)
	ds_write_b16 v24, v11 offset:11264
	v_mov_b32_e32 v11, 0
	v_mov_b32_e32 v24, 0
	s_and_saveexec_b64 s[6:7], vcc
	s_cbranch_execz .LBB9_255
; %bb.254:
	v_add3_u32 v24, v59, s35, 8
	v_readlane_b32 s4, v169, 14
	v_mul_hi_u32 v26, s4, v24
	v_readlane_b32 s5, v169, 15
	v_add_u32_e32 v26, v24, v26
	v_lshrrev_b32_e32 v26, s5, v26
	v_mul_lo_u32 v26, v26, s56
	v_sub_u32_e32 v24, v24, v26
	v_mad_i64_i32 v[26:27], s[4:5], v24, s70, 0
	v_lshlrev_b64 v[26:27], 1, v[26:27]
	v_add_co_u32_e64 v26, s[4:5], v8, v26
	v_addc_co_u32_e64 v27, s[4:5], v9, v27, s[4:5]
	flat_load_ushort v24, v[26:27]
.LBB9_255:
	s_or_b64 exec, exec, s[6:7]
	v_add_u32_e32 v19, 0x240, v19
	v_lshl_add_u32 v19, v48, 1, v19
	s_waitcnt vmcnt(0) lgkmcnt(0)
	ds_write_b16 v19, v24 offset:11264
	s_and_saveexec_b64 s[4:5], vcc
	s_cbranch_execz .LBB9_257
; %bb.256:
	v_add3_u32 v11, v59, s35, 12
	v_readlane_b32 s6, v169, 14
	v_mul_hi_u32 v24, s6, v11
	v_readlane_b32 s7, v169, 15
	v_add_u32_e32 v24, v11, v24
	v_lshrrev_b32_e32 v24, s7, v24
	v_mul_lo_u32 v24, v24, s56
	v_sub_u32_e32 v11, v11, v24
	v_mad_i64_i32 v[26:27], s[6:7], v11, s70, 0
	v_lshlrev_b64 v[26:27], 1, v[26:27]
	v_add_co_u32_e32 v8, vcc, v8, v26
	v_addc_co_u32_e32 v9, vcc, v9, v27, vcc
	flat_load_ushort v11, v[8:9]
.LBB9_257:
	s_or_b64 exec, exec, s[4:5]
	s_waitcnt vmcnt(0) lgkmcnt(0)
	ds_write_b16 v19, v11 offset:11840
.LBB9_258:
	s_mul_hi_i32 s5, s20, s80
	s_mul_i32 s4, s20, s80
	s_lshl_b64 s[4:5], s[4:5], 2
	s_add_u32 s8, s36, s4
	v_lshl_add_u32 v24, v59, 5, v74
	s_addc_u32 s9, s37, s5
	s_mov_b64 s[4:5], src_private_base
	v_mov_b32_e32 v8, 0
	v_cmp_gt_u32_e64 s[16:17], 64, v24
	buffer_store_dword v8, off, s[0:3], 0
	buffer_store_dword v8, off, s[0:3], 0 offset:4
	buffer_store_dword v8, off, s[0:3], 0 offset:8
	;; [unrolled: 1-line block ×3, first 2 shown]
                                        ; implicit-def: $vgpr27
	s_and_saveexec_b64 s[6:7], s[16:17]
	s_xor_b64 s[6:7], exec, s[6:7]
	s_cbranch_execz .LBB9_260
; %bb.259:
	v_mul_lo_u32 v8, s80, v24
	v_ashrrev_i32_e32 v9, 31, v8
	v_lshlrev_b64 v[8:9], 2, v[8:9]
	v_mov_b32_e32 v11, s9
	v_add_co_u32_e32 v8, vcc, s8, v8
	v_addc_co_u32_e32 v9, vcc, v11, v9, vcc
	v_lshlrev_b32_e32 v11, 4, v48
	v_and_b32_e32 v11, 16, v11
	v_add_co_u32_e32 v8, vcc, v8, v11
	v_addc_co_u32_e32 v9, vcc, 0, v9, vcc
	v_add_co_u32_e32 v8, vcc, 0x80, v8
	v_addc_co_u32_e32 v9, vcc, 0, v9, vcc
	v_mov_b32_e32 v19, s5
	v_cmp_gt_i32_e32 vcc, s22, v24
	v_cndmask_b32_e32 v9, v19, v9, vcc
	v_mov_b32_e32 v19, 0
	v_cndmask_b32_e32 v8, v19, v8, vcc
	flat_load_dwordx4 v[28:31], v[8:9]
	v_mul_u32_u24_e32 v8, 0xb0, v24
	v_add3_u32 v8, 0, v8, v11
	v_lshlrev_b32_e32 v27, 2, v48
	s_waitcnt vmcnt(0) lgkmcnt(0)
	ds_write_b128 v8, v[28:31] offset:128
.LBB9_260:
	s_andn2_saveexec_b64 s[6:7], s[6:7]
; %bb.261:
	v_lshlrev_b32_e32 v27, 2, v48
; %bb.262:
	s_or_b64 exec, exec, s[6:7]
	v_lshlrev_b64 v[22:23], 2, v[22:23]
	v_and_b32_e32 v8, 28, v27
	v_mov_b32_e32 v9, s9
	v_add_co_u32_e32 v11, vcc, s8, v22
	v_lshlrev_b32_e32 v8, 2, v8
	v_addc_co_u32_e32 v9, vcc, v9, v23, vcc
	v_add_co_u32_e32 v11, vcc, v11, v8
	v_addc_co_u32_e32 v9, vcc, 0, v9, vcc
	v_mov_b32_e32 v26, s5
	v_cmp_gt_i32_e64 s[14:15], s22, v70
	v_mov_b32_e32 v32, 0
	v_cndmask_b32_e64 v23, v26, v9, s[14:15]
	v_cndmask_b32_e64 v22, v32, v11, s[14:15]
	flat_load_dwordx4 v[28:31], v[22:23]
	v_ashrrev_i32_e32 v19, 31, v18
	v_lshlrev_b64 v[18:19], 2, v[18:19]
	v_mov_b32_e32 v11, s9
	v_add_co_u32_e32 v18, vcc, s8, v18
	v_addc_co_u32_e32 v11, vcc, v11, v19, vcc
	v_mul_u32_u24_e32 v9, 0xb0, v70
	v_add_co_u32_e32 v18, vcc, v18, v8
	v_add3_u32 v9, 0, v9, v8
	v_addc_co_u32_e32 v11, vcc, 0, v11, vcc
	v_cmp_gt_i32_e64 s[6:7], s22, v55
	v_cndmask_b32_e64 v19, v26, v11, s[6:7]
	v_cndmask_b32_e64 v18, v32, v18, s[6:7]
	s_movk_i32 s4, 0xb0
	s_andn2_b64 vcc, exec, s[10:11]
	s_waitcnt vmcnt(0) lgkmcnt(0)
	ds_write_b128 v9, v[28:31]
	flat_load_dwordx4 v[28:31], v[18:19]
	v_and_b32_e32 v19, 48, v61
	v_mad_u32_u24 v11, v19, s4, 0
	v_add3_u32 v18, v11, v72, v73
	s_waitcnt vmcnt(0) lgkmcnt(0)
	ds_write_b128 v9, v[28:31] offset:5632
	s_waitcnt lgkmcnt(0)
	s_barrier
	ds_read2_b64 v[28:31], v18 offset1:4
	s_waitcnt lgkmcnt(0)
	v_mfma_f32_16x16x16f16 v[32:35], v[28:29], v[4:5], 0
	v_mfma_f32_16x16x16f16 v[4:7], v[30:31], v[6:7], v[32:35]
	ds_read2_b64 v[28:31], v18 offset0:8 offset1:12
	s_waitcnt lgkmcnt(0)
	v_mfma_f32_16x16x16f16 v[4:7], v[28:29], v[0:1], v[4:7]
	v_mfma_f32_16x16x16f16 v[0:3], v[30:31], v[2:3], v[4:7]
	s_nop 7
	s_nop 1
	ds_read_b64 v[4:5], v18 offset:128
	s_waitcnt lgkmcnt(0)
	v_mfma_f32_16x16x16f16 v[0:3], v[4:5], v[16:17], v[0:3]
	v_and_b32_e32 v5, 0xfc, v56
	v_mov_b32_e32 v18, 0
	v_add_u32_e32 v4, v19, v5
	s_barrier
	s_cbranch_vccnz .LBB9_264
; %bb.263:
	s_movk_i32 s4, 0x90
	v_mad_u32_u24 v6, v71, s4, 0
	v_lshlrev_b32_e32 v7, 1, v4
	s_movk_i32 s4, 0x2c00
	v_add3_u32 v6, v6, v7, s4
	ds_read2_b32 v[6:7], v6 offset1:1
	s_waitcnt lgkmcnt(0)
	v_cvt_f32_f16_e32 v16, v6
	v_cvt_f32_f16_e32 v22, v7
	v_cvt_f32_f16_sdwa v23, v7 dst_sel:DWORD dst_unused:UNUSED_PAD src0_sel:WORD_1
	v_cvt_f32_f16_sdwa v17, v6 dst_sel:DWORD dst_unused:UNUSED_PAD src0_sel:WORD_1
	v_pk_fma_f32 v[2:3], v[12:13], v[22:23], v[2:3] op_sel_hi:[0,1,1]
	v_pk_fma_f32 v[0:1], v[12:13], v[16:17], v[0:1] op_sel_hi:[0,1,1]
.LBB9_264:
	v_add_f32_e32 v6, 0x40051340, v0
	v_max_f32_e32 v7, v10, v10
	v_max_f32_e32 v6, v7, v6
	v_cmp_gt_u32_e64 s[10:11], s22, v4
	v_cndmask_b32_e64 v6, v10, v6, s[10:11]
	v_or_b32_e32 v7, 1, v4
	v_add_f32_e32 v12, 0x40051340, v1
	v_max_f32_e32 v16, v6, v6
	v_max_f32_e32 v12, v16, v12
	v_cmp_gt_u32_e64 s[18:19], s22, v7
	v_cndmask_b32_e64 v6, v6, v12, s[18:19]
	v_or_b32_e32 v7, 2, v4
	;; [unrolled: 6-line block ×3, first 2 shown]
	v_add_f32_e32 v7, 0x40051340, v3
	v_max_f32_e32 v12, v6, v6
	v_max_f32_e32 v7, v12, v7
	v_cmp_gt_u32_e64 s[4:5], s22, v4
	v_cndmask_b32_e64 v6, v6, v7, s[4:5]
	v_mbcnt_hi_u32_b32 v7, -1, v68
	v_and_b32_e32 v4, 64, v7
	v_add_u32_e32 v12, 64, v4
	v_xor_b32_e32 v4, 32, v7
	v_cmp_lt_i32_e32 vcc, v4, v12
	v_cndmask_b32_e32 v4, v7, v4, vcc
	v_lshlrev_b32_e32 v23, 2, v4
	ds_bpermute_b32 v16, v23, v6
	v_max_f32_e32 v6, v6, v6
	s_mul_hi_i32 s9, s20, s62
	s_mul_i32 s8, s20, s62
	s_lshl_b64 s[8:9], s[8:9], 2
	s_waitcnt lgkmcnt(0)
	v_max_f32_e32 v16, v16, v16
	v_max_f32_e32 v6, v6, v16
	v_xor_b32_e32 v16, 16, v7
	v_cmp_lt_i32_e32 vcc, v16, v12
	v_cndmask_b32_e32 v7, v7, v16, vcc
	v_lshlrev_b32_e32 v26, 2, v7
	ds_bpermute_b32 v7, v26, v6
	s_add_u32 s23, s33, s8
	s_addc_u32 s24, s34, s9
	s_mov_b64 s[8:9], src_private_base
	v_add_u32_e32 v4, 0x1600, v9
	s_mov_b32 s8, 0
	buffer_store_dword v18, off, s[0:3], 0
	buffer_store_dword v18, off, s[0:3], 0 offset:4
	buffer_store_dword v18, off, s[0:3], 0 offset:8
	;; [unrolled: 1-line block ×3, first 2 shown]
	s_and_saveexec_b64 s[20:21], s[16:17]
	s_cbranch_execz .LBB9_266
; %bb.265:
	v_mul_lo_u32 v16, s62, v24
	v_ashrrev_i32_e32 v17, 31, v16
	v_lshlrev_b64 v[16:17], 2, v[16:17]
	v_lshlrev_b32_e32 v12, 2, v27
	v_mov_b32_e32 v18, s24
	v_add_co_u32_e32 v16, vcc, s23, v16
	v_and_b32_e32 v12, 16, v12
	v_addc_co_u32_e32 v17, vcc, v18, v17, vcc
	v_add_co_u32_e32 v16, vcc, v16, v12
	v_addc_co_u32_e32 v17, vcc, 0, v17, vcc
	v_add_co_u32_e32 v16, vcc, 0x80, v16
	v_addc_co_u32_e32 v17, vcc, 0, v17, vcc
	v_mov_b32_e32 v18, s9
	v_cmp_gt_i32_e32 vcc, s22, v24
	v_cndmask_b32_e32 v17, v18, v17, vcc
	v_mov_b32_e32 v18, 0
	v_cndmask_b32_e32 v16, v18, v16, vcc
	flat_load_dwordx4 v[16:19], v[16:17]
	v_mul_u32_u24_e32 v22, 0xb0, v24
	v_add3_u32 v12, 0, v22, v12
	s_waitcnt vmcnt(0) lgkmcnt(0)
	ds_write_b128 v12, v[16:19] offset:128
.LBB9_266:
	s_or_b64 exec, exec, s[20:21]
	v_lshlrev_b64 v[14:15], 2, v[14:15]
	v_mov_b32_e32 v12, s24
	v_add_co_u32_e32 v14, vcc, s23, v14
	v_addc_co_u32_e32 v12, vcc, v12, v15, vcc
	v_add_co_u32_e32 v14, vcc, v14, v8
	v_addc_co_u32_e32 v12, vcc, 0, v12, vcc
	v_mov_b32_e32 v24, s9
	v_cndmask_b32_e64 v15, v24, v12, s[14:15]
	v_mov_b32_e32 v12, 0
	v_cndmask_b32_e64 v14, v12, v14, s[14:15]
	flat_load_dwordx4 v[14:17], v[14:15]
	s_waitcnt lgkmcnt(0)
	v_max_f32_e32 v19, v7, v7
	v_max_f32_e32 v6, v6, v6
	v_mul_lo_u32 v18, s62, v55
	v_or_b32_e32 v30, 3, v56
	v_mul_u32_u24_e32 v31, 0x58, v5
	v_max_f32_e32 v22, v6, v19
	v_ashrrev_i32_e32 v19, 31, v18
	v_mul_u32_u24_e32 v6, 0xb0, v30
	v_or_b32_e32 v30, v31, v51
	v_sub_f32_e32 v31, v0, v22
	v_sub_f32_e32 v33, v1, v22
	v_lshlrev_b64 v[0:1], 2, v[18:19]
	v_mov_b32_e32 v32, s24
	v_add_co_u32_e32 v0, vcc, s23, v0
	v_addc_co_u32_e32 v1, vcc, v32, v1, vcc
	v_add_co_u32_e32 v0, vcc, v0, v8
	v_addc_co_u32_e32 v1, vcc, 0, v1, vcc
	v_mul_u32_u24_e32 v5, 0xb0, v5
	v_cndmask_b32_e64 v1, v24, v1, s[6:7]
	v_cndmask_b32_e64 v0, v12, v0, s[6:7]
	v_add3_u32 v5, v11, v5, v25
	v_sub_f32_e32 v34, v10, v22
	v_lshl_add_u32 v18, v30, 1, v11
	v_add3_u32 v19, v11, v6, v25
	s_mov_b32 s9, 0x3fb8aa3b
	v_cndmask_b32_e64 v28, v3, v3, s[18:19]
	v_cndmask_b32_e64 v29, v2, v2, s[18:19]
	v_mul_f32_e32 v6, 0x3fb8aa3b, v31
	v_sub_f32_e32 v29, v29, v22
	v_sub_f32_e32 v28, v28, v22
	v_mul_f32_e32 v25, 0x3fb8aa3b, v33
	v_fma_f32 v32, v31, s9, -v6
	v_rndne_f32_e32 v37, v6
	v_mul_f32_e32 v30, 0x3fb8aa3b, v29
	v_mul_f32_e32 v35, 0x3fb8aa3b, v28
	;; [unrolled: 1-line block ×3, first 2 shown]
	v_fma_f32 v38, v33, s9, -v25
	v_rndne_f32_e32 v39, v25
	v_fmac_f32_e32 v32, 0x32a5705f, v31
	v_sub_f32_e32 v6, v6, v37
	v_fma_f32 v40, v29, s9, -v30
	v_rndne_f32_e32 v41, v30
	v_fma_f32 v12, v34, s9, -v36
	v_fmac_f32_e32 v38, 0x32a5705f, v33
	v_add_f32_e32 v6, v6, v32
	v_fmac_f32_e32 v40, 0x32a5705f, v29
	v_sub_f32_e32 v24, v30, v41
	v_fmac_f32_e32 v12, 0x32a5705f, v34
	v_exp_f32_e32 v6, v6
	v_add_f32_e32 v24, v24, v40
	v_exp_f32_e32 v24, v24
	s_mov_b32 s14, 0xc2ce8ed0
	v_cmp_ngt_f32_e32 vcc, s14, v31
	s_mov_b32 s15, 0x42b17218
	v_mov_b32_e32 v27, 0x7f800000
	s_mov_b32 s16, 0xc1a00000
	v_mov_b32_e32 v7, s8
	v_mov_b32_e32 v2, s8
	;; [unrolled: 1-line block ×3, first 2 shown]
	s_mov_b32 s8, 0x5040100
	s_waitcnt vmcnt(0)
	ds_write_b128 v9, v[14:17]
	flat_load_dwordx4 v[8:11], v[0:1]
	v_fma_f32 v0, v28, s9, -v35
	v_rndne_f32_e32 v1, v35
	v_rndne_f32_e32 v14, v36
	v_sub_f32_e32 v16, v25, v39
	v_cvt_i32_f32_e32 v15, v37
	v_fmac_f32_e32 v0, 0x32a5705f, v28
	v_sub_f32_e32 v30, v35, v1
	v_sub_f32_e32 v35, v36, v14
	v_add_f32_e32 v16, v16, v38
	v_cvt_i32_f32_e32 v17, v39
	v_add_f32_e32 v0, v30, v0
	v_add_f32_e32 v12, v35, v12
	v_exp_f32_e32 v16, v16
	v_cvt_i32_f32_e32 v25, v41
	v_cvt_i32_f32_e32 v1, v1
	;; [unrolled: 1-line block ×3, first 2 shown]
	v_exp_f32_e32 v0, v0
	v_exp_f32_e32 v12, v12
	v_ldexp_f32 v6, v6, v15
	v_ldexp_f32 v15, v16, v17
	v_cndmask_b32_e32 v6, 0, v6, vcc
	v_cmp_ngt_f32_e32 vcc, s14, v33
	v_ldexp_f32 v16, v24, v25
	v_ldexp_f32 v0, v0, v1
	;; [unrolled: 1-line block ×3, first 2 shown]
	v_cndmask_b32_e32 v12, 0, v15, vcc
	v_cmp_ngt_f32_e32 vcc, s14, v29
	v_cndmask_b32_e32 v14, 0, v16, vcc
	v_cmp_ngt_f32_e32 vcc, s14, v28
	;; [unrolled: 2-line block ×3, first 2 shown]
	v_cndmask_b32_e32 v1, 0, v1, vcc
	v_cmp_nlt_f32_e32 vcc, s15, v31
	v_cndmask_b32_e32 v6, v27, v6, vcc
	v_cmp_nlt_f32_e32 vcc, s15, v33
	;; [unrolled: 2-line block ×5, first 2 shown]
	v_cndmask_b32_e32 v1, v27, v1, vcc
	v_cmp_le_f32_e32 vcc, s16, v34
	v_cndmask_b32_e64 v0, 0, v6, s[10:11]
	v_cndmask_b32_e32 v24, 0, v1, vcc
	v_cndmask_b32_e64 v6, v7, v12, s[18:19]
	v_cndmask_b32_e64 v2, v2, v14, s[12:13]
	;; [unrolled: 1-line block ×3, first 2 shown]
	v_add_f32_e32 v3, v12, v0
	v_cvt_f16_f32_e32 v12, v24
	v_cvt_f16_f32_e32 v7, v0
	;; [unrolled: 1-line block ×5, first 2 shown]
	v_cndmask_b32_e64 v0, v0, v3, s[18:19]
	v_add_f32_e32 v3, v0, v14
	v_cndmask_b32_e64 v16, v0, v3, s[12:13]
	v_pk_mul_f16 v3, v12, v66 op_sel_hi:[0,1]
	v_pk_mul_f16 v14, v12, v64 op_sel_hi:[0,1]
	v_pack_b32_f16 v28, v7, v6
	v_pack_b32_f16 v29, v2, v1
	v_cvt_f32_f16_e32 v0, v3
	v_cvt_f32_f16_sdwa v1, v3 dst_sel:DWORD dst_unused:UNUSED_PAD src0_sel:WORD_1
	v_cvt_f32_f16_e32 v2, v14
	v_cvt_f32_f16_sdwa v3, v14 dst_sel:DWORD dst_unused:UNUSED_PAD src0_sel:WORD_1
	v_pk_mul_f16 v17, v12, v63 op_sel_hi:[0,1]
	v_pk_mul_f16 v25, v12, v69 op_sel_hi:[0,1]
	s_waitcnt vmcnt(0) lgkmcnt(0)
	ds_write_b128 v4, v[8:11]
	s_waitcnt lgkmcnt(0)
	s_barrier
	ds_read_u16 v4, v19
	ds_read_u16 v7, v5 offset:208
	ds_read_u16 v11, v5 offset:240
	ds_read_u16 v6, v18
	ds_read_u16 v10, v18 offset:32
	ds_read_u16 v14, v18 offset:64
	;; [unrolled: 1-line block ×12, first 2 shown]
	s_waitcnt lgkmcnt(7)
	v_perm_b32 v9, v4, v8, s8
	s_waitcnt lgkmcnt(3)
	v_perm_b32 v8, v34, v6, s8
	v_cvt_f32_f16_e32 v4, v17
	v_cvt_f32_f16_sdwa v5, v17 dst_sel:DWORD dst_unused:UNUSED_PAD src0_sel:WORD_1
	ds_read_u16 v17, v19 offset:32
	v_mfma_f32_16x16x16f16 v[0:3], v[8:9], v[28:29], v[0:3]
	v_perm_b32 v8, v7, v10, s8
	v_cvt_f32_f16_e32 v6, v25
	s_waitcnt lgkmcnt(0)
	v_perm_b32 v9, v17, v31, s8
	ds_read_u16 v18, v19 offset:64
	ds_read_u16 v34, v19 offset:96
	;; [unrolled: 1-line block ×3, first 2 shown]
	v_cvt_f32_f16_sdwa v7, v25 dst_sel:DWORD dst_unused:UNUSED_PAD src0_sel:WORD_1
	v_add_f32_e32 v17, v16, v15
	v_pk_mul_f16 v10, v12, v58 op_sel_hi:[0,1]
	v_pk_mul_f16 v19, v12, v57 op_sel_hi:[0,1]
	s_waitcnt lgkmcnt(2)
	v_perm_b32 v15, v18, v32, s8
	v_perm_b32 v14, v11, v14, s8
	v_mfma_f32_16x16x16f16 v[4:7], v[8:9], v[28:29], v[4:7]
	v_cvt_f32_f16_e32 v8, v10
	v_cvt_f32_f16_sdwa v9, v10 dst_sel:DWORD dst_unused:UNUSED_PAD src0_sel:WORD_1
	v_cvt_f32_f16_e32 v10, v19
	v_cvt_f32_f16_sdwa v11, v19 dst_sel:DWORD dst_unused:UNUSED_PAD src0_sel:WORD_1
	v_cndmask_b32_e64 v32, v16, v17, s[4:5]
	v_pk_mul_f16 v16, v12, v62 op_sel_hi:[0,1]
	v_pk_mul_f16 v17, v12, v60 op_sel_hi:[0,1]
	s_waitcnt lgkmcnt(1)
	v_perm_b32 v19, v34, v33, s8
	v_perm_b32 v18, v30, v27, s8
	v_mfma_f32_16x16x16f16 v[8:11], v[14:15], v[28:29], v[8:11]
	v_cvt_f32_f16_e32 v14, v16
	v_cvt_f32_f16_sdwa v15, v16 dst_sel:DWORD dst_unused:UNUSED_PAD src0_sel:WORD_1
	v_cvt_f32_f16_e32 v16, v17
	v_cvt_f32_f16_sdwa v17, v17 dst_sel:DWORD dst_unused:UNUSED_PAD src0_sel:WORD_1
	v_fmac_f32_e32 v32, v13, v24
	v_pk_mul_f16 v24, v12, v54 op_sel_hi:[0,1]
	v_pk_mul_f16 v25, v12, v53 op_sel_hi:[0,1]
	s_waitcnt lgkmcnt(0)
	v_perm_b32 v31, v38, v36, s8
	v_perm_b32 v30, v37, v35, s8
	v_mfma_f32_16x16x16f16 v[12:15], v[18:19], v[28:29], v[14:17]
	v_cvt_f32_f16_e32 v18, v25
	v_cvt_f32_f16_sdwa v19, v25 dst_sel:DWORD dst_unused:UNUSED_PAD src0_sel:WORD_1
	s_movk_i32 s8, 0xb0
	v_cmp_gt_u32_e64 s[4:5], 16, v48
	s_nop 2
	v_cvt_f32_f16_e32 v16, v24
	v_cvt_f32_f16_sdwa v17, v24 dst_sel:DWORD dst_unused:UNUSED_PAD src0_sel:WORD_1
	ds_bpermute_b32 v24, v23, v32
	s_barrier
	v_mfma_f32_16x16x16f16 v[16:19], v[30:31], v[28:29], v[16:19]
	s_waitcnt lgkmcnt(0)
	v_add_f32_e32 v24, v32, v24
	ds_bpermute_b32 v25, v26, v24
	s_and_saveexec_b64 s[6:7], s[4:5]
	s_cbranch_execz .LBB9_268
; %bb.267:
	s_waitcnt lgkmcnt(0)
	v_add_f32_e32 v24, v24, v25
	v_or_b32_e32 v25, v61, v48
	v_mad_u32_u24 v25, v25, s8, 0
	ds_write2_b32 v25, v22, v24 offset0:40 offset1:41
.LBB9_268:
	s_or_b64 exec, exec, s[6:7]
	v_cmp_eq_u32_e32 vcc, 0, v67
	v_cmp_ne_u32_e64 s[6:7], 0, v67
	s_waitcnt lgkmcnt(0)
	s_barrier
	s_and_saveexec_b64 s[8:9], s[6:7]
	s_xor_b64 s[6:7], exec, s[8:9]
	s_cbranch_execz .LBB9_270
; %bb.269:
	s_barrier
	s_waitcnt lgkmcnt(0)
                                        ; implicit-def: $vgpr23
                                        ; implicit-def: $vgpr26
                                        ; implicit-def: $vgpr65
.LBB9_270:
	s_andn2_saveexec_b64 s[8:9], s[6:7]
	s_cbranch_execz .LBB9_274
; %bb.271:
	v_add_u32_e32 v22, v61, v48
	s_movk_i32 s6, 0xb0
	v_mad_u32_u24 v27, v22, s6, 0
	ds_read_b64 v[24:25], v27 offset:160
	s_mov_b32 s6, 0x3fb8aa3b
	s_mov_b32 s10, 0x42b17218
	;; [unrolled: 1-line block ×3, first 2 shown]
	s_waitcnt lgkmcnt(0)
	ds_bpermute_b32 v22, v23, v24
	v_max_f32_e32 v28, v24, v24
	s_barrier
	s_waitcnt lgkmcnt(0)
	v_max_f32_e32 v22, v22, v22
	v_max_f32_e32 v22, v28, v22
	ds_bpermute_b32 v28, v26, v22
	s_waitcnt lgkmcnt(0)
	v_max_f32_e32 v28, v28, v28
	v_max_f32_e32 v22, v22, v28
	v_sub_f32_e32 v24, v24, v22
	v_mul_f32_e32 v28, 0x3fb8aa3b, v24
	v_fma_f32 v29, v24, s6, -v28
	v_rndne_f32_e32 v30, v28
	v_fmac_f32_e32 v29, 0x32a5705f, v24
	v_sub_f32_e32 v28, v28, v30
	v_add_f32_e32 v28, v28, v29
	v_cvt_i32_f32_e32 v30, v30
	v_exp_f32_e32 v28, v28
	s_mov_b32 s6, 0xc2ce8ed0
	v_cmp_ngt_f32_e64 s[6:7], s6, v24
	v_mov_b32_e32 v29, 0x7f800000
	v_ldexp_f32 v28, v28, v30
	v_cndmask_b32_e64 v28, 0, v28, s[6:7]
	v_cmp_nlt_f32_e64 s[6:7], s10, v24
	v_cndmask_b32_e64 v24, v29, v28, s[6:7]
	v_mul_f32_e32 v28, v25, v24
	ds_bpermute_b32 v23, v23, v28
	s_waitcnt lgkmcnt(0)
	v_fmac_f32_e32 v23, v25, v24
	ds_bpermute_b32 v25, v26, v23
	s_waitcnt lgkmcnt(0)
	v_add_f32_e32 v25, v23, v25
	ds_write_b64 v27, v[24:25] offset:160
	s_and_saveexec_b64 s[6:7], s[4:5]
	s_cbranch_execz .LBB9_273
; %bb.272:
	s_add_i32 s4, s65, s64
	s_lshl_b32 s10, s4, 4
	s_lshl_b64 s[4:5], s[10:11], 3
	s_add_u32 s4, s54, s4
	v_or_b32_e32 v23, v65, v48
	s_addc_u32 s5, s55, s5
	v_lshlrev_b32_e32 v24, 3, v23
	v_mov_b32_e32 v23, v25
	global_store_dwordx2 v24, v[22:23], s[4:5]
.LBB9_273:
	s_or_b64 exec, exec, s[6:7]
.LBB9_274:
	s_or_b64 exec, exec, s[8:9]
	v_cvt_f16_f32_e32 v0, v0
	v_cvt_f16_f32_e32 v2, v2
	;; [unrolled: 1-line block ×5, first 2 shown]
	s_mov_b32 s7, 0
	v_pack_b32_f16 v2, v2, v3
	v_pack_b32_f16 v0, v0, v1
	v_cvt_f16_f32_e32 v1, v4
	v_cvt_f16_f32_e32 v3, v5
	;; [unrolled: 1-line block ×7, first 2 shown]
	v_pack_b32_f16 v4, v4, v5
	v_pack_b32_f16 v1, v1, v3
	;; [unrolled: 1-line block ×4, first 2 shown]
	v_cvt_f16_f32_e32 v7, v13
	v_cvt_f16_f32_e32 v8, v14
	;; [unrolled: 1-line block ×8, first 2 shown]
	v_pack_b32_f16 v8, v8, v9
	v_pack_b32_f16 v9, v10, v13
	v_or_b32_e32 v10, v61, v51
	v_mad_u32_u24 v10, v10, 44, v52
	v_lshl_add_u32 v10, v10, 2, 0
	v_pack_b32_f16 v6, v6, v7
	v_pack_b32_f16 v7, v11, v12
	ds_write2_b32 v10, v0, v2 offset1:1
	ds_write2_b32 v10, v1, v4 offset0:8 offset1:9
	ds_write2_b32 v10, v5, v3 offset0:16 offset1:17
	;; [unrolled: 1-line block ×4, first 2 shown]
	s_waitcnt lgkmcnt(0)
	s_barrier
	s_and_saveexec_b64 s[4:5], vcc
	s_cbranch_execz .LBB9_276
; %bb.275:
	s_mul_i32 s6, s64, 0x280
	s_lshl_b64 s[8:9], s[6:7], 3
	s_add_u32 s8, s54, s8
	s_addc_u32 s9, s55, s9
	s_lshl_b32 s6, s65, 5
	v_lshrrev_b32_e32 v0, 1, v59
	s_lshl_b64 s[6:7], s[6:7], 3
	v_add_u32_e32 v12, v50, v0
	s_add_u32 s6, s8, s6
	v_lshlrev_b32_e32 v0, 2, v12
	v_and_b32_e32 v1, 15, v12
	s_movk_i32 s8, 0xfc0
	v_and_or_b32 v0, v0, s8, v1
	s_movk_i32 s8, 0xb0
	v_mad_u32_u24 v2, v0, s8, 0
	v_lshlrev_b32_e32 v14, 2, v20
	v_add_u32_e32 v6, v2, v14
	ds_read2st64_b32 v[0:1], v6 offset1:11
	v_add_u32_e32 v4, 0xa0, v2
	ds_read2st64_b32 v[2:3], v4 offset1:11
	ds_read2st64_b32 v[4:5], v4 offset0:22 offset1:33
	ds_read2st64_b32 v[6:7], v6 offset0:22 offset1:33
	s_addc_u32 s7, s9, s7
	s_movk_i32 s9, 0x1fc0
	s_waitcnt lgkmcnt(3)
	v_cvt_f32_f16_e32 v8, v0
	v_cvt_f32_f16_sdwa v9, v0 dst_sel:DWORD dst_unused:UNUSED_PAD src0_sel:WORD_1
	v_cvt_f32_f16_e32 v0, v1
	v_cvt_f32_f16_sdwa v1, v1 dst_sel:DWORD dst_unused:UNUSED_PAD src0_sel:WORD_1
	s_waitcnt lgkmcnt(0)
	v_cvt_f32_f16_e32 v10, v6
	v_cvt_f32_f16_sdwa v11, v6 dst_sel:DWORD dst_unused:UNUSED_PAD src0_sel:WORD_1
	v_pk_fma_f32 v[8:9], v[2:3], v[8:9], 0 op_sel_hi:[0,1,0]
	v_mov_b32_e32 v2, v3
	v_pk_fma_f32 v[0:1], v[2:3], v[0:1], v[8:9] op_sel_hi:[0,1,1]
	v_pk_fma_f32 v[0:1], v[4:5], v[10:11], v[0:1] op_sel_hi:[0,1,1]
	v_mov_b32_e32 v4, v5
	v_add_u32_e32 v5, 2, v12
	v_cvt_f32_f16_e32 v2, v7
	v_cvt_f32_f16_sdwa v3, v7 dst_sel:DWORD dst_unused:UNUSED_PAD src0_sel:WORD_1
	v_lshlrev_b32_e32 v6, 2, v5
	v_and_b32_e32 v5, 15, v5
	v_and_or_b32 v5, v6, s9, v5
	v_mad_u32_u24 v5, v5, s8, 0
	v_mul_u32_u24_e32 v13, 40, v12
	v_add_u32_e32 v8, v5, v14
	ds_read2st64_b32 v[6:7], v8 offset1:11
	v_pk_fma_f32 v[0:1], v[4:5], v[2:3], v[0:1] op_sel_hi:[0,1,1]
	v_add_lshl_u32 v13, v13, v20, 3
	v_add_u32_e32 v9, 0xa0, v5
	global_store_dwordx2 v13, v[0:1], s[6:7]
	ds_read2st64_b32 v[2:3], v9 offset1:11
	ds_read2st64_b32 v[0:1], v9 offset0:22 offset1:33
	ds_read2st64_b32 v[8:9], v8 offset0:22 offset1:33
	s_waitcnt lgkmcnt(3)
	v_cvt_f32_f16_e32 v4, v6
	v_cvt_f32_f16_sdwa v5, v6 dst_sel:DWORD dst_unused:UNUSED_PAD src0_sel:WORD_1
	v_cvt_f32_f16_e32 v6, v7
	v_cvt_f32_f16_sdwa v7, v7 dst_sel:DWORD dst_unused:UNUSED_PAD src0_sel:WORD_1
	s_waitcnt lgkmcnt(0)
	v_cvt_f32_f16_e32 v10, v8
	v_cvt_f32_f16_sdwa v11, v8 dst_sel:DWORD dst_unused:UNUSED_PAD src0_sel:WORD_1
	v_cvt_f32_f16_e32 v8, v9
	v_cvt_f32_f16_sdwa v9, v9 dst_sel:DWORD dst_unused:UNUSED_PAD src0_sel:WORD_1
	v_pk_fma_f32 v[4:5], v[2:3], v[4:5], 0 op_sel_hi:[0,1,0]
	v_mov_b32_e32 v2, v3
	v_pk_fma_f32 v[2:3], v[2:3], v[6:7], v[4:5] op_sel_hi:[0,1,1]
	v_pk_fma_f32 v[2:3], v[0:1], v[10:11], v[2:3] op_sel_hi:[0,1,1]
	v_mov_b32_e32 v0, v1
	v_pk_fma_f32 v[0:1], v[0:1], v[8:9], v[2:3] op_sel_hi:[0,1,1]
	global_store_dwordx2 v13, v[0:1], s[6:7] offset:640
	v_add_u32_e32 v0, 4, v12
	v_lshlrev_b32_e32 v1, 2, v0
	v_and_b32_e32 v0, 15, v0
	v_and_or_b32 v0, v1, s9, v0
	v_mad_u32_u24 v0, v0, s8, 0
	v_add_u32_e32 v4, 0xa0, v0
	v_add_u32_e32 v6, v0, v14
	ds_read2st64_b32 v[0:1], v6 offset1:11
	ds_read2st64_b32 v[2:3], v4 offset1:11
	ds_read2st64_b32 v[4:5], v4 offset0:22 offset1:33
	ds_read2st64_b32 v[6:7], v6 offset0:22 offset1:33
	v_add_u32_e32 v15, 0x500, v13
	s_waitcnt lgkmcnt(3)
	v_cvt_f32_f16_e32 v8, v0
	v_cvt_f32_f16_sdwa v9, v0 dst_sel:DWORD dst_unused:UNUSED_PAD src0_sel:WORD_1
	v_cvt_f32_f16_e32 v0, v1
	v_cvt_f32_f16_sdwa v1, v1 dst_sel:DWORD dst_unused:UNUSED_PAD src0_sel:WORD_1
	s_waitcnt lgkmcnt(0)
	v_cvt_f32_f16_e32 v10, v6
	v_cvt_f32_f16_sdwa v11, v6 dst_sel:DWORD dst_unused:UNUSED_PAD src0_sel:WORD_1
	v_pk_fma_f32 v[8:9], v[2:3], v[8:9], 0 op_sel_hi:[0,1,0]
	v_mov_b32_e32 v2, v3
	v_pk_fma_f32 v[0:1], v[2:3], v[0:1], v[8:9] op_sel_hi:[0,1,1]
	v_pk_fma_f32 v[0:1], v[4:5], v[10:11], v[0:1] op_sel_hi:[0,1,1]
	v_mov_b32_e32 v4, v5
	v_add_u32_e32 v5, 6, v12
	v_cvt_f32_f16_e32 v2, v7
	v_cvt_f32_f16_sdwa v3, v7 dst_sel:DWORD dst_unused:UNUSED_PAD src0_sel:WORD_1
	v_lshlrev_b32_e32 v6, 2, v5
	v_and_b32_e32 v5, 15, v5
	v_and_or_b32 v5, v6, s9, v5
	v_mad_u32_u24 v5, v5, s8, 0
	v_add_u32_e32 v8, v5, v14
	ds_read2st64_b32 v[6:7], v8 offset1:11
	v_pk_fma_f32 v[0:1], v[4:5], v[2:3], v[0:1] op_sel_hi:[0,1,1]
	global_store_dwordx2 v15, v[0:1], s[6:7]
	v_add_u32_e32 v4, 0xa0, v5
	ds_read2st64_b32 v[0:1], v4 offset1:11
	ds_read2st64_b32 v[4:5], v4 offset0:22 offset1:33
	ds_read2st64_b32 v[8:9], v8 offset0:22 offset1:33
	s_waitcnt lgkmcnt(3)
	v_cvt_f32_f16_e32 v2, v6
	v_cvt_f32_f16_sdwa v3, v6 dst_sel:DWORD dst_unused:UNUSED_PAD src0_sel:WORD_1
	v_cvt_f32_f16_e32 v6, v7
	v_cvt_f32_f16_sdwa v7, v7 dst_sel:DWORD dst_unused:UNUSED_PAD src0_sel:WORD_1
	s_waitcnt lgkmcnt(0)
	v_cvt_f32_f16_e32 v10, v8
	v_cvt_f32_f16_sdwa v11, v8 dst_sel:DWORD dst_unused:UNUSED_PAD src0_sel:WORD_1
	v_cvt_f32_f16_e32 v8, v9
	v_cvt_f32_f16_sdwa v9, v9 dst_sel:DWORD dst_unused:UNUSED_PAD src0_sel:WORD_1
	v_pk_fma_f32 v[2:3], v[0:1], v[2:3], 0 op_sel_hi:[0,1,0]
	v_mov_b32_e32 v0, v1
	v_pk_fma_f32 v[0:1], v[0:1], v[6:7], v[2:3] op_sel_hi:[0,1,1]
	v_pk_fma_f32 v[0:1], v[4:5], v[10:11], v[0:1] op_sel_hi:[0,1,1]
	v_mov_b32_e32 v2, v5
	v_add_u32_e32 v15, 0x780, v13
	v_pk_fma_f32 v[0:1], v[2:3], v[8:9], v[0:1] op_sel_hi:[0,1,1]
	global_store_dwordx2 v15, v[0:1], s[6:7]
	v_add_u32_e32 v0, 8, v12
	v_lshlrev_b32_e32 v1, 2, v0
	v_and_b32_e32 v0, 15, v0
	v_and_or_b32 v0, v1, s9, v0
	v_mad_u32_u24 v0, v0, s8, 0
	v_add_u32_e32 v4, 0xa0, v0
	v_add_u32_e32 v6, v0, v14
	ds_read2st64_b32 v[0:1], v6 offset1:11
	ds_read2st64_b32 v[2:3], v4 offset1:11
	ds_read2st64_b32 v[4:5], v4 offset0:22 offset1:33
	ds_read2st64_b32 v[6:7], v6 offset0:22 offset1:33
	v_add_u32_e32 v15, 0xa00, v13
	s_waitcnt lgkmcnt(3)
	v_cvt_f32_f16_e32 v8, v0
	v_cvt_f32_f16_sdwa v9, v0 dst_sel:DWORD dst_unused:UNUSED_PAD src0_sel:WORD_1
	v_cvt_f32_f16_e32 v0, v1
	v_cvt_f32_f16_sdwa v1, v1 dst_sel:DWORD dst_unused:UNUSED_PAD src0_sel:WORD_1
	s_waitcnt lgkmcnt(0)
	v_cvt_f32_f16_e32 v10, v6
	v_cvt_f32_f16_sdwa v11, v6 dst_sel:DWORD dst_unused:UNUSED_PAD src0_sel:WORD_1
	v_pk_fma_f32 v[8:9], v[2:3], v[8:9], 0 op_sel_hi:[0,1,0]
	v_mov_b32_e32 v2, v3
	v_pk_fma_f32 v[0:1], v[2:3], v[0:1], v[8:9] op_sel_hi:[0,1,1]
	v_pk_fma_f32 v[0:1], v[4:5], v[10:11], v[0:1] op_sel_hi:[0,1,1]
	v_mov_b32_e32 v4, v5
	v_add_u32_e32 v5, 10, v12
	v_cvt_f32_f16_e32 v2, v7
	v_cvt_f32_f16_sdwa v3, v7 dst_sel:DWORD dst_unused:UNUSED_PAD src0_sel:WORD_1
	v_lshlrev_b32_e32 v6, 2, v5
	v_and_b32_e32 v5, 15, v5
	v_and_or_b32 v5, v6, s9, v5
	v_mad_u32_u24 v5, v5, s8, 0
	v_add_u32_e32 v8, v5, v14
	ds_read2st64_b32 v[6:7], v8 offset1:11
	v_pk_fma_f32 v[0:1], v[4:5], v[2:3], v[0:1] op_sel_hi:[0,1,1]
	global_store_dwordx2 v15, v[0:1], s[6:7]
	v_add_u32_e32 v4, 0xa0, v5
	ds_read2st64_b32 v[0:1], v4 offset1:11
	ds_read2st64_b32 v[4:5], v4 offset0:22 offset1:33
	ds_read2st64_b32 v[8:9], v8 offset0:22 offset1:33
	s_waitcnt lgkmcnt(3)
	v_cvt_f32_f16_e32 v2, v6
	v_cvt_f32_f16_sdwa v3, v6 dst_sel:DWORD dst_unused:UNUSED_PAD src0_sel:WORD_1
	v_cvt_f32_f16_e32 v6, v7
	v_cvt_f32_f16_sdwa v7, v7 dst_sel:DWORD dst_unused:UNUSED_PAD src0_sel:WORD_1
	s_waitcnt lgkmcnt(0)
	v_cvt_f32_f16_e32 v10, v8
	v_cvt_f32_f16_sdwa v11, v8 dst_sel:DWORD dst_unused:UNUSED_PAD src0_sel:WORD_1
	v_cvt_f32_f16_e32 v8, v9
	v_cvt_f32_f16_sdwa v9, v9 dst_sel:DWORD dst_unused:UNUSED_PAD src0_sel:WORD_1
	v_pk_fma_f32 v[2:3], v[0:1], v[2:3], 0 op_sel_hi:[0,1,0]
	v_mov_b32_e32 v0, v1
	v_pk_fma_f32 v[0:1], v[0:1], v[6:7], v[2:3] op_sel_hi:[0,1,1]
	v_pk_fma_f32 v[0:1], v[4:5], v[10:11], v[0:1] op_sel_hi:[0,1,1]
	v_mov_b32_e32 v2, v5
	v_add_u32_e32 v15, 0xc80, v13
	v_pk_fma_f32 v[0:1], v[2:3], v[8:9], v[0:1] op_sel_hi:[0,1,1]
	global_store_dwordx2 v15, v[0:1], s[6:7]
	;; [unrolled: 58-line block ×3, first 2 shown]
	v_add_u32_e32 v12, v49, v21
	v_lshlrev_b32_e32 v0, 2, v12
	v_and_b32_e32 v1, 15, v12
	s_movk_i32 s9, 0x3fc0
	v_and_b32_e32 v8, 7, v48
	v_and_or_b32 v0, v0, s9, v1
	v_mad_u32_u24 v2, v0, s8, 0
	v_lshlrev_b32_e32 v13, 2, v8
	v_add_u32_e32 v4, 0xa0, v2
	v_add_u32_e32 v2, v2, v13
	;; [unrolled: 1-line block ×3, first 2 shown]
	ds_read2st64_b32 v[0:1], v4 offset1:11
	ds_read2st64_b32 v[2:3], v6 offset1:11
	ds_read2st64_b32 v[4:5], v4 offset0:22 offset1:33
	ds_read2st64_b32 v[6:7], v6 offset0:22 offset1:33
	v_mul_u32_u24_e32 v9, 40, v12
	v_or_b32_e32 v8, v9, v8
	v_lshlrev_b32_e32 v14, 3, v8
	s_waitcnt lgkmcnt(2)
	v_cvt_f32_f16_e32 v8, v2
	v_cvt_f32_f16_sdwa v9, v2 dst_sel:DWORD dst_unused:UNUSED_PAD src0_sel:WORD_1
	v_cvt_f32_f16_e32 v2, v3
	v_cvt_f32_f16_sdwa v3, v3 dst_sel:DWORD dst_unused:UNUSED_PAD src0_sel:WORD_1
	s_waitcnt lgkmcnt(0)
	v_cvt_f32_f16_e32 v10, v6
	v_cvt_f32_f16_sdwa v11, v6 dst_sel:DWORD dst_unused:UNUSED_PAD src0_sel:WORD_1
	v_pk_fma_f32 v[8:9], v[0:1], v[8:9], 0 op_sel_hi:[0,1,0]
	v_mov_b32_e32 v0, v1
	v_pk_fma_f32 v[0:1], v[0:1], v[2:3], v[8:9] op_sel_hi:[0,1,1]
	v_pk_fma_f32 v[0:1], v[4:5], v[10:11], v[0:1] op_sel_hi:[0,1,1]
	v_mov_b32_e32 v4, v5
	v_add_u32_e32 v5, 8, v12
	v_lshlrev_b32_e32 v6, 2, v5
	v_and_b32_e32 v5, 15, v5
	s_movk_i32 s9, 0x7fc0
	v_cvt_f32_f16_e32 v2, v7
	v_cvt_f32_f16_sdwa v3, v7 dst_sel:DWORD dst_unused:UNUSED_PAD src0_sel:WORD_1
	v_and_or_b32 v5, v6, s9, v5
	v_mad_u32_u24 v5, v5, s8, 0
	v_add_u32_e32 v6, v5, v13
	v_add_u32_e32 v8, 0x80, v6
	ds_read2st64_b32 v[6:7], v8 offset1:11
	v_pk_fma_f32 v[0:1], v[4:5], v[2:3], v[0:1] op_sel_hi:[0,1,1]
	global_store_dwordx2 v14, v[0:1], s[6:7] offset:256
	v_add_u32_e32 v4, 0xa0, v5
	ds_read2st64_b32 v[0:1], v4 offset1:11
	ds_read2st64_b32 v[4:5], v4 offset0:22 offset1:33
	ds_read2st64_b32 v[8:9], v8 offset0:22 offset1:33
	s_waitcnt lgkmcnt(3)
	v_cvt_f32_f16_e32 v2, v6
	v_cvt_f32_f16_sdwa v3, v6 dst_sel:DWORD dst_unused:UNUSED_PAD src0_sel:WORD_1
	v_cvt_f32_f16_e32 v6, v7
	v_cvt_f32_f16_sdwa v7, v7 dst_sel:DWORD dst_unused:UNUSED_PAD src0_sel:WORD_1
	s_waitcnt lgkmcnt(0)
	v_cvt_f32_f16_e32 v10, v8
	v_cvt_f32_f16_sdwa v11, v8 dst_sel:DWORD dst_unused:UNUSED_PAD src0_sel:WORD_1
	v_cvt_f32_f16_e32 v8, v9
	v_cvt_f32_f16_sdwa v9, v9 dst_sel:DWORD dst_unused:UNUSED_PAD src0_sel:WORD_1
	v_pk_fma_f32 v[2:3], v[0:1], v[2:3], 0 op_sel_hi:[0,1,0]
	v_mov_b32_e32 v0, v1
	v_pk_fma_f32 v[0:1], v[0:1], v[6:7], v[2:3] op_sel_hi:[0,1,1]
	v_pk_fma_f32 v[0:1], v[4:5], v[10:11], v[0:1] op_sel_hi:[0,1,1]
	v_mov_b32_e32 v2, v5
	v_add_u32_e32 v12, 0xa00, v14
	v_pk_fma_f32 v[0:1], v[2:3], v[8:9], v[0:1] op_sel_hi:[0,1,1]
	global_store_dwordx2 v12, v[0:1], s[6:7] offset:256
.LBB9_276:
	s_or_b64 exec, exec, s[4:5]
	s_barrier
	s_endpgm
	.section	.rodata,"a",@progbits
	.p2align	6, 0x0
	.amdhsa_kernel _ZL18flash_attn_ext_f16ILi80ELi80ELi16ELi1ELb0ELb0EEvPKcS1_S1_S1_S1_PKiPfP15HIP_vector_typeIfLj2EEffffjfiS5_IjLj3EEiiiiiiiiiiiliiliiiiil
		.amdhsa_group_segment_fixed_size 0
		.amdhsa_private_segment_fixed_size 32
		.amdhsa_kernarg_size 464
		.amdhsa_user_sgpr_count 8
		.amdhsa_user_sgpr_private_segment_buffer 1
		.amdhsa_user_sgpr_dispatch_ptr 0
		.amdhsa_user_sgpr_queue_ptr 0
		.amdhsa_user_sgpr_kernarg_segment_ptr 1
		.amdhsa_user_sgpr_dispatch_id 0
		.amdhsa_user_sgpr_flat_scratch_init 1
		.amdhsa_user_sgpr_kernarg_preload_length 0
		.amdhsa_user_sgpr_kernarg_preload_offset 0
		.amdhsa_user_sgpr_private_segment_size 0
		.amdhsa_uses_dynamic_stack 0
		.amdhsa_system_sgpr_private_segment_wavefront_offset 1
		.amdhsa_system_sgpr_workgroup_id_x 1
		.amdhsa_system_sgpr_workgroup_id_y 0
		.amdhsa_system_sgpr_workgroup_id_z 0
		.amdhsa_system_sgpr_workgroup_info 0
		.amdhsa_system_vgpr_workitem_id 1
		.amdhsa_next_free_vgpr 170
		.amdhsa_next_free_sgpr 100
		.amdhsa_accum_offset 172
		.amdhsa_reserve_vcc 1
		.amdhsa_reserve_flat_scratch 1
		.amdhsa_float_round_mode_32 0
		.amdhsa_float_round_mode_16_64 0
		.amdhsa_float_denorm_mode_32 3
		.amdhsa_float_denorm_mode_16_64 3
		.amdhsa_dx10_clamp 1
		.amdhsa_ieee_mode 1
		.amdhsa_fp16_overflow 0
		.amdhsa_tg_split 0
		.amdhsa_exception_fp_ieee_invalid_op 0
		.amdhsa_exception_fp_denorm_src 0
		.amdhsa_exception_fp_ieee_div_zero 0
		.amdhsa_exception_fp_ieee_overflow 0
		.amdhsa_exception_fp_ieee_underflow 0
		.amdhsa_exception_fp_ieee_inexact 0
		.amdhsa_exception_int_div_zero 0
	.end_amdhsa_kernel
	.section	.text._ZL18flash_attn_ext_f16ILi80ELi80ELi16ELi1ELb0ELb0EEvPKcS1_S1_S1_S1_PKiPfP15HIP_vector_typeIfLj2EEffffjfiS5_IjLj3EEiiiiiiiiiiiliiliiiiil,"axG",@progbits,_ZL18flash_attn_ext_f16ILi80ELi80ELi16ELi1ELb0ELb0EEvPKcS1_S1_S1_S1_PKiPfP15HIP_vector_typeIfLj2EEffffjfiS5_IjLj3EEiiiiiiiiiiiliiliiiiil,comdat
.Lfunc_end9:
	.size	_ZL18flash_attn_ext_f16ILi80ELi80ELi16ELi1ELb0ELb0EEvPKcS1_S1_S1_S1_PKiPfP15HIP_vector_typeIfLj2EEffffjfiS5_IjLj3EEiiiiiiiiiiiliiliiiiil, .Lfunc_end9-_ZL18flash_attn_ext_f16ILi80ELi80ELi16ELi1ELb0ELb0EEvPKcS1_S1_S1_S1_PKiPfP15HIP_vector_typeIfLj2EEffffjfiS5_IjLj3EEiiiiiiiiiiiliiliiiiil
                                        ; -- End function
	.section	.AMDGPU.csdata,"",@progbits
; Kernel info:
; codeLenInByte = 37724
; NumSgprs: 106
; NumVgprs: 170
; NumAgprs: 0
; TotalNumVgprs: 170
; ScratchSize: 32
; MemoryBound: 0
; FloatMode: 240
; IeeeMode: 1
; LDSByteSize: 0 bytes/workgroup (compile time only)
; SGPRBlocks: 13
; VGPRBlocks: 21
; NumSGPRsForWavesPerEU: 106
; NumVGPRsForWavesPerEU: 170
; AccumOffset: 172
; Occupancy: 2
; WaveLimiterHint : 1
; COMPUTE_PGM_RSRC2:SCRATCH_EN: 1
; COMPUTE_PGM_RSRC2:USER_SGPR: 8
; COMPUTE_PGM_RSRC2:TRAP_HANDLER: 0
; COMPUTE_PGM_RSRC2:TGID_X_EN: 1
; COMPUTE_PGM_RSRC2:TGID_Y_EN: 0
; COMPUTE_PGM_RSRC2:TGID_Z_EN: 0
; COMPUTE_PGM_RSRC2:TIDIG_COMP_CNT: 1
; COMPUTE_PGM_RSRC3_GFX90A:ACCUM_OFFSET: 42
; COMPUTE_PGM_RSRC3_GFX90A:TG_SPLIT: 0
	.section	.text._ZL18flash_attn_ext_f16ILi80ELi80ELi16ELi1ELb1ELb0EEvPKcS1_S1_S1_S1_PKiPfP15HIP_vector_typeIfLj2EEffffjfiS5_IjLj3EEiiiiiiiiiiiliiliiiiil,"axG",@progbits,_ZL18flash_attn_ext_f16ILi80ELi80ELi16ELi1ELb1ELb0EEvPKcS1_S1_S1_S1_PKiPfP15HIP_vector_typeIfLj2EEffffjfiS5_IjLj3EEiiiiiiiiiiiliiliiiiil,comdat
	.globl	_ZL18flash_attn_ext_f16ILi80ELi80ELi16ELi1ELb1ELb0EEvPKcS1_S1_S1_S1_PKiPfP15HIP_vector_typeIfLj2EEffffjfiS5_IjLj3EEiiiiiiiiiiiliiliiiiil ; -- Begin function _ZL18flash_attn_ext_f16ILi80ELi80ELi16ELi1ELb1ELb0EEvPKcS1_S1_S1_S1_PKiPfP15HIP_vector_typeIfLj2EEffffjfiS5_IjLj3EEiiiiiiiiiiiliiliiiiil
	.p2align	8
	.type	_ZL18flash_attn_ext_f16ILi80ELi80ELi16ELi1ELb1ELb0EEvPKcS1_S1_S1_S1_PKiPfP15HIP_vector_typeIfLj2EEffffjfiS5_IjLj3EEiiiiiiiiiiiliiliiiiil,@function
_ZL18flash_attn_ext_f16ILi80ELi80ELi16ELi1ELb1ELb0EEvPKcS1_S1_S1_S1_PKiPfP15HIP_vector_typeIfLj2EEffffjfiS5_IjLj3EEiiiiiiiiiiiliiliiiiil: ; @_ZL18flash_attn_ext_f16ILi80ELi80ELi16ELi1ELb1ELb0EEvPKcS1_S1_S1_S1_PKiPfP15HIP_vector_typeIfLj2EEffffjfiS5_IjLj3EEiiiiiiiiiiiliiliiiiil
; %bb.0:
	s_add_u32 flat_scratch_lo, s6, s9
	s_addc_u32 flat_scratch_hi, s7, 0
	s_add_u32 s0, s0, s9
	s_addc_u32 s1, s1, 0
	s_add_u32 s8, s4, 0xd0
	s_addc_u32 s9, s5, 0
	s_mov_b32 s32, 0
	s_getpc_b64 s[4:5]
	s_add_u32 s4, s4, _ZL14no_device_codePKciS0_iS0_@rel32@lo+4
	s_addc_u32 s5, s5, _ZL14no_device_codePKciS0_iS0_@rel32@hi+12
	s_swappc_b64 s[30:31], s[4:5]
	.section	.rodata,"a",@progbits
	.p2align	6, 0x0
	.amdhsa_kernel _ZL18flash_attn_ext_f16ILi80ELi80ELi16ELi1ELb1ELb0EEvPKcS1_S1_S1_S1_PKiPfP15HIP_vector_typeIfLj2EEffffjfiS5_IjLj3EEiiiiiiiiiiiliiliiiiil
		.amdhsa_group_segment_fixed_size 0
		.amdhsa_private_segment_fixed_size 16
		.amdhsa_kernarg_size 464
		.amdhsa_user_sgpr_count 8
		.amdhsa_user_sgpr_private_segment_buffer 1
		.amdhsa_user_sgpr_dispatch_ptr 0
		.amdhsa_user_sgpr_queue_ptr 0
		.amdhsa_user_sgpr_kernarg_segment_ptr 1
		.amdhsa_user_sgpr_dispatch_id 0
		.amdhsa_user_sgpr_flat_scratch_init 1
		.amdhsa_user_sgpr_kernarg_preload_length 0
		.amdhsa_user_sgpr_kernarg_preload_offset 0
		.amdhsa_user_sgpr_private_segment_size 0
		.amdhsa_uses_dynamic_stack 0
		.amdhsa_system_sgpr_private_segment_wavefront_offset 1
		.amdhsa_system_sgpr_workgroup_id_x 1
		.amdhsa_system_sgpr_workgroup_id_y 0
		.amdhsa_system_sgpr_workgroup_id_z 0
		.amdhsa_system_sgpr_workgroup_info 0
		.amdhsa_system_vgpr_workitem_id 0
		.amdhsa_next_free_vgpr 39
		.amdhsa_next_free_sgpr 34
		.amdhsa_accum_offset 40
		.amdhsa_reserve_vcc 1
		.amdhsa_reserve_flat_scratch 1
		.amdhsa_float_round_mode_32 0
		.amdhsa_float_round_mode_16_64 0
		.amdhsa_float_denorm_mode_32 3
		.amdhsa_float_denorm_mode_16_64 3
		.amdhsa_dx10_clamp 1
		.amdhsa_ieee_mode 1
		.amdhsa_fp16_overflow 0
		.amdhsa_tg_split 0
		.amdhsa_exception_fp_ieee_invalid_op 0
		.amdhsa_exception_fp_denorm_src 0
		.amdhsa_exception_fp_ieee_div_zero 0
		.amdhsa_exception_fp_ieee_overflow 0
		.amdhsa_exception_fp_ieee_underflow 0
		.amdhsa_exception_fp_ieee_inexact 0
		.amdhsa_exception_int_div_zero 0
	.end_amdhsa_kernel
	.section	.text._ZL18flash_attn_ext_f16ILi80ELi80ELi16ELi1ELb1ELb0EEvPKcS1_S1_S1_S1_PKiPfP15HIP_vector_typeIfLj2EEffffjfiS5_IjLj3EEiiiiiiiiiiiliiliiiiil,"axG",@progbits,_ZL18flash_attn_ext_f16ILi80ELi80ELi16ELi1ELb1ELb0EEvPKcS1_S1_S1_S1_PKiPfP15HIP_vector_typeIfLj2EEffffjfiS5_IjLj3EEiiiiiiiiiiiliiliiiiil,comdat
.Lfunc_end10:
	.size	_ZL18flash_attn_ext_f16ILi80ELi80ELi16ELi1ELb1ELb0EEvPKcS1_S1_S1_S1_PKiPfP15HIP_vector_typeIfLj2EEffffjfiS5_IjLj3EEiiiiiiiiiiiliiliiiiil, .Lfunc_end10-_ZL18flash_attn_ext_f16ILi80ELi80ELi16ELi1ELb1ELb0EEvPKcS1_S1_S1_S1_PKiPfP15HIP_vector_typeIfLj2EEffffjfiS5_IjLj3EEiiiiiiiiiiiliiliiiiil
                                        ; -- End function
	.section	.AMDGPU.csdata,"",@progbits
; Kernel info:
; codeLenInByte = 56
; NumSgprs: 40
; NumVgprs: 39
; NumAgprs: 0
; TotalNumVgprs: 39
; ScratchSize: 16
; MemoryBound: 0
; FloatMode: 240
; IeeeMode: 1
; LDSByteSize: 0 bytes/workgroup (compile time only)
; SGPRBlocks: 4
; VGPRBlocks: 4
; NumSGPRsForWavesPerEU: 40
; NumVGPRsForWavesPerEU: 39
; AccumOffset: 40
; Occupancy: 8
; WaveLimiterHint : 1
; COMPUTE_PGM_RSRC2:SCRATCH_EN: 1
; COMPUTE_PGM_RSRC2:USER_SGPR: 8
; COMPUTE_PGM_RSRC2:TRAP_HANDLER: 0
; COMPUTE_PGM_RSRC2:TGID_X_EN: 1
; COMPUTE_PGM_RSRC2:TGID_Y_EN: 0
; COMPUTE_PGM_RSRC2:TGID_Z_EN: 0
; COMPUTE_PGM_RSRC2:TIDIG_COMP_CNT: 0
; COMPUTE_PGM_RSRC3_GFX90A:ACCUM_OFFSET: 9
; COMPUTE_PGM_RSRC3_GFX90A:TG_SPLIT: 0
	.section	.text._ZL33flash_attn_stream_k_fixup_uniformILi80ELi16ELi1EEvPfPK15HIP_vector_typeIfLj2EEiiiiiiS1_IjLj3EES5_S5_,"axG",@progbits,_ZL33flash_attn_stream_k_fixup_uniformILi80ELi16ELi1EEvPfPK15HIP_vector_typeIfLj2EEiiiiiiS1_IjLj3EES5_S5_,comdat
	.globl	_ZL33flash_attn_stream_k_fixup_uniformILi80ELi16ELi1EEvPfPK15HIP_vector_typeIfLj2EEiiiiiiS1_IjLj3EES5_S5_ ; -- Begin function _ZL33flash_attn_stream_k_fixup_uniformILi80ELi16ELi1EEvPfPK15HIP_vector_typeIfLj2EEiiiiiiS1_IjLj3EES5_S5_
	.p2align	8
	.type	_ZL33flash_attn_stream_k_fixup_uniformILi80ELi16ELi1EEvPfPK15HIP_vector_typeIfLj2EEiiiiiiS1_IjLj3EES5_S5_,@function
_ZL33flash_attn_stream_k_fixup_uniformILi80ELi16ELi1EEvPfPK15HIP_vector_typeIfLj2EEiiiiiiS1_IjLj3EES5_S5_: ; @_ZL33flash_attn_stream_k_fixup_uniformILi80ELi16ELi1EEvPfPK15HIP_vector_typeIfLj2EEiiiiiiS1_IjLj3EES5_S5_
; %bb.0:
	s_load_dwordx8 s[12:19], s[4:5], 0x1c
	s_load_dwordx2 s[10:11], s[4:5], 0x10
	s_load_dwordx4 s[0:3], s[4:5], 0x3c
	s_waitcnt lgkmcnt(0)
	s_mul_hi_u32 s9, s15, s6
	s_add_i32 s9, s6, s9
	s_lshr_b32 s9, s9, s16
	s_mul_i32 s15, s9, s17
	s_sub_i32 s16, s6, s15
	s_mul_hi_u32 s15, s16, s18
	s_add_i32 s15, s16, s15
	s_lshr_b32 s15, s15, s19
	s_mul_i32 s0, s15, s0
	s_sub_i32 s0, s16, s0
	;; [unrolled: 5-line block ×3, first 2 shown]
	s_lshl_b32 s0, s16, 4
	s_add_i32 s0, s0, s7
	s_cmp_lt_i32 s0, s10
	s_cselect_b64 s[0:1], -1, 0
	s_add_i32 s17, s17, s8
	s_cmp_lt_i32 s17, s13
	s_cselect_b64 s[2:3], -1, 0
	s_and_b64 s[0:1], s[0:1], s[2:3]
	s_andn2_b64 vcc, exec, s[0:1]
	s_cbranch_vccnz .LBB11_6
; %bb.1:
	s_load_dwordx4 s[0:3], s[4:5], 0x0
	s_mul_i32 s4, s9, s10
	s_mul_i32 s15, s15, s13
	s_add_i32 s4, s4, s7
	s_mul_i32 s4, s4, s11
	s_add_i32 s9, s17, s15
	;; [unrolled: 2-line block ×3, first 2 shown]
	s_mulk_i32 s5, 0x500
	s_mulk_i32 s4, 0x50
	s_add_i32 s4, s4, s5
	v_add_u32_e32 v2, s4, v0
	v_ashrrev_i32_e32 v3, 31, v2
	v_lshlrev_b64 v[2:3], 2, v[2:3]
	s_waitcnt lgkmcnt(0)
	v_mov_b32_e32 v1, s1
	v_add_co_u32_e32 v2, vcc, s0, v2
	v_addc_co_u32_e32 v3, vcc, v1, v3, vcc
	global_load_dword v8, v[2:3], off
	s_add_i32 s4, s7, s8
	s_mul_i32 s7, s6, s14
	s_add_i32 s5, s7, s14
	s_lshl_b32 s0, s5, 4
	s_add_i32 s0, s4, s0
	s_add_i32 s0, s0, -16
	s_ashr_i32 s1, s0, 31
	s_lshl_b64 s[0:1], s[0:1], 3
	s_add_u32 s0, s2, s0
	s_addc_u32 s1, s3, s1
	s_load_dword s10, s[0:1], 0x4
	s_add_i32 s8, s5, -2
	s_cmp_lt_i32 s8, s7
	s_cbranch_scc1 .LBB11_4
; %bb.2:
	s_lshl_b32 s8, s12, 6
	s_ashr_i32 s9, s8, 31
	s_lshl_b64 s[8:9], s[8:9], 2
	s_add_u32 s8, s2, s8
	s_addc_u32 s11, s3, s9
	s_load_dword s0, s[0:1], 0x0
	s_add_i32 s6, s6, 1
	s_add_i32 s9, s5, -1
	s_mul_i32 s5, s14, s6
	s_mul_i32 s1, s4, 0x50
	s_lshl_b32 s6, s5, 4
	s_mulk_i32 s5, 0x500
	s_add_i32 s4, s4, s6
	s_lshl_b32 s6, s12, 4
	s_add_i32 s1, s1, s5
	s_add_i32 s4, s4, s6
	v_add_u32_e32 v0, s1, v0
	s_sub_i32 s4, s4, 32
	v_add_u32_e32 v0, 0xfffff600, v0
	s_waitcnt lgkmcnt(0)
	v_mov_b32_e32 v7, s10
	v_mov_b32_e32 v6, s0
	;; [unrolled: 1-line block ×3, first 2 shown]
	s_mov_b32 s6, 0x3fb8aa3b
	s_mov_b32 s10, 0xc2ce8ed0
	;; [unrolled: 1-line block ×3, first 2 shown]
	v_mov_b32_e32 v5, 0x7f800000
	s_mov_b32 s12, 0xc1a00000
.LBB11_3:                               ; =>This Inner Loop Header: Depth=1
	v_ashrrev_i32_e32 v1, 31, v0
	v_lshlrev_b64 v[10:11], 2, v[0:1]
	v_add_co_u32_e32 v10, vcc, s8, v10
	v_addc_co_u32_e32 v11, vcc, v4, v11, vcc
	global_load_dword v1, v[10:11], off
	s_ashr_i32 s5, s4, 31
	s_lshl_b64 s[0:1], s[4:5], 3
	s_add_u32 s0, s2, s0
	s_addc_u32 s1, s3, s1
	s_load_dwordx2 s[14:15], s[0:1], 0x0
	s_waitcnt vmcnt(1)
	v_mov_b32_e32 v9, v8
	v_max_f32_e32 v8, v6, v6
	v_mov_b32_e32 v10, v7
	s_add_i32 s9, s9, -1
	s_waitcnt lgkmcnt(0)
	v_max_f32_e64 v7, s14, s14
	v_max_f32_e32 v7, v8, v7
	v_sub_f32_e32 v11, s14, v7
	v_sub_f32_e32 v8, v6, v7
	v_mul_f32_e32 v12, 0x3fb8aa3b, v11
	v_mov_b32_e32 v6, v7
	v_mul_f32_e32 v7, 0x3fb8aa3b, v8
	v_fma_f32 v15, v11, s6, -v12
	v_rndne_f32_e32 v16, v12
	v_fma_f32 v13, v8, s6, -v7
	v_rndne_f32_e32 v14, v7
	v_fmac_f32_e32 v15, 0x32a5705f, v11
	v_sub_f32_e32 v12, v12, v16
	v_fmac_f32_e32 v13, 0x32a5705f, v8
	v_sub_f32_e32 v7, v7, v14
	v_add_f32_e32 v12, v12, v15
	v_cvt_i32_f32_e32 v16, v16
	v_add_f32_e32 v7, v7, v13
	v_exp_f32_e32 v12, v12
	v_cvt_i32_f32_e32 v14, v14
	v_exp_f32_e32 v7, v7
	v_cmp_ngt_f32_e32 vcc, s10, v11
	v_ldexp_f32 v12, v12, v16
	v_cmp_ngt_f32_e64 s[0:1], s10, v8
	v_ldexp_f32 v7, v7, v14
	v_cndmask_b32_e32 v12, 0, v12, vcc
	v_cmp_nlt_f32_e32 vcc, s11, v11
	v_cndmask_b32_e64 v7, 0, v7, s[0:1]
	v_cmp_nlt_f32_e64 s[0:1], s11, v8
	v_cndmask_b32_e32 v12, v5, v12, vcc
	v_cmp_le_f32_e32 vcc, s12, v11
	v_cndmask_b32_e64 v7, v5, v7, s[0:1]
	v_cmp_le_f32_e64 s[0:1], s12, v8
	v_cndmask_b32_e32 v8, 0, v12, vcc
	s_add_i32 s4, s4, -16
	v_cndmask_b32_e64 v11, 0, v7, s[0:1]
	v_mul_f32_e32 v7, s15, v8
	v_add_u32_e32 v0, 0xfffffb00, v0
	s_cmp_le_i32 s9, s7
	v_fmac_f32_e32 v7, v10, v11
	s_waitcnt vmcnt(0)
	v_mul_f32_e32 v8, v1, v8
	v_fmac_f32_e32 v8, v9, v11
	s_cbranch_scc0 .LBB11_3
	s_branch .LBB11_5
.LBB11_4:
	s_waitcnt lgkmcnt(0)
	v_mov_b32_e32 v7, s10
.LBB11_5:
	s_waitcnt vmcnt(0)
	v_div_scale_f32 v0, s[0:1], v7, v7, v8
	v_rcp_f32_e32 v1, v0
	v_div_scale_f32 v4, vcc, v8, v7, v8
	v_fma_f32 v5, -v0, v1, 1.0
	v_fmac_f32_e32 v1, v5, v1
	v_mul_f32_e32 v5, v4, v1
	v_fma_f32 v6, -v0, v5, v4
	v_fmac_f32_e32 v5, v6, v1
	v_fma_f32 v0, -v0, v5, v4
	v_div_fmas_f32 v0, v0, v1, v5
	v_div_fixup_f32 v0, v0, v7, v8
	global_store_dword v[2:3], v0, off
.LBB11_6:
	s_endpgm
	.section	.rodata,"a",@progbits
	.p2align	6, 0x0
	.amdhsa_kernel _ZL33flash_attn_stream_k_fixup_uniformILi80ELi16ELi1EEvPfPK15HIP_vector_typeIfLj2EEiiiiiiS1_IjLj3EES5_S5_
		.amdhsa_group_segment_fixed_size 0
		.amdhsa_private_segment_fixed_size 0
		.amdhsa_kernarg_size 76
		.amdhsa_user_sgpr_count 6
		.amdhsa_user_sgpr_private_segment_buffer 1
		.amdhsa_user_sgpr_dispatch_ptr 0
		.amdhsa_user_sgpr_queue_ptr 0
		.amdhsa_user_sgpr_kernarg_segment_ptr 1
		.amdhsa_user_sgpr_dispatch_id 0
		.amdhsa_user_sgpr_flat_scratch_init 0
		.amdhsa_user_sgpr_kernarg_preload_length 0
		.amdhsa_user_sgpr_kernarg_preload_offset 0
		.amdhsa_user_sgpr_private_segment_size 0
		.amdhsa_uses_dynamic_stack 0
		.amdhsa_system_sgpr_private_segment_wavefront_offset 0
		.amdhsa_system_sgpr_workgroup_id_x 1
		.amdhsa_system_sgpr_workgroup_id_y 1
		.amdhsa_system_sgpr_workgroup_id_z 1
		.amdhsa_system_sgpr_workgroup_info 0
		.amdhsa_system_vgpr_workitem_id 0
		.amdhsa_next_free_vgpr 17
		.amdhsa_next_free_sgpr 20
		.amdhsa_accum_offset 20
		.amdhsa_reserve_vcc 1
		.amdhsa_reserve_flat_scratch 0
		.amdhsa_float_round_mode_32 0
		.amdhsa_float_round_mode_16_64 0
		.amdhsa_float_denorm_mode_32 3
		.amdhsa_float_denorm_mode_16_64 3
		.amdhsa_dx10_clamp 1
		.amdhsa_ieee_mode 1
		.amdhsa_fp16_overflow 0
		.amdhsa_tg_split 0
		.amdhsa_exception_fp_ieee_invalid_op 0
		.amdhsa_exception_fp_denorm_src 0
		.amdhsa_exception_fp_ieee_div_zero 0
		.amdhsa_exception_fp_ieee_overflow 0
		.amdhsa_exception_fp_ieee_underflow 0
		.amdhsa_exception_fp_ieee_inexact 0
		.amdhsa_exception_int_div_zero 0
	.end_amdhsa_kernel
	.section	.text._ZL33flash_attn_stream_k_fixup_uniformILi80ELi16ELi1EEvPfPK15HIP_vector_typeIfLj2EEiiiiiiS1_IjLj3EES5_S5_,"axG",@progbits,_ZL33flash_attn_stream_k_fixup_uniformILi80ELi16ELi1EEvPfPK15HIP_vector_typeIfLj2EEiiiiiiS1_IjLj3EES5_S5_,comdat
.Lfunc_end11:
	.size	_ZL33flash_attn_stream_k_fixup_uniformILi80ELi16ELi1EEvPfPK15HIP_vector_typeIfLj2EEiiiiiiS1_IjLj3EES5_S5_, .Lfunc_end11-_ZL33flash_attn_stream_k_fixup_uniformILi80ELi16ELi1EEvPfPK15HIP_vector_typeIfLj2EEiiiiiiS1_IjLj3EES5_S5_
                                        ; -- End function
	.section	.AMDGPU.csdata,"",@progbits
; Kernel info:
; codeLenInByte = 836
; NumSgprs: 24
; NumVgprs: 17
; NumAgprs: 0
; TotalNumVgprs: 17
; ScratchSize: 0
; MemoryBound: 0
; FloatMode: 240
; IeeeMode: 1
; LDSByteSize: 0 bytes/workgroup (compile time only)
; SGPRBlocks: 2
; VGPRBlocks: 2
; NumSGPRsForWavesPerEU: 24
; NumVGPRsForWavesPerEU: 17
; AccumOffset: 20
; Occupancy: 8
; WaveLimiterHint : 0
; COMPUTE_PGM_RSRC2:SCRATCH_EN: 0
; COMPUTE_PGM_RSRC2:USER_SGPR: 6
; COMPUTE_PGM_RSRC2:TRAP_HANDLER: 0
; COMPUTE_PGM_RSRC2:TGID_X_EN: 1
; COMPUTE_PGM_RSRC2:TGID_Y_EN: 1
; COMPUTE_PGM_RSRC2:TGID_Z_EN: 1
; COMPUTE_PGM_RSRC2:TIDIG_COMP_CNT: 0
; COMPUTE_PGM_RSRC3_GFX90A:ACCUM_OFFSET: 4
; COMPUTE_PGM_RSRC3_GFX90A:TG_SPLIT: 0
	.section	.text._ZL33flash_attn_stream_k_fixup_generalILi80ELi16ELi1EEvPfPK15HIP_vector_typeIfLj2EEiiiiS1_IjLj3EES5_S5_S5_,"axG",@progbits,_ZL33flash_attn_stream_k_fixup_generalILi80ELi16ELi1EEvPfPK15HIP_vector_typeIfLj2EEiiiiS1_IjLj3EES5_S5_S5_,comdat
	.globl	_ZL33flash_attn_stream_k_fixup_generalILi80ELi16ELi1EEvPfPK15HIP_vector_typeIfLj2EEiiiiS1_IjLj3EES5_S5_S5_ ; -- Begin function _ZL33flash_attn_stream_k_fixup_generalILi80ELi16ELi1EEvPfPK15HIP_vector_typeIfLj2EEiiiiS1_IjLj3EES5_S5_S5_
	.p2align	8
	.type	_ZL33flash_attn_stream_k_fixup_generalILi80ELi16ELi1EEvPfPK15HIP_vector_typeIfLj2EEiiiiS1_IjLj3EES5_S5_S5_,@function
_ZL33flash_attn_stream_k_fixup_generalILi80ELi16ELi1EEvPfPK15HIP_vector_typeIfLj2EEiiiiS1_IjLj3EES5_S5_S5_: ; @_ZL33flash_attn_stream_k_fixup_generalILi80ELi16ELi1EEvPfPK15HIP_vector_typeIfLj2EEiiiiS1_IjLj3EES5_S5_S5_
; %bb.0:
	s_load_dwordx4 s[12:15], s[4:5], 0x10
	s_load_dword s9, s[4:5], 0x50
	s_mov_b32 s2, 0
	s_waitcnt lgkmcnt(0)
	s_mul_hi_i32 s3, s15, s6
	s_cmp_lg_u64 s[2:3], 0
	s_mul_i32 s2, s15, s6
	s_cbranch_scc0 .LBB12_21
; %bb.1:
	v_cvt_f32_u32_e32 v1, s9
	v_cvt_f32_ubyte0_e32 v2, 0
	s_sub_u32 s10, 0, s9
	s_subb_u32 s11, 0, 0
	v_madmk_f32 v1, v2, 0x4f800000, v1
	v_rcp_f32_e32 v1, v1
	v_mul_f32_e32 v1, 0x5f7ffffc, v1
	v_mul_f32_e32 v2, 0x2f800000, v1
	v_trunc_f32_e32 v2, v2
	v_madmk_f32 v1, v2, 0xcf800000, v1
	v_cvt_u32_f32_e32 v2, v2
	v_cvt_u32_f32_e32 v1, v1
	v_readfirstlane_b32 s16, v2
	v_readfirstlane_b32 s17, v1
	s_mul_i32 s18, s10, s16
	s_mul_hi_u32 s20, s10, s17
	s_mul_i32 s19, s11, s17
	s_add_i32 s18, s20, s18
	s_add_i32 s18, s18, s19
	s_mul_i32 s21, s10, s17
	s_mul_hi_u32 s19, s17, s18
	s_mul_i32 s20, s17, s18
	s_mul_hi_u32 s17, s17, s21
	s_add_u32 s17, s17, s20
	s_addc_u32 s19, 0, s19
	s_mul_hi_u32 s22, s16, s21
	s_mul_i32 s21, s16, s21
	s_add_u32 s17, s17, s21
	s_mul_hi_u32 s20, s16, s18
	s_addc_u32 s17, s19, s22
	s_addc_u32 s19, s20, 0
	s_mul_i32 s18, s16, s18
	s_add_u32 s17, s17, s18
	s_addc_u32 s18, 0, s19
	v_add_co_u32_e32 v1, vcc, s17, v1
	s_cmp_lg_u64 vcc, 0
	s_addc_u32 s16, s16, s18
	v_readfirstlane_b32 s18, v1
	s_mul_i32 s17, s10, s16
	s_mul_hi_u32 s19, s10, s18
	s_add_i32 s17, s19, s17
	s_mul_i32 s11, s11, s18
	s_add_i32 s17, s17, s11
	s_mul_i32 s10, s10, s18
	s_mul_hi_u32 s19, s16, s10
	s_mul_i32 s20, s16, s10
	s_mul_i32 s22, s18, s17
	s_mul_hi_u32 s10, s18, s10
	s_mul_hi_u32 s21, s18, s17
	s_add_u32 s10, s10, s22
	s_addc_u32 s18, 0, s21
	s_add_u32 s10, s10, s20
	s_mul_hi_u32 s11, s16, s17
	s_addc_u32 s10, s18, s19
	s_addc_u32 s11, s11, 0
	s_mul_i32 s17, s16, s17
	s_add_u32 s10, s10, s17
	s_addc_u32 s11, 0, s11
	v_add_co_u32_e32 v1, vcc, s10, v1
	s_cmp_lg_u64 vcc, 0
	s_addc_u32 s18, s16, s11
	s_ashr_i32 s10, s3, 31
	s_add_u32 s16, s2, s10
	s_mov_b32 s11, s10
	s_addc_u32 s17, s3, s10
	s_xor_b64 s[16:17], s[16:17], s[10:11]
	v_readfirstlane_b32 s20, v1
	s_mul_i32 s19, s16, s18
	s_mul_hi_u32 s21, s16, s20
	s_mul_hi_u32 s3, s16, s18
	s_add_u32 s19, s21, s19
	s_addc_u32 s3, 0, s3
	s_mul_hi_u32 s22, s17, s20
	s_mul_i32 s20, s17, s20
	s_add_u32 s19, s19, s20
	s_mul_hi_u32 s21, s17, s18
	s_addc_u32 s3, s3, s22
	s_addc_u32 s19, s21, 0
	s_mul_i32 s18, s17, s18
	s_add_u32 s3, s3, s18
	s_addc_u32 s18, 0, s19
	s_add_u32 s19, s3, 1
	s_addc_u32 s20, s18, 0
	s_add_u32 s21, s3, 2
	s_mul_i32 s23, s9, s18
	s_mul_hi_u32 s24, s9, s3
	s_addc_u32 s22, s18, 0
	s_add_i32 s24, s24, s23
	s_mul_i32 s23, s9, s3
	v_mov_b32_e32 v1, s23
	v_sub_co_u32_e32 v1, vcc, s16, v1
	s_cmp_lg_u64 vcc, 0
	s_subb_u32 s16, s17, s24
	v_subrev_co_u32_e32 v2, vcc, s9, v1
	s_cmp_lg_u64 vcc, 0
	s_subb_u32 s17, s16, 0
	v_readfirstlane_b32 s23, v2
	s_cmp_ge_u32 s23, s9
	s_cselect_b32 s23, -1, 0
	s_cmp_eq_u32 s17, 0
	s_cselect_b32 s17, s23, -1
	s_cmp_lg_u32 s17, 0
	s_cselect_b32 s17, s22, s20
	v_readfirstlane_b32 s20, v1
	s_cselect_b32 s19, s21, s19
	s_cmp_ge_u32 s20, s9
	s_cselect_b32 s20, -1, 0
	s_cmp_eq_u32 s16, 0
	s_cselect_b32 s16, s20, -1
	s_cmp_lg_u32 s16, 0
	s_cselect_b32 s17, s17, s18
	s_cselect_b32 s16, s19, s3
	s_xor_b64 s[16:17], s[16:17], s[10:11]
	s_sub_u32 s20, s16, s10
	s_load_dwordx4 s[16:19], s[4:5], 0x44
	s_cbranch_execnz .LBB12_3
.LBB12_2:
	v_cvt_f32_u32_e32 v1, s9
	s_sub_i32 s0, 0, s9
	v_rcp_iflag_f32_e32 v1, v1
	v_mul_f32_e32 v1, 0x4f7ffffe, v1
	v_cvt_u32_f32_e32 v1, v1
	v_readfirstlane_b32 s1, v1
	s_mul_i32 s0, s0, s1
	s_mul_hi_u32 s0, s1, s0
	s_add_i32 s1, s1, s0
	s_mul_hi_u32 s0, s2, s1
	s_mul_i32 s3, s0, s9
	s_sub_i32 s2, s2, s3
	s_add_i32 s1, s0, 1
	s_sub_i32 s3, s2, s9
	s_cmp_ge_u32 s2, s9
	s_cselect_b32 s0, s1, s0
	s_cselect_b32 s2, s3, s2
	s_add_i32 s1, s0, 1
	s_cmp_ge_u32 s2, s9
	s_cselect_b32 s20, s1, s0
.LBB12_3:
	s_add_i32 s0, s6, 1
	s_mul_hi_i32 s3, s15, s0
	s_mov_b32 s2, 0
	s_cmp_lg_u64 s[2:3], 0
	s_mul_i32 s2, s15, s0
	s_cbranch_scc0 .LBB12_22
; %bb.4:
	v_cvt_f32_u32_e32 v1, s9
	v_cvt_f32_ubyte0_e32 v2, 0
	s_sub_u32 s10, 0, s9
	s_subb_u32 s11, 0, 0
	v_madmk_f32 v1, v2, 0x4f800000, v1
	v_rcp_f32_e32 v1, v1
	v_mul_f32_e32 v1, 0x5f7ffffc, v1
	v_mul_f32_e32 v2, 0x2f800000, v1
	v_trunc_f32_e32 v2, v2
	v_madmk_f32 v1, v2, 0xcf800000, v1
	v_cvt_u32_f32_e32 v2, v2
	v_cvt_u32_f32_e32 v1, v1
	s_waitcnt lgkmcnt(0)
	v_readfirstlane_b32 s19, v2
	v_readfirstlane_b32 s21, v1
	s_mul_i32 s22, s10, s19
	s_mul_hi_u32 s24, s10, s21
	s_mul_i32 s23, s11, s21
	s_add_i32 s22, s24, s22
	s_add_i32 s22, s22, s23
	s_mul_i32 s25, s10, s21
	s_mul_hi_u32 s23, s21, s22
	s_mul_i32 s24, s21, s22
	s_mul_hi_u32 s21, s21, s25
	s_add_u32 s21, s21, s24
	s_addc_u32 s23, 0, s23
	s_mul_hi_u32 s26, s19, s25
	s_mul_i32 s25, s19, s25
	s_add_u32 s21, s21, s25
	s_mul_hi_u32 s24, s19, s22
	s_addc_u32 s21, s23, s26
	s_addc_u32 s23, s24, 0
	s_mul_i32 s22, s19, s22
	s_add_u32 s21, s21, s22
	s_addc_u32 s22, 0, s23
	v_add_co_u32_e32 v1, vcc, s21, v1
	s_cmp_lg_u64 vcc, 0
	s_addc_u32 s19, s19, s22
	v_readfirstlane_b32 s22, v1
	s_mul_i32 s21, s10, s19
	s_mul_hi_u32 s23, s10, s22
	s_add_i32 s21, s23, s21
	s_mul_i32 s11, s11, s22
	s_add_i32 s21, s21, s11
	s_mul_i32 s10, s10, s22
	s_mul_hi_u32 s23, s19, s10
	s_mul_i32 s24, s19, s10
	s_mul_i32 s26, s22, s21
	s_mul_hi_u32 s10, s22, s10
	s_mul_hi_u32 s25, s22, s21
	s_add_u32 s10, s10, s26
	s_addc_u32 s22, 0, s25
	s_add_u32 s10, s10, s24
	s_mul_hi_u32 s11, s19, s21
	s_addc_u32 s10, s22, s23
	s_addc_u32 s11, s11, 0
	s_mul_i32 s21, s19, s21
	s_add_u32 s10, s10, s21
	s_addc_u32 s11, 0, s11
	v_add_co_u32_e32 v1, vcc, s10, v1
	s_cmp_lg_u64 vcc, 0
	s_addc_u32 s19, s19, s11
	s_ashr_i32 s10, s3, 31
	s_add_u32 s22, s2, s10
	s_mov_b32 s11, s10
	s_addc_u32 s23, s3, s10
	s_xor_b64 s[22:23], s[22:23], s[10:11]
	v_readfirstlane_b32 s21, v1
	s_mul_i32 s11, s22, s19
	s_mul_hi_u32 s24, s22, s21
	s_mul_hi_u32 s3, s22, s19
	s_add_u32 s11, s24, s11
	s_addc_u32 s3, 0, s3
	s_mul_hi_u32 s25, s23, s21
	s_mul_i32 s21, s23, s21
	s_add_u32 s11, s11, s21
	s_mul_hi_u32 s24, s23, s19
	s_addc_u32 s3, s3, s25
	s_addc_u32 s11, s24, 0
	s_mul_i32 s19, s23, s19
	s_add_u32 s3, s3, s19
	s_addc_u32 s11, 0, s11
	s_mul_i32 s11, s9, s11
	s_mul_hi_u32 s24, s9, s3
	s_add_i32 s24, s24, s11
	s_mul_i32 s11, s9, s3
	v_mov_b32_e32 v1, s11
	s_add_u32 s19, s3, 1
	s_add_u32 s21, s3, 2
	v_sub_co_u32_e32 v1, vcc, s22, v1
	s_cmp_lg_u64 vcc, 0
	s_subb_u32 s11, s23, s24
	v_subrev_co_u32_e32 v2, vcc, s9, v1
	s_cmp_lg_u64 vcc, 0
	s_subb_u32 s22, s11, 0
	v_cmp_le_u32_e32 vcc, s9, v2
	s_cmp_eq_u32 s22, 0
	v_cndmask_b32_e64 v2, 0, -1, vcc
	s_cselect_b64 vcc, -1, 0
	v_cndmask_b32_e32 v2, -1, v2, vcc
	v_mov_b32_e32 v3, s19
	v_mov_b32_e32 v4, s21
	v_cmp_ne_u32_e32 vcc, 0, v2
	v_cndmask_b32_e32 v2, v3, v4, vcc
	v_cmp_le_u32_e32 vcc, s9, v1
	s_cmp_eq_u32 s11, 0
	v_cndmask_b32_e64 v1, 0, -1, vcc
	s_cselect_b64 vcc, -1, 0
	v_cndmask_b32_e32 v1, -1, v1, vcc
	v_mov_b32_e32 v3, s3
	v_cmp_ne_u32_e32 vcc, 0, v1
	v_cndmask_b32_e32 v1, v3, v2, vcc
	v_xor_b32_e32 v1, s10, v1
	v_subrev_co_u32_e32 v2, vcc, s10, v1
	s_cbranch_execnz .LBB12_6
.LBB12_5:
	v_cvt_f32_u32_e32 v1, s9
	s_sub_i32 s0, 0, s9
	s_mov_b32 s1, 0
	v_rcp_iflag_f32_e32 v1, v1
	v_mul_f32_e32 v1, 0x4f7ffffe, v1
	v_cvt_u32_f32_e32 v1, v1
	v_readfirstlane_b32 s3, v1
	s_mul_i32 s0, s0, s3
	s_mul_hi_u32 s0, s3, s0
	s_add_i32 s3, s3, s0
	s_mul_hi_u32 s0, s2, s3
	s_mul_i32 s10, s0, s9
	s_sub_i32 s2, s2, s10
	s_add_i32 s3, s0, 1
	s_sub_i32 s10, s2, s9
	s_cmp_ge_u32 s2, s9
	s_cselect_b32 s0, s3, s0
	s_cselect_b32 s2, s10, s2
	s_add_i32 s3, s0, 1
	s_cmp_ge_u32 s2, s9
	s_cselect_b32 s0, s3, s0
	v_pk_mov_b32 v[2:3], s[0:1], s[0:1] op_sel:[0,1]
.LBB12_6:
	s_waitcnt lgkmcnt(0)
	s_mul_hi_u32 s0, s20, s16
	s_add_i32 s0, s0, s20
	v_mul_hi_u32 v1, v2, s16
	s_lshr_b32 s19, s0, s17
	v_add_u32_e32 v1, v1, v2
	s_mul_i32 s0, s19, s18
	v_lshrrev_b32_e32 v1, s17, v1
	s_cmp_eq_u32 s0, s20
	v_cmp_eq_u32_e64 s[0:1], s19, v1
	v_mul_lo_u32 v1, v1, s18
	v_cmp_eq_u32_e32 vcc, s20, v2
	s_cselect_b64 s[10:11], -1, 0
	v_cmp_ne_u32_e64 s[2:3], v1, v2
	s_and_b64 s[0:1], s[0:1], s[2:3]
	s_or_b64 s[2:3], vcc, s[10:11]
	s_or_b64 s[0:1], s[2:3], s[0:1]
	s_and_b64 vcc, exec, s[0:1]
	s_cbranch_vccnz .LBB12_24
; %bb.7:
	s_load_dwordx8 s[24:31], s[4:5], 0x20
	s_load_dword s0, s[4:5], 0x40
	s_mov_b32 s10, 0
	s_waitcnt lgkmcnt(0)
	s_mul_hi_u32 s1, s20, s24
	s_add_i32 s1, s1, s20
	s_lshr_b32 s11, s1, s25
	s_mul_i32 s1, s11, s26
	s_sub_i32 s1, s20, s1
	s_mul_hi_u32 s2, s1, s27
	s_add_i32 s2, s1, s2
	s_lshr_b32 s23, s2, s28
	s_mul_i32 s2, s23, s29
	s_sub_i32 s1, s1, s2
	;; [unrolled: 5-line block ×3, first 2 shown]
	s_mul_hi_u32 s1, s0, s16
	s_add_i32 s0, s0, s1
	s_lshr_b32 s24, s0, s17
	s_lshl_b32 s0, s24, 4
	s_add_i32 s0, s0, s7
	s_cmp_lt_i32 s0, s12
	s_cselect_b64 s[0:1], -1, 0
	s_add_i32 s25, s25, s8
	s_cmp_lt_i32 s25, s14
	s_cselect_b64 s[2:3], -1, 0
	s_and_b64 s[0:1], s[0:1], s[2:3]
	s_andn2_b64 vcc, exec, s[0:1]
	s_cbranch_vccnz .LBB12_24
; %bb.8:
	s_load_dwordx4 s[0:3], s[4:5], 0x0
	s_lshl_b32 s4, s9, 6
	s_mov_b32 s5, s10
	s_add_i32 s8, s7, s8
	s_lshl_b64 s[4:5], s[4:5], 2
	s_waitcnt lgkmcnt(0)
	s_add_u32 s21, s2, s4
	s_mul_i32 s4, s11, s12
	s_addc_u32 s22, s3, s5
	s_mul_i32 s23, s23, s14
	s_add_i32 s4, s4, s7
	s_mul_i32 s4, s4, s13
	s_add_i32 s7, s25, s23
	;; [unrolled: 2-line block ×3, first 2 shown]
	s_mulk_i32 s5, 0x500
	s_mulk_i32 s4, 0x50
	s_add_i32 s5, s5, s4
	v_add_u32_e32 v2, s5, v0
	v_ashrrev_i32_e32 v3, 31, v2
	v_lshlrev_b64 v[2:3], 2, v[2:3]
	v_mov_b32_e32 v1, s1
	v_add_co_u32_e32 v2, vcc, s0, v2
	v_addc_co_u32_e32 v3, vcc, v1, v3, vcc
	global_load_dword v5, v[2:3], off
	s_mul_i32 s4, s8, 0x50
	v_add_u32_e32 v4, s4, v0
	v_cvt_f32_u32_e32 v0, s9
	v_cvt_f32_ubyte0_e32 v1, 0
	s_lshl_b32 s0, s6, 4
	s_add_i32 s0, s0, s8
	v_mac_f32_e32 v0, 0x4f800000, v1
	v_rcp_f32_e32 v0, v0
	v_cvt_f32_u32_e32 v1, s9
	s_ashr_i32 s1, s0, 31
	s_lshl_b64 s[0:1], s[0:1], 3
	v_mul_f32_e32 v0, 0x5f7ffffc, v0
	v_rcp_iflag_f32_e32 v1, v1
	s_add_u32 s0, s2, s0
	v_mul_f32_e32 v9, 0x2f800000, v0
	s_addc_u32 s1, s3, s1
	v_trunc_f32_e32 v10, v9
	s_load_dwordx2 s[0:1], s[0:1], 0x0
	v_mac_f32_e32 v0, 0xcf800000, v10
	v_cvt_u32_f32_e32 v9, v0
	v_mul_f32_e32 v0, 0x4f7ffffe, v1
	v_cvt_u32_f32_e32 v10, v10
	v_cvt_u32_f32_e32 v11, v0
	s_add_i32 s12, s6, -1
	s_waitcnt lgkmcnt(0)
	v_mov_b32_e32 v6, s1
	v_mov_b32_e32 v7, s0
	;; [unrolled: 1-line block ×3, first 2 shown]
	s_mov_b32 s6, 0x3fb8aa3b
	s_mov_b32 s7, 0xc2ce8ed0
	;; [unrolled: 1-line block ×4, first 2 shown]
	v_mov_b32_e32 v12, 0x7f800000
	s_mul_hi_i32 s11, s12, s15
	s_cmp_lg_u64 s[10:11], 0
	s_mul_i32 s4, s12, s15
	s_cbranch_scc0 .LBB12_15
.LBB12_9:
	s_sub_u32 s0, 0, s9
	v_readfirstlane_b32 s5, v9
	v_readfirstlane_b32 s24, v10
	s_subb_u32 s1, 0, 0
	s_mul_hi_u32 s23, s0, s5
	s_mul_i32 s25, s0, s24
	s_mul_i32 s20, s1, s5
	s_add_i32 s23, s23, s25
	s_add_i32 s23, s23, s20
	s_mul_i32 s26, s0, s5
	s_mul_hi_u32 s20, s5, s23
	s_mul_i32 s25, s5, s23
	s_mul_hi_u32 s5, s5, s26
	s_add_u32 s5, s5, s25
	s_addc_u32 s20, 0, s20
	s_mul_hi_u32 s27, s24, s26
	s_mul_i32 s26, s24, s26
	s_add_u32 s5, s5, s26
	s_mul_hi_u32 s25, s24, s23
	s_addc_u32 s5, s20, s27
	s_addc_u32 s20, s25, 0
	s_mul_i32 s23, s24, s23
	s_add_u32 s5, s5, s23
	s_addc_u32 s20, 0, s20
	v_add_co_u32_e32 v0, vcc, s5, v9
	s_cmp_lg_u64 vcc, 0
	s_addc_u32 s5, s24, s20
	v_readfirstlane_b32 s23, v0
	s_mul_i32 s20, s0, s5
	s_mul_hi_u32 s24, s0, s23
	s_add_i32 s20, s24, s20
	s_mul_i32 s1, s1, s23
	s_add_i32 s20, s20, s1
	s_mul_i32 s0, s0, s23
	s_mul_hi_u32 s24, s5, s0
	s_mul_i32 s25, s5, s0
	s_mul_i32 s27, s23, s20
	s_mul_hi_u32 s0, s23, s0
	s_mul_hi_u32 s26, s23, s20
	s_add_u32 s0, s0, s27
	s_addc_u32 s23, 0, s26
	s_add_u32 s0, s0, s25
	s_mul_hi_u32 s1, s5, s20
	s_addc_u32 s0, s23, s24
	s_addc_u32 s1, s1, 0
	s_mul_i32 s20, s5, s20
	s_add_u32 s0, s0, s20
	s_addc_u32 s1, 0, s1
	v_add_co_u32_e32 v0, vcc, s0, v0
	s_cmp_lg_u64 vcc, 0
	s_addc_u32 s5, s5, s1
	s_ashr_i32 s0, s11, 31
	s_add_u32 s24, s4, s0
	s_mov_b32 s1, s0
	s_addc_u32 s25, s11, s0
	s_xor_b64 s[24:25], s[24:25], s[0:1]
	v_readfirstlane_b32 s20, v0
	s_mul_i32 s11, s24, s5
	s_mul_hi_u32 s23, s24, s20
	s_mul_hi_u32 s1, s24, s5
	s_add_u32 s11, s23, s11
	s_addc_u32 s1, 0, s1
	s_mul_hi_u32 s26, s25, s20
	s_mul_i32 s20, s25, s20
	s_add_u32 s11, s11, s20
	s_mul_hi_u32 s23, s25, s5
	s_addc_u32 s1, s1, s26
	s_addc_u32 s11, s23, 0
	s_mul_i32 s5, s25, s5
	s_add_u32 s1, s1, s5
	s_addc_u32 s5, 0, s11
	s_mul_i32 s5, s9, s5
	s_mul_hi_u32 s23, s9, s1
	s_add_i32 s23, s23, s5
	s_mul_i32 s5, s9, s1
	v_mov_b32_e32 v0, s5
	s_add_u32 s11, s1, 1
	s_add_u32 s20, s1, 2
	v_sub_co_u32_e32 v0, vcc, s24, v0
	s_cmp_lg_u64 vcc, 0
	s_subb_u32 s5, s25, s23
	v_subrev_co_u32_e32 v1, vcc, s9, v0
	s_cmp_lg_u64 vcc, 0
	s_subb_u32 s23, s5, 0
	v_cmp_le_u32_e32 vcc, s9, v1
	s_cmp_eq_u32 s23, 0
	v_cndmask_b32_e64 v1, 0, -1, vcc
	s_cselect_b64 vcc, -1, 0
	v_cndmask_b32_e32 v1, -1, v1, vcc
	v_mov_b32_e32 v13, s11
	v_mov_b32_e32 v14, s20
	v_cmp_ne_u32_e32 vcc, 0, v1
	v_cndmask_b32_e32 v1, v13, v14, vcc
	v_cmp_le_u32_e32 vcc, s9, v0
	s_cmp_eq_u32 s5, 0
	v_cndmask_b32_e64 v0, 0, -1, vcc
	s_cselect_b64 vcc, -1, 0
	v_cndmask_b32_e32 v0, -1, v0, vcc
	v_mov_b32_e32 v13, s1
	v_cmp_ne_u32_e32 vcc, 0, v0
	v_cndmask_b32_e32 v0, v13, v1, vcc
	v_xor_b32_e32 v0, s0, v0
	v_subrev_co_u32_e32 v0, vcc, s0, v0
	s_cbranch_execnz .LBB12_11
.LBB12_10:
	s_sub_i32 s0, 0, s9
	v_mul_lo_u32 v0, s0, v11
	v_mul_hi_u32 v0, v11, v0
	v_add_u32_e32 v0, v11, v0
	v_mul_hi_u32 v0, s4, v0
	v_mul_lo_u32 v13, v0, s9
	v_sub_u32_e32 v13, s4, v13
	v_add_u32_e32 v1, 1, v0
	v_subrev_u32_e32 v14, s9, v13
	v_cmp_le_u32_e32 vcc, s9, v13
	v_cndmask_b32_e32 v13, v13, v14, vcc
	v_cndmask_b32_e32 v0, v0, v1, vcc
	v_add_u32_e32 v1, 1, v0
	v_cmp_le_u32_e32 vcc, s9, v13
	v_cndmask_b32_e32 v0, v0, v1, vcc
.LBB12_11:
	v_cmp_ne_u32_e32 vcc, v8, v0
	s_cbranch_vccz .LBB12_14
; %bb.12:
	s_add_i32 s0, s12, s9
	s_lshl_b32 s0, s0, 4
	v_mul_hi_u32 v1, v0, s16
	s_add_i32 s0, s0, s8
	s_mov_b32 s1, s10
	v_add_u32_e32 v1, v1, v0
	s_lshl_b64 s[0:1], s[0:1], 3
	v_lshrrev_b32_e32 v1, s17, v1
	s_add_u32 s4, s2, s0
	v_mul_lo_u32 v13, v1, s18
	s_addc_u32 s5, s3, s1
	v_cmp_eq_u32_e32 vcc, v13, v0
	v_cmp_gt_u32_e64 s[0:1], s19, v1
	s_or_b64 s[0:1], s[0:1], vcc
	s_and_b64 vcc, exec, s[0:1]
	s_cbranch_vccnz .LBB12_16
; %bb.13:
	s_add_i32 s11, s12, -1
	s_mov_b64 s[0:1], 0
	s_branch .LBB12_17
.LBB12_14:
                                        ; implicit-def: $sgpr0_sgpr1
                                        ; implicit-def: $vgpr14
                                        ; implicit-def: $vgpr1
                                        ; implicit-def: $vgpr13
                                        ; implicit-def: $sgpr11
                                        ; implicit-def: $vgpr0
	s_branch .LBB12_18
.LBB12_15:
                                        ; implicit-def: $vgpr0_vgpr1
	s_branch .LBB12_10
.LBB12_16:
	s_mov_b64 s[0:1], -1
	s_mov_b32 s11, s12
	v_mov_b32_e32 v0, v8
.LBB12_17:
	s_mul_i32 s20, s12, 0x500
	v_add_u32_e32 v14, s20, v4
	v_ashrrev_i32_e32 v15, 31, v14
	v_lshlrev_b64 v[14:15], 2, v[14:15]
	v_mov_b32_e32 v1, s22
	v_add_co_u32_e32 v14, vcc, s21, v14
	v_addc_co_u32_e32 v15, vcc, v1, v15, vcc
	global_load_dword v14, v[14:15], off
	s_load_dwordx2 s[4:5], s[4:5], 0x0
	v_max_f32_e32 v1, v7, v7
	s_waitcnt lgkmcnt(0)
	v_max_f32_e64 v13, s4, s4
	v_max_f32_e32 v1, v1, v13
	v_sub_f32_e32 v13, v7, v1
	v_sub_f32_e32 v15, s4, v1
	v_mul_f32_e32 v16, 0x3fb8aa3b, v13
	v_mul_f32_e32 v17, 0x3fb8aa3b, v15
	v_fma_f32 v18, v13, s6, -v16
	v_rndne_f32_e32 v19, v16
	v_fma_f32 v20, v15, s6, -v17
	v_rndne_f32_e32 v21, v17
	v_fmac_f32_e32 v18, 0x32a5705f, v13
	v_sub_f32_e32 v16, v16, v19
	v_fmac_f32_e32 v20, 0x32a5705f, v15
	v_sub_f32_e32 v17, v17, v21
	v_add_f32_e32 v16, v16, v18
	v_cvt_i32_f32_e32 v19, v19
	v_add_f32_e32 v17, v17, v20
	v_exp_f32_e32 v16, v16
	v_cvt_i32_f32_e32 v21, v21
	v_exp_f32_e32 v17, v17
	v_cmp_ngt_f32_e32 vcc, s7, v13
	v_ldexp_f32 v16, v16, v19
	v_cndmask_b32_e32 v16, 0, v16, vcc
	v_ldexp_f32 v17, v17, v21
	v_cmp_ngt_f32_e32 vcc, s7, v15
	v_cndmask_b32_e32 v17, 0, v17, vcc
	v_cmp_nlt_f32_e32 vcc, s13, v13
	v_cndmask_b32_e32 v16, v12, v16, vcc
	v_cmp_nlt_f32_e32 vcc, s13, v15
	v_cndmask_b32_e32 v17, v12, v17, vcc
	v_cmp_le_f32_e32 vcc, s14, v13
	v_cndmask_b32_e32 v16, 0, v16, vcc
	v_cmp_le_f32_e32 vcc, s14, v15
	v_cndmask_b32_e32 v15, 0, v17, vcc
	v_mul_f32_e32 v13, s5, v15
	v_fmac_f32_e32 v13, v6, v16
	s_waitcnt vmcnt(0)
	v_mul_f32_e32 v14, v14, v15
	v_fmac_f32_e32 v14, v5, v16
	s_cbranch_execnz .LBB12_19
.LBB12_18:
	s_add_i32 s11, s12, -1
	s_mov_b64 s[0:1], 0
	v_mov_b32_e32 v0, v8
	v_mov_b32_e32 v13, v6
	;; [unrolled: 1-line block ×3, first 2 shown]
	s_waitcnt vmcnt(0)
	v_mov_b32_e32 v14, v5
.LBB12_19:
	s_andn2_b64 vcc, exec, s[0:1]
	s_cbranch_vccz .LBB12_23
; %bb.20:
	v_mov_b32_e32 v8, v0
	s_mov_b32 s12, s11
	v_mov_b32_e32 v6, v13
	v_mov_b32_e32 v7, v1
	s_waitcnt vmcnt(0)
	v_mov_b32_e32 v5, v14
	s_mul_hi_i32 s11, s12, s15
	s_cmp_lg_u64 s[10:11], 0
	s_mul_i32 s4, s12, s15
	s_cbranch_scc1 .LBB12_9
	s_branch .LBB12_15
.LBB12_21:
                                        ; implicit-def: $sgpr20_sgpr21
	s_load_dwordx4 s[16:19], s[4:5], 0x44
	s_branch .LBB12_2
.LBB12_22:
                                        ; implicit-def: $vgpr2_vgpr3
	s_branch .LBB12_5
.LBB12_23:
	v_div_scale_f32 v0, s[0:1], v13, v13, v14
	v_rcp_f32_e32 v1, v0
	v_div_scale_f32 v4, vcc, v14, v13, v14
	s_waitcnt vmcnt(0)
	v_fma_f32 v5, -v0, v1, 1.0
	v_fmac_f32_e32 v1, v5, v1
	v_mul_f32_e32 v5, v4, v1
	v_fma_f32 v6, -v0, v5, v4
	v_fmac_f32_e32 v5, v6, v1
	v_fma_f32 v0, -v0, v5, v4
	v_div_fmas_f32 v0, v0, v1, v5
	v_div_fixup_f32 v0, v0, v13, v14
	global_store_dword v[2:3], v0, off
.LBB12_24:
	s_endpgm
	.section	.rodata,"a",@progbits
	.p2align	6, 0x0
	.amdhsa_kernel _ZL33flash_attn_stream_k_fixup_generalILi80ELi16ELi1EEvPfPK15HIP_vector_typeIfLj2EEiiiiS1_IjLj3EES5_S5_S5_
		.amdhsa_group_segment_fixed_size 0
		.amdhsa_private_segment_fixed_size 0
		.amdhsa_kernarg_size 336
		.amdhsa_user_sgpr_count 6
		.amdhsa_user_sgpr_private_segment_buffer 1
		.amdhsa_user_sgpr_dispatch_ptr 0
		.amdhsa_user_sgpr_queue_ptr 0
		.amdhsa_user_sgpr_kernarg_segment_ptr 1
		.amdhsa_user_sgpr_dispatch_id 0
		.amdhsa_user_sgpr_flat_scratch_init 0
		.amdhsa_user_sgpr_kernarg_preload_length 0
		.amdhsa_user_sgpr_kernarg_preload_offset 0
		.amdhsa_user_sgpr_private_segment_size 0
		.amdhsa_uses_dynamic_stack 0
		.amdhsa_system_sgpr_private_segment_wavefront_offset 0
		.amdhsa_system_sgpr_workgroup_id_x 1
		.amdhsa_system_sgpr_workgroup_id_y 1
		.amdhsa_system_sgpr_workgroup_id_z 1
		.amdhsa_system_sgpr_workgroup_info 0
		.amdhsa_system_vgpr_workitem_id 0
		.amdhsa_next_free_vgpr 22
		.amdhsa_next_free_sgpr 32
		.amdhsa_accum_offset 24
		.amdhsa_reserve_vcc 1
		.amdhsa_reserve_flat_scratch 0
		.amdhsa_float_round_mode_32 0
		.amdhsa_float_round_mode_16_64 0
		.amdhsa_float_denorm_mode_32 3
		.amdhsa_float_denorm_mode_16_64 3
		.amdhsa_dx10_clamp 1
		.amdhsa_ieee_mode 1
		.amdhsa_fp16_overflow 0
		.amdhsa_tg_split 0
		.amdhsa_exception_fp_ieee_invalid_op 0
		.amdhsa_exception_fp_denorm_src 0
		.amdhsa_exception_fp_ieee_div_zero 0
		.amdhsa_exception_fp_ieee_overflow 0
		.amdhsa_exception_fp_ieee_underflow 0
		.amdhsa_exception_fp_ieee_inexact 0
		.amdhsa_exception_int_div_zero 0
	.end_amdhsa_kernel
	.section	.text._ZL33flash_attn_stream_k_fixup_generalILi80ELi16ELi1EEvPfPK15HIP_vector_typeIfLj2EEiiiiS1_IjLj3EES5_S5_S5_,"axG",@progbits,_ZL33flash_attn_stream_k_fixup_generalILi80ELi16ELi1EEvPfPK15HIP_vector_typeIfLj2EEiiiiS1_IjLj3EES5_S5_S5_,comdat
.Lfunc_end12:
	.size	_ZL33flash_attn_stream_k_fixup_generalILi80ELi16ELi1EEvPfPK15HIP_vector_typeIfLj2EEiiiiS1_IjLj3EES5_S5_S5_, .Lfunc_end12-_ZL33flash_attn_stream_k_fixup_generalILi80ELi16ELi1EEvPfPK15HIP_vector_typeIfLj2EEiiiiS1_IjLj3EES5_S5_S5_
                                        ; -- End function
	.section	.AMDGPU.csdata,"",@progbits
; Kernel info:
; codeLenInByte = 2820
; NumSgprs: 36
; NumVgprs: 22
; NumAgprs: 0
; TotalNumVgprs: 22
; ScratchSize: 0
; MemoryBound: 0
; FloatMode: 240
; IeeeMode: 1
; LDSByteSize: 0 bytes/workgroup (compile time only)
; SGPRBlocks: 4
; VGPRBlocks: 2
; NumSGPRsForWavesPerEU: 36
; NumVGPRsForWavesPerEU: 22
; AccumOffset: 24
; Occupancy: 8
; WaveLimiterHint : 0
; COMPUTE_PGM_RSRC2:SCRATCH_EN: 0
; COMPUTE_PGM_RSRC2:USER_SGPR: 6
; COMPUTE_PGM_RSRC2:TRAP_HANDLER: 0
; COMPUTE_PGM_RSRC2:TGID_X_EN: 1
; COMPUTE_PGM_RSRC2:TGID_Y_EN: 1
; COMPUTE_PGM_RSRC2:TGID_Z_EN: 1
; COMPUTE_PGM_RSRC2:TIDIG_COMP_CNT: 0
; COMPUTE_PGM_RSRC3_GFX90A:ACCUM_OFFSET: 5
; COMPUTE_PGM_RSRC3_GFX90A:TG_SPLIT: 0
	.section	.text._ZL26flash_attn_combine_resultsILi80EEvPKfPK15HIP_vector_typeIfLj2EEPfi,"axG",@progbits,_ZL26flash_attn_combine_resultsILi80EEvPKfPK15HIP_vector_typeIfLj2EEPfi,comdat
	.globl	_ZL26flash_attn_combine_resultsILi80EEvPKfPK15HIP_vector_typeIfLj2EEPfi ; -- Begin function _ZL26flash_attn_combine_resultsILi80EEvPKfPK15HIP_vector_typeIfLj2EEPfi
	.p2align	8
	.type	_ZL26flash_attn_combine_resultsILi80EEvPKfPK15HIP_vector_typeIfLj2EEPfi,@function
_ZL26flash_attn_combine_resultsILi80EEvPKfPK15HIP_vector_typeIfLj2EEPfi: ; @_ZL26flash_attn_combine_resultsILi80EEvPKfPK15HIP_vector_typeIfLj2EEPfi
; %bb.0:
	s_load_dwordx2 s[0:1], s[4:5], 0x20
	s_load_dword s21, s[4:5], 0x18
	s_load_dwordx4 s[16:19], s[4:5], 0x0
	s_load_dwordx2 s[14:15], s[4:5], 0x10
	s_waitcnt lgkmcnt(0)
	s_mul_i32 s0, s0, s8
	s_add_i32 s0, s0, s6
	s_mul_i32 s20, s0, s1
	s_add_i32 s20, s20, s7
	s_lshl_b32 s10, s21, 1
	s_mul_i32 s0, s20, s21
	v_cmp_gt_i32_e32 vcc, s10, v0
	s_and_saveexec_b64 s[2:3], vcc
	s_cbranch_execz .LBB13_13
; %bb.1:
	v_xad_u32 v1, v0, -1, s10
	s_movk_i32 s4, 0x4f
	s_ashr_i32 s1, s0, 31
	v_cmp_lt_u32_e32 vcc, s4, v1
	s_mov_b64 s[6:7], -1
	v_mov_b32_e32 v2, v0
	s_and_saveexec_b64 s[4:5], vcc
	s_cbranch_execz .LBB13_10
; %bb.2:
	s_mov_b32 s6, 0xcccccccd
	v_mul_hi_u32 v1, v1, s6
	v_lshrrev_b32_e32 v6, 6, v1
	s_lshl_b64 s[6:7], s[0:1], 3
	v_add_u32_e32 v2, -1, v6
	s_add_u32 s11, s18, s6
	v_add_u32_e32 v1, 0x50, v0
	v_lshrrev_b32_e32 v3, 1, v2
	s_addc_u32 s12, s19, s7
	v_add_u32_e32 v7, 1, v3
	v_cmp_lt_u32_e32 vcc, 13, v2
	v_mov_b32_e32 v4, 0
	v_pk_mov_b32 v[2:3], v[0:1], v[0:1] op_sel:[0,1]
	s_and_saveexec_b64 s[6:7], vcc
	s_cbranch_execz .LBB13_6
; %bb.3:
	v_and_b32_e32 v8, -8, v7
	s_mov_b32 s13, 0
	v_lshl_add_u32 v9, v0, 2, 0
	s_mov_b64 s[8:9], 0
	v_mov_b32_e32 v10, s12
	v_mov_b32_e32 v5, 0
	v_pk_mov_b32 v[2:3], v[0:1], v[0:1] op_sel:[0,1]
.LBB13_4:                               ; =>This Inner Loop Header: Depth=1
	v_mov_b32_e32 v4, v2
	v_lshlrev_b64 v[26:27], 2, v[4:5]
	v_add_u32_e32 v12, 0xa0, v3
	v_mov_b32_e32 v13, v5
	v_add_co_u32_e32 v26, vcc, s11, v26
	v_lshlrev_b64 v[12:13], 2, v[12:13]
	v_addc_co_u32_e32 v27, vcc, v10, v27, vcc
	v_add_u32_e32 v14, 0x140, v3
	v_mov_b32_e32 v15, v5
	v_add_co_u32_e32 v12, vcc, s11, v12
	v_lshlrev_b64 v[14:15], 2, v[14:15]
	v_addc_co_u32_e32 v13, vcc, v10, v13, vcc
	;; [unrolled: 5-line block ×7, first 2 shown]
	v_mov_b32_e32 v4, v3
	v_add_co_u32_e32 v24, vcc, s11, v24
	v_lshlrev_b64 v[28:29], 2, v[4:5]
	v_addc_co_u32_e32 v25, vcc, v10, v25, vcc
	v_add_u32_e32 v4, 0xa0, v2
	v_add_co_u32_e32 v28, vcc, s11, v28
	v_addc_co_u32_e32 v29, vcc, v10, v29, vcc
	global_load_dword v1, v[26:27], off
	v_lshlrev_b64 v[26:27], 2, v[4:5]
	v_add_u32_e32 v4, 0x140, v2
	v_add_co_u32_e32 v26, vcc, s11, v26
	v_addc_co_u32_e32 v27, vcc, v10, v27, vcc
	v_lshlrev_b64 v[30:31], 2, v[4:5]
	v_add_u32_e32 v4, 0x1e0, v2
	global_load_dword v11, v[28:29], off
	global_load_dword v32, v[26:27], off
	;; [unrolled: 1-line block ×3, first 2 shown]
	v_add_co_u32_e32 v12, vcc, s11, v30
	v_addc_co_u32_e32 v13, vcc, v10, v31, vcc
	v_lshlrev_b64 v[26:27], 2, v[4:5]
	v_add_u32_e32 v4, 0x280, v2
	v_add_co_u32_e32 v26, vcc, s11, v26
	v_addc_co_u32_e32 v27, vcc, v10, v27, vcc
	v_lshlrev_b64 v[28:29], 2, v[4:5]
	v_add_u32_e32 v4, 0x320, v2
	global_load_dword v30, v[12:13], off
	global_load_dword v31, v[14:15], off
	;; [unrolled: 1-line block ×4, first 2 shown]
	v_add_co_u32_e32 v12, vcc, s11, v28
	v_addc_co_u32_e32 v13, vcc, v10, v29, vcc
	v_lshlrev_b64 v[14:15], 2, v[4:5]
	v_add_u32_e32 v4, 0x3c0, v2
	v_add_co_u32_e32 v14, vcc, s11, v14
	v_addc_co_u32_e32 v15, vcc, v10, v15, vcc
	v_lshlrev_b64 v[16:17], 2, v[4:5]
	v_add_u32_e32 v4, 0x460, v2
	global_load_dword v26, v[12:13], off
	global_load_dword v27, v[18:19], off
	;; [unrolled: 1-line block ×4, first 2 shown]
	v_add_co_u32_e32 v12, vcc, s11, v16
	v_addc_co_u32_e32 v13, vcc, v10, v17, vcc
	v_lshlrev_b64 v[14:15], 2, v[4:5]
	v_add_co_u32_e32 v14, vcc, s11, v14
	v_addc_co_u32_e32 v15, vcc, v10, v15, vcc
	global_load_dword v16, v[12:13], off
	global_load_dword v17, v[22:23], off
	;; [unrolled: 1-line block ×4, first 2 shown]
	v_add_u32_e32 v8, -8, v8
	s_add_i32 s13, s13, 16
	v_cmp_eq_u32_e32 vcc, 0, v8
	v_add_u32_e32 v12, 0x400, v9
	v_add_u32_e32 v13, 0x600, v9
	;; [unrolled: 1-line block ×7, first 2 shown]
	v_mov_b32_e32 v4, s13
	s_or_b64 s[8:9], vcc, s[8:9]
	v_add_u32_e32 v2, 0x500, v2
	s_waitcnt vmcnt(14)
	ds_write2_b32 v9, v1, v11 offset1:80
	s_waitcnt vmcnt(12)
	ds_write2_b32 v9, v32, v33 offset0:160 offset1:240
	v_add_u32_e32 v9, 0x1400, v9
	s_waitcnt vmcnt(10)
	ds_write2_b32 v12, v30, v31 offset0:64 offset1:144
	s_waitcnt vmcnt(8)
	ds_write2_b32 v13, v34, v35 offset0:96 offset1:176
	;; [unrolled: 2-line block ×6, first 2 shown]
	s_andn2_b64 exec, exec, s[8:9]
	s_cbranch_execnz .LBB13_4
; %bb.5:
	s_or_b64 exec, exec, s[8:9]
.LBB13_6:
	s_or_b64 exec, exec, s[6:7]
	v_and_b32_e32 v1, 7, v7
	v_cmp_ne_u32_e32 vcc, 0, v1
	s_and_saveexec_b64 s[6:7], vcc
	s_cbranch_execz .LBB13_9
; %bb.7:
	s_movk_i32 s8, 0x140
	v_mul_lo_u32 v4, v4, s8
	v_lshlrev_b32_e32 v5, 2, v0
	v_add3_u32 v7, v4, v5, 0
	s_mov_b64 s[8:9], 0
	v_mov_b32_e32 v8, s12
	v_mov_b32_e32 v5, 0
.LBB13_8:                               ; =>This Inner Loop Header: Depth=1
	v_mov_b32_e32 v4, v2
	v_lshlrev_b64 v[10:11], 2, v[4:5]
	v_mov_b32_e32 v4, v3
	v_add_co_u32_e32 v10, vcc, s11, v10
	v_addc_co_u32_e32 v11, vcc, v8, v11, vcc
	v_lshlrev_b64 v[12:13], 2, v[4:5]
	v_add_co_u32_e32 v12, vcc, s11, v12
	v_addc_co_u32_e32 v13, vcc, v8, v13, vcc
	global_load_dword v4, v[10:11], off
	global_load_dword v9, v[12:13], off
	v_add_u32_e32 v1, -1, v1
	v_cmp_eq_u32_e32 vcc, 0, v1
	v_add_u32_e32 v2, 0xa0, v2
	v_add_u32_e32 v3, 0xa0, v3
	s_or_b64 s[8:9], vcc, s[8:9]
	s_waitcnt vmcnt(0)
	ds_write2_b32 v7, v4, v9 offset1:80
	v_add_u32_e32 v7, 0x280, v7
	s_andn2_b64 exec, exec, s[8:9]
	s_cbranch_execnz .LBB13_8
.LBB13_9:
	s_or_b64 exec, exec, s[6:7]
	v_add_u32_e32 v1, 1, v6
	v_and_b32_e32 v4, 0x7fffffe, v1
	s_movk_i32 s6, 0x50
	v_mad_u64_u32 v[2:3], s[6:7], v4, s6, v[0:1]
	v_cmp_ne_u32_e32 vcc, v1, v4
	s_orn2_b64 s[6:7], vcc, exec
.LBB13_10:
	s_or_b64 exec, exec, s[4:5]
	s_and_b64 exec, exec, s[6:7]
	s_cbranch_execz .LBB13_13
; %bb.11:
	s_lshl_b64 s[4:5], s[0:1], 3
	v_mov_b32_e32 v3, 0
	s_add_u32 s1, s18, s4
	v_lshlrev_b64 v[4:5], 2, v[2:3]
	s_addc_u32 s4, s19, s5
	v_mov_b32_e32 v1, s4
	v_add_co_u32_e32 v4, vcc, s1, v4
	v_addc_co_u32_e32 v5, vcc, v1, v5, vcc
	v_lshl_add_u32 v1, v2, 2, 0
	s_mov_b64 s[4:5], 0
.LBB13_12:                              ; =>This Inner Loop Header: Depth=1
	global_load_dword v3, v[4:5], off
	v_add_co_u32_e32 v4, vcc, 0x140, v4
	v_add_u32_e32 v2, 0x50, v2
	v_addc_co_u32_e32 v5, vcc, 0, v5, vcc
	v_cmp_le_i32_e32 vcc, s10, v2
	s_or_b64 s[4:5], vcc, s[4:5]
	s_waitcnt vmcnt(0)
	ds_write_b32 v1, v3
	v_add_u32_e32 v1, 0x140, v1
	s_andn2_b64 exec, exec, s[4:5]
	s_cbranch_execnz .LBB13_12
.LBB13_13:
	s_or_b64 exec, exec, s[2:3]
	v_mov_b32_e32 v1, 0
	s_waitcnt lgkmcnt(0)
	s_barrier
	ds_read_b32 v1, v1
	s_cmp_lt_i32 s21, 2
	s_cbranch_scc1 .LBB13_21
; %bb.14:
	s_add_i32 s1, s21, -1
	s_add_i32 s2, s21, -2
	s_cmp_lt_u32 s2, 7
	s_cbranch_scc1 .LBB13_18
; %bb.15:
	s_mov_b32 s4, 0
	s_add_i32 s2, 0, 8
	s_and_b32 s3, s1, -8
.LBB13_16:                              ; =>This Inner Loop Header: Depth=1
	v_mov_b32_e32 v8, s2
	ds_read2_b32 v[2:3], v8 offset1:2
	ds_read2_b32 v[4:5], v8 offset0:4 offset1:6
	ds_read2_b32 v[6:7], v8 offset0:8 offset1:10
	;; [unrolled: 1-line block ×3, first 2 shown]
	s_mov_b32 s5, s4
	s_waitcnt lgkmcnt(3)
	v_max3_f32 v1, v1, v2, v3
	s_waitcnt lgkmcnt(2)
	v_max3_f32 v1, v1, v4, v5
	s_add_i32 s2, s2, 64
	s_add_i32 s4, s4, 8
	s_waitcnt lgkmcnt(1)
	v_max3_f32 v1, v1, v6, v7
	s_cmp_eq_u32 s3, s4
	s_waitcnt lgkmcnt(0)
	v_max3_f32 v1, v1, v8, v9
	s_cbranch_scc0 .LBB13_16
; %bb.17:
	s_add_i32 s2, s5, 9
	s_and_b32 s1, s1, 7
	s_cmp_eq_u32 s1, 0
	s_cbranch_scc0 .LBB13_19
	s_branch .LBB13_21
.LBB13_18:
	s_mov_b32 s2, 1
	s_and_b32 s1, s1, 7
	s_cmp_eq_u32 s1, 0
	s_cbranch_scc1 .LBB13_21
.LBB13_19:
	s_lshl_b32 s2, s2, 3
	s_add_i32 s2, s2, 0
.LBB13_20:                              ; =>This Inner Loop Header: Depth=1
	v_mov_b32_e32 v2, s2
	ds_read_b32 v2, v2
	s_waitcnt lgkmcnt(1)
	v_max_f32_e32 v1, v1, v1
	s_add_i32 s2, s2, 8
	s_add_i32 s1, s1, -1
	s_cmp_lg_u32 s1, 0
	s_waitcnt lgkmcnt(0)
	v_max_f32_e32 v2, v2, v2
	v_max_f32_e32 v1, v1, v2
	s_cbranch_scc1 .LBB13_20
.LBB13_21:
	s_cmp_lt_i32 s21, 1
	s_cbranch_scc1 .LBB13_26
; %bb.22:
	s_mul_i32 s18, s0, 0x50
	s_ashr_i32 s19, s18, 31
	s_cmp_lt_u32 s21, 8
	v_mov_b32_e32 v8, 0
	s_cbranch_scc1 .LBB13_27
; %bb.23:
	s_lshl_b64 s[0:1], s[18:19], 2
	s_add_u32 s23, s16, s0
	s_addc_u32 s0, s17, s1
	v_lshlrev_b32_e32 v2, 2, v0
	v_mov_b32_e32 v10, s0
	v_add_co_u32_e32 v2, vcc, s23, v2
	v_addc_co_u32_e32 v3, vcc, 0, v10, vcc
	v_add_co_u32_e32 v2, vcc, 0x140, v2
	s_and_b32 s22, s21, 0x7ffffff8
	v_addc_co_u32_e32 v3, vcc, 0, v3, vcc
	v_add_u32_e32 v4, 0x140, v0
	s_mov_b32 s24, 0
	v_mov_b32_e32 v7, 0
	s_mov_b32 s25, 0x3fb8aa3b
	s_mov_b32 s26, 0xc2ce8ed0
	;; [unrolled: 1-line block ×3, first 2 shown]
	v_mov_b32_e32 v11, 0x7f800000
	s_mov_b32 s28, 0
	v_mov_b32_e32 v9, 0
	v_mov_b32_e32 v8, 0
.LBB13_24:                              ; =>This Inner Loop Header: Depth=1
	v_add_u32_e32 v6, 0xfffffec0, v4
	global_load_dword v36, v[2:3], off
	global_load_dword v37, v[2:3], off offset:320
	v_add_co_u32_e32 v2, vcc, 0xa00, v2
	v_lshlrev_b64 v[28:29], 2, v[6:7]
	v_addc_co_u32_e32 v3, vcc, 0, v3, vcc
	v_mov_b32_e32 v5, v7
	v_add_co_u32_e32 v28, vcc, s23, v28
	v_lshlrev_b64 v[30:31], 2, v[4:5]
	v_addc_co_u32_e32 v29, vcc, v10, v29, vcc
	v_add_u32_e32 v6, 0xffffffb0, v4
	v_add_co_u32_e32 v30, vcc, s23, v30
	v_mov_b32_e32 v24, s24
	v_lshlrev_b64 v[32:33], 2, v[6:7]
	v_addc_co_u32_e32 v31, vcc, v10, v31, vcc
	ds_read2_b64 v[12:15], v24 offset1:1
	ds_read2_b64 v[16:19], v24 offset0:2 offset1:3
	ds_read2_b64 v[20:23], v24 offset0:4 offset1:5
	ds_read2_b64 v[24:27], v24 offset0:6 offset1:7
	v_add_u32_e32 v6, 0x50, v4
	global_load_dword v5, v[28:29], off
	v_add_co_u32_e32 v28, vcc, s23, v32
	v_addc_co_u32_e32 v29, vcc, v10, v33, vcc
	v_lshlrev_b64 v[32:33], 2, v[6:7]
	v_add_u32_e32 v6, 0xa0, v4
	v_add_co_u32_e32 v32, vcc, s23, v32
	v_addc_co_u32_e32 v33, vcc, v10, v33, vcc
	v_lshlrev_b64 v[34:35], 2, v[6:7]
	v_add_u32_e32 v6, 0xf0, v4
	global_load_dword v38, v[28:29], off
	global_load_dword v39, v[30:31], off
	;; [unrolled: 1-line block ×3, first 2 shown]
	v_add_co_u32_e32 v28, vcc, s23, v34
	v_addc_co_u32_e32 v29, vcc, v10, v35, vcc
	v_lshlrev_b64 v[30:31], 2, v[6:7]
	v_add_co_u32_e32 v30, vcc, s23, v30
	s_waitcnt lgkmcnt(3)
	v_sub_f32_e32 v6, v12, v1
	v_sub_f32_e32 v12, v14, v1
	s_waitcnt lgkmcnt(2)
	v_sub_f32_e32 v14, v16, v1
	v_sub_f32_e32 v16, v18, v1
	;; [unrolled: 3-line block ×4, first 2 shown]
	v_addc_co_u32_e32 v31, vcc, v10, v31, vcc
	global_load_dword v26, v[28:29], off
	v_mul_f32_e32 v32, 0x3fb8aa3b, v14
	global_load_dword v30, v[30:31], off
	v_mul_f32_e32 v28, 0x3fb8aa3b, v6
	v_fma_f32 v31, v6, s25, -v28
	v_rndne_f32_e32 v43, v28
	v_mul_f32_e32 v29, 0x3fb8aa3b, v12
	v_mul_f32_e32 v33, 0x3fb8aa3b, v16
	;; [unrolled: 1-line block ×3, first 2 shown]
	v_fmac_f32_e32 v31, 0x32a5705f, v6
	v_sub_f32_e32 v28, v28, v43
	v_fma_f32 v44, v12, s25, -v29
	v_rndne_f32_e32 v45, v29
	v_fma_f32 v46, v14, s25, -v32
	v_rndne_f32_e32 v47, v32
	;; [unrolled: 2-line block ×3, first 2 shown]
	v_fma_f32 v50, v18, s25, -v34
	v_add_f32_e32 v28, v28, v31
	v_rndne_f32_e32 v31, v34
	v_mul_f32_e32 v35, 0x3fb8aa3b, v20
	v_mul_f32_e32 v41, 0x3fb8aa3b, v22
	v_fmac_f32_e32 v44, 0x32a5705f, v12
	v_sub_f32_e32 v29, v29, v45
	v_fmac_f32_e32 v46, 0x32a5705f, v14
	v_sub_f32_e32 v32, v32, v47
	;; [unrolled: 2-line block ×4, first 2 shown]
	v_add_f32_e32 v29, v29, v44
	v_fma_f32 v44, v20, s25, -v35
	v_add_f32_e32 v32, v32, v46
	v_rndne_f32_e32 v46, v35
	v_add_f32_e32 v33, v33, v48
	v_fma_f32 v48, v22, s25, -v41
	v_add_f32_e32 v34, v34, v50
	v_rndne_f32_e32 v50, v41
	v_mul_f32_e32 v42, 0x3fb8aa3b, v24
	v_fmac_f32_e32 v44, 0x32a5705f, v20
	v_sub_f32_e32 v35, v35, v46
	v_fmac_f32_e32 v48, 0x32a5705f, v22
	v_sub_f32_e32 v41, v41, v50
	v_add_f32_e32 v35, v35, v44
	v_fma_f32 v44, v24, s25, -v42
	v_add_f32_e32 v41, v41, v48
	v_rndne_f32_e32 v48, v42
	v_cvt_i32_f32_e32 v43, v43
	v_fmac_f32_e32 v44, 0x32a5705f, v24
	v_sub_f32_e32 v42, v42, v48
	v_exp_f32_e32 v28, v28
	v_cvt_i32_f32_e32 v45, v45
	v_add_f32_e32 v42, v42, v44
	v_exp_f32_e32 v29, v29
	v_cvt_i32_f32_e32 v47, v47
	v_cvt_i32_f32_e32 v49, v49
	;; [unrolled: 1-line block ×6, first 2 shown]
	v_exp_f32_e32 v32, v32
	v_exp_f32_e32 v33, v33
	;; [unrolled: 1-line block ×6, first 2 shown]
	v_ldexp_f32 v28, v28, v43
	v_cmp_ngt_f32_e64 s[12:13], s26, v6
	v_ldexp_f32 v29, v29, v45
	v_cmp_ngt_f32_e32 vcc, s26, v12
	v_cndmask_b32_e64 v28, 0, v28, s[12:13]
	v_cmp_nlt_f32_e64 s[12:13], s27, v6
	v_ldexp_f32 v32, v32, v47
	v_cmp_ngt_f32_e64 s[0:1], s26, v14
	v_ldexp_f32 v33, v33, v49
	v_cmp_ngt_f32_e64 s[2:3], s26, v16
	;; [unrolled: 2-line block ×6, first 2 shown]
	v_cndmask_b32_e32 v29, 0, v29, vcc
	v_cmp_nlt_f32_e32 vcc, s27, v12
	v_cndmask_b32_e64 v6, v11, v28, s[12:13]
	v_cndmask_b32_e64 v12, 0, v32, s[0:1]
	v_cmp_nlt_f32_e64 s[0:1], s27, v14
	v_cndmask_b32_e64 v14, 0, v33, s[2:3]
	v_cmp_nlt_f32_e64 s[2:3], s27, v16
	;; [unrolled: 2-line block ×6, first 2 shown]
	v_cndmask_b32_e32 v24, v11, v29, vcc
	v_fmac_f32_e32 v9, v6, v13
	s_waitcnt vmcnt(5)
	v_fmac_f32_e32 v8, v5, v6
	v_cndmask_b32_e64 v12, v11, v12, s[0:1]
	v_fmac_f32_e32 v9, v24, v15
	v_fmac_f32_e32 v8, v36, v24
	v_cndmask_b32_e64 v14, v11, v14, s[2:3]
	v_fmac_f32_e32 v9, v12, v17
	;; [unrolled: 3-line block ×3, first 2 shown]
	s_waitcnt vmcnt(4)
	v_fmac_f32_e32 v8, v38, v14
	v_cndmask_b32_e64 v18, v11, v18, s[6:7]
	v_fmac_f32_e32 v9, v16, v21
	s_waitcnt vmcnt(3)
	v_fmac_f32_e32 v8, v39, v16
	v_cndmask_b32_e64 v20, v11, v20, s[8:9]
	v_fmac_f32_e32 v9, v18, v23
	s_waitcnt vmcnt(2)
	v_fmac_f32_e32 v8, v40, v18
	s_add_i32 s28, s28, 8
	s_add_i32 s24, s24, 64
	v_cndmask_b32_e64 v22, v11, v22, s[10:11]
	v_fmac_f32_e32 v9, v20, v25
	s_waitcnt vmcnt(1)
	v_fmac_f32_e32 v8, v26, v20
	s_cmp_eq_u32 s22, s28
	v_add_u32_e32 v4, 0x280, v4
	v_fmac_f32_e32 v9, v22, v27
	s_waitcnt vmcnt(0)
	v_fmac_f32_e32 v8, v30, v22
	s_cbranch_scc0 .LBB13_24
; %bb.25:
	s_and_b32 s0, s21, 7
	s_cmp_eq_u32 s0, 0
	s_cbranch_scc0 .LBB13_28
	s_branch .LBB13_30
.LBB13_26:
	s_waitcnt lgkmcnt(0)
	v_mov_b32_e32 v1, 0x7fc00000
	s_branch .LBB13_31
.LBB13_27:
	s_mov_b32 s22, 0
	v_mov_b32_e32 v9, 0
	s_and_b32 s0, s21, 7
	s_cmp_eq_u32 s0, 0
	s_cbranch_scc1 .LBB13_30
.LBB13_28:
	s_lshl_b64 s[2:3], s[18:19], 2
	s_mul_i32 s1, s22, 0x50
	v_add_u32_e32 v2, s1, v0
	v_mov_b32_e32 v3, 0
	s_add_u32 s1, s16, s2
	v_lshlrev_b64 v[2:3], 2, v[2:3]
	s_addc_u32 s2, s17, s3
	v_mov_b32_e32 v4, s2
	v_add_co_u32_e32 v2, vcc, s1, v2
	s_lshl_b32 s1, s22, 3
	v_addc_co_u32_e32 v3, vcc, v4, v3, vcc
	s_add_i32 s1, s1, 0
	s_mov_b32 s2, 0x3fb8aa3b
	s_mov_b32 s3, 0xc2ce8ed0
	;; [unrolled: 1-line block ×3, first 2 shown]
	v_mov_b32_e32 v4, 0x7f800000
.LBB13_29:                              ; =>This Inner Loop Header: Depth=1
	global_load_dword v5, v[2:3], off
	v_mov_b32_e32 v6, s1
	ds_read_b64 v[6:7], v6
	v_add_co_u32_e32 v2, vcc, 0x140, v2
	v_addc_co_u32_e32 v3, vcc, 0, v3, vcc
	s_waitcnt lgkmcnt(0)
	v_sub_f32_e32 v6, v6, v1
	v_mul_f32_e32 v10, 0x3fb8aa3b, v6
	v_fma_f32 v11, v6, s2, -v10
	v_rndne_f32_e32 v12, v10
	v_fmac_f32_e32 v11, 0x32a5705f, v6
	v_sub_f32_e32 v10, v10, v12
	v_add_f32_e32 v10, v10, v11
	v_cvt_i32_f32_e32 v12, v12
	v_exp_f32_e32 v10, v10
	v_cmp_ngt_f32_e32 vcc, s3, v6
	s_add_i32 s1, s1, 8
	s_add_i32 s0, s0, -1
	v_ldexp_f32 v10, v10, v12
	v_cndmask_b32_e32 v10, 0, v10, vcc
	v_cmp_nlt_f32_e32 vcc, s4, v6
	v_cndmask_b32_e32 v6, v4, v10, vcc
	s_cmp_lg_u32 s0, 0
	v_fmac_f32_e32 v9, v6, v7
	s_waitcnt vmcnt(0)
	v_fmac_f32_e32 v8, v5, v6
	s_cbranch_scc1 .LBB13_29
.LBB13_30:
	s_waitcnt lgkmcnt(0)
	v_div_scale_f32 v1, s[0:1], v9, v9, v8
	v_rcp_f32_e32 v2, v1
	v_div_scale_f32 v3, vcc, v8, v9, v8
	v_fma_f32 v4, -v1, v2, 1.0
	v_fmac_f32_e32 v2, v4, v2
	v_mul_f32_e32 v4, v3, v2
	v_fma_f32 v5, -v1, v4, v3
	v_fmac_f32_e32 v4, v5, v2
	v_fma_f32 v1, -v1, v4, v3
	v_div_fmas_f32 v1, v1, v2, v4
	v_div_fixup_f32 v1, v1, v9, v8
.LBB13_31:
	s_mul_i32 s0, s20, 0x50
	s_ashr_i32 s1, s0, 31
	s_lshl_b64 s[0:1], s[0:1], 2
	s_add_u32 s0, s14, s0
	s_addc_u32 s1, s15, s1
	v_lshlrev_b32_e32 v0, 2, v0
	global_store_dword v0, v1, s[0:1]
	s_endpgm
	.section	.rodata,"a",@progbits
	.p2align	6, 0x0
	.amdhsa_kernel _ZL26flash_attn_combine_resultsILi80EEvPKfPK15HIP_vector_typeIfLj2EEPfi
		.amdhsa_group_segment_fixed_size 0
		.amdhsa_private_segment_fixed_size 0
		.amdhsa_kernarg_size 288
		.amdhsa_user_sgpr_count 6
		.amdhsa_user_sgpr_private_segment_buffer 1
		.amdhsa_user_sgpr_dispatch_ptr 0
		.amdhsa_user_sgpr_queue_ptr 0
		.amdhsa_user_sgpr_kernarg_segment_ptr 1
		.amdhsa_user_sgpr_dispatch_id 0
		.amdhsa_user_sgpr_flat_scratch_init 0
		.amdhsa_user_sgpr_kernarg_preload_length 0
		.amdhsa_user_sgpr_kernarg_preload_offset 0
		.amdhsa_user_sgpr_private_segment_size 0
		.amdhsa_uses_dynamic_stack 0
		.amdhsa_system_sgpr_private_segment_wavefront_offset 0
		.amdhsa_system_sgpr_workgroup_id_x 1
		.amdhsa_system_sgpr_workgroup_id_y 1
		.amdhsa_system_sgpr_workgroup_id_z 1
		.amdhsa_system_sgpr_workgroup_info 0
		.amdhsa_system_vgpr_workitem_id 0
		.amdhsa_next_free_vgpr 51
		.amdhsa_next_free_sgpr 29
		.amdhsa_accum_offset 52
		.amdhsa_reserve_vcc 1
		.amdhsa_reserve_flat_scratch 0
		.amdhsa_float_round_mode_32 0
		.amdhsa_float_round_mode_16_64 0
		.amdhsa_float_denorm_mode_32 3
		.amdhsa_float_denorm_mode_16_64 3
		.amdhsa_dx10_clamp 1
		.amdhsa_ieee_mode 1
		.amdhsa_fp16_overflow 0
		.amdhsa_tg_split 0
		.amdhsa_exception_fp_ieee_invalid_op 0
		.amdhsa_exception_fp_denorm_src 0
		.amdhsa_exception_fp_ieee_div_zero 0
		.amdhsa_exception_fp_ieee_overflow 0
		.amdhsa_exception_fp_ieee_underflow 0
		.amdhsa_exception_fp_ieee_inexact 0
		.amdhsa_exception_int_div_zero 0
	.end_amdhsa_kernel
	.section	.text._ZL26flash_attn_combine_resultsILi80EEvPKfPK15HIP_vector_typeIfLj2EEPfi,"axG",@progbits,_ZL26flash_attn_combine_resultsILi80EEvPKfPK15HIP_vector_typeIfLj2EEPfi,comdat
.Lfunc_end13:
	.size	_ZL26flash_attn_combine_resultsILi80EEvPKfPK15HIP_vector_typeIfLj2EEPfi, .Lfunc_end13-_ZL26flash_attn_combine_resultsILi80EEvPKfPK15HIP_vector_typeIfLj2EEPfi
                                        ; -- End function
	.section	.AMDGPU.csdata,"",@progbits
; Kernel info:
; codeLenInByte = 3136
; NumSgprs: 33
; NumVgprs: 51
; NumAgprs: 0
; TotalNumVgprs: 51
; ScratchSize: 0
; MemoryBound: 0
; FloatMode: 240
; IeeeMode: 1
; LDSByteSize: 0 bytes/workgroup (compile time only)
; SGPRBlocks: 4
; VGPRBlocks: 6
; NumSGPRsForWavesPerEU: 33
; NumVGPRsForWavesPerEU: 51
; AccumOffset: 52
; Occupancy: 8
; WaveLimiterHint : 1
; COMPUTE_PGM_RSRC2:SCRATCH_EN: 0
; COMPUTE_PGM_RSRC2:USER_SGPR: 6
; COMPUTE_PGM_RSRC2:TRAP_HANDLER: 0
; COMPUTE_PGM_RSRC2:TGID_X_EN: 1
; COMPUTE_PGM_RSRC2:TGID_Y_EN: 1
; COMPUTE_PGM_RSRC2:TGID_Z_EN: 1
; COMPUTE_PGM_RSRC2:TIDIG_COMP_CNT: 0
; COMPUTE_PGM_RSRC3_GFX90A:ACCUM_OFFSET: 12
; COMPUTE_PGM_RSRC3_GFX90A:TG_SPLIT: 0
	.section	.text._ZL18flash_attn_ext_f16ILi96ELi96ELi16ELi1ELb0ELb0EEvPKcS1_S1_S1_S1_PKiPfP15HIP_vector_typeIfLj2EEffffjfiS5_IjLj3EEiiiiiiiiiiiliiliiiiil,"axG",@progbits,_ZL18flash_attn_ext_f16ILi96ELi96ELi16ELi1ELb0ELb0EEvPKcS1_S1_S1_S1_PKiPfP15HIP_vector_typeIfLj2EEffffjfiS5_IjLj3EEiiiiiiiiiiiliiliiiiil,comdat
	.globl	_ZL18flash_attn_ext_f16ILi96ELi96ELi16ELi1ELb0ELb0EEvPKcS1_S1_S1_S1_PKiPfP15HIP_vector_typeIfLj2EEffffjfiS5_IjLj3EEiiiiiiiiiiiliiliiiiil ; -- Begin function _ZL18flash_attn_ext_f16ILi96ELi96ELi16ELi1ELb0ELb0EEvPKcS1_S1_S1_S1_PKiPfP15HIP_vector_typeIfLj2EEffffjfiS5_IjLj3EEiiiiiiiiiiiliiliiiiil
	.p2align	8
	.type	_ZL18flash_attn_ext_f16ILi96ELi96ELi16ELi1ELb0ELb0EEvPKcS1_S1_S1_S1_PKiPfP15HIP_vector_typeIfLj2EEffffjfiS5_IjLj3EEiiiiiiiiiiiliiliiiiil,@function
_ZL18flash_attn_ext_f16ILi96ELi96ELi16ELi1ELb0ELb0EEvPKcS1_S1_S1_S1_PKiPfP15HIP_vector_typeIfLj2EEffffjfiS5_IjLj3EEiiiiiiiiiiiliiliiiiil: ; @_ZL18flash_attn_ext_f16ILi96ELi96ELi16ELi1ELb0ELb0EEvPKcS1_S1_S1_S1_PKiPfP15HIP_vector_typeIfLj2EEffffjfiS5_IjLj3EEiiiiiiiiiiiliiliiiiil
; %bb.0:
	s_load_dwordx2 s[14:15], s[4:5], 0x80
	s_load_dwordx4 s[76:79], s[4:5], 0x64
	s_add_u32 flat_scratch_lo, s6, s9
	s_addc_u32 flat_scratch_hi, s7, 0
	s_add_u32 s0, s0, s9
	s_addc_u32 s1, s1, 0
	s_waitcnt lgkmcnt(0)
	s_abs_i32 s6, s15
	v_cvt_f32_u32_e32 v1, s6
	s_sub_i32 s10, 0, s6
	s_abs_i32 s9, s77
	s_xor_b32 s7, s77, s15
	v_rcp_iflag_f32_e32 v1, v1
	s_ashr_i32 s7, s7, 31
                                        ; implicit-def: $vgpr179 : SGPR spill to VGPR lane
	s_load_dword s60, s[4:5], 0xd0
	s_mov_b32 s61, s8
	v_mul_f32_e32 v1, 0x4f7ffffe, v1
	v_cvt_u32_f32_e32 v1, v1
	s_mov_b32 s8, 0
	s_waitcnt lgkmcnt(0)
	v_cvt_f32_u32_e32 v2, s60
	v_cvt_f32_ubyte0_e32 v3, 0
	v_readfirstlane_b32 s11, v1
	s_mul_i32 s10, s10, s11
	s_mul_hi_u32 s10, s11, s10
	s_add_i32 s11, s11, s10
	s_mul_hi_u32 s10, s9, s11
	s_mul_i32 s11, s10, s6
	s_sub_i32 s9, s9, s11
	s_add_i32 s12, s10, 1
	s_sub_i32 s11, s9, s6
	s_cmp_ge_u32 s9, s6
	s_cselect_b32 s10, s12, s10
	s_cselect_b32 s9, s11, s9
	s_add_i32 s11, s10, 1
	s_cmp_ge_u32 s9, s6
	s_cselect_b32 s6, s11, s10
	s_add_i32 s9, s14, 63
	s_xor_b32 s6, s6, s7
	s_ashr_i32 s10, s9, 31
	s_sub_i32 s7, s6, s7
	s_lshr_b32 s6, s10, 26
	s_add_i32 s9, s9, s6
	s_add_i32 s6, s76, 15
	s_lshr_b32 s6, s6, 4
	s_ashr_i32 s9, s9, 6
	v_writelane_b32 v179, s6, 0
	v_writelane_b32 v179, s9, 1
	s_mul_i32 s6, s6, s9
	v_writelane_b32 v179, s7, 2
	v_writelane_b32 v179, s6, 3
	s_mul_i32 s7, s6, s7
	s_mov_b32 s6, s14
	v_writelane_b32 v179, s6, 4
	v_writelane_b32 v179, s7, 5
	s_mul_i32 s6, s7, s15
	s_mul_i32 s10, s6, s78
	v_writelane_b32 v179, s7, 6
	s_ashr_i32 s11, s10, 31
	v_writelane_b32 v179, s6, 7
	s_mul_i32 s6, s11, s61
	s_mul_hi_u32 s7, s10, s61
	s_add_i32 s9, s7, s6
	s_mul_i32 s12, s10, s61
	s_cmp_lg_u64 s[8:9], 0
	s_cbranch_scc0 .LBB14_2
; %bb.1:
	v_madmk_f32 v1, v3, 0x4f800000, v2
	v_rcp_f32_e32 v1, v1
	s_sub_u32 s8, 0, s60
	s_subb_u32 s13, 0, 0
	s_mov_b64 s[6:7], 0
	v_mul_f32_e32 v1, 0x5f7ffffc, v1
	v_mul_f32_e32 v4, 0x2f800000, v1
	v_trunc_f32_e32 v4, v4
	v_madmk_f32 v1, v4, 0xcf800000, v1
	v_cvt_u32_f32_e32 v4, v4
	v_cvt_u32_f32_e32 v1, v1
	v_readfirstlane_b32 s14, v4
	v_readfirstlane_b32 s15, v1
	s_mul_hi_u32 s17, s8, s15
	s_mul_i32 s18, s8, s14
	s_mul_i32 s16, s13, s15
	s_add_i32 s17, s17, s18
	s_add_i32 s17, s17, s16
	s_mul_i32 s19, s8, s15
	s_mul_hi_u32 s16, s15, s17
	s_mul_i32 s18, s15, s17
	s_mul_hi_u32 s15, s15, s19
	s_add_u32 s15, s15, s18
	s_addc_u32 s16, 0, s16
	s_mul_hi_u32 s20, s14, s19
	s_mul_i32 s19, s14, s19
	s_add_u32 s15, s15, s19
	s_mul_hi_u32 s18, s14, s17
	s_addc_u32 s15, s16, s20
	s_addc_u32 s16, s18, 0
	s_mul_i32 s17, s14, s17
	s_add_u32 s15, s15, s17
	s_addc_u32 s16, 0, s16
	v_add_co_u32_e32 v1, vcc, s15, v1
	s_cmp_lg_u64 vcc, 0
	s_addc_u32 s14, s14, s16
	v_readfirstlane_b32 s16, v1
	s_mul_i32 s15, s8, s14
	s_mul_hi_u32 s17, s8, s16
	s_add_i32 s15, s17, s15
	s_mul_i32 s13, s13, s16
	s_add_i32 s15, s15, s13
	s_mul_i32 s8, s8, s16
	s_mul_hi_u32 s17, s14, s8
	s_mul_i32 s18, s14, s8
	s_mul_i32 s20, s16, s15
	s_mul_hi_u32 s8, s16, s8
	s_mul_hi_u32 s19, s16, s15
	s_add_u32 s8, s8, s20
	s_addc_u32 s16, 0, s19
	s_add_u32 s8, s8, s18
	s_mul_hi_u32 s13, s14, s15
	s_addc_u32 s8, s16, s17
	s_addc_u32 s13, s13, 0
	s_mul_i32 s15, s14, s15
	s_add_u32 s8, s8, s15
	s_addc_u32 s13, 0, s13
	v_add_co_u32_e32 v1, vcc, s8, v1
	s_cmp_lg_u64 vcc, 0
	s_addc_u32 s13, s14, s13
	s_ashr_i32 s14, s9, 31
	s_add_u32 s8, s12, s14
	s_mov_b32 s15, s14
	s_addc_u32 s9, s9, s14
	s_xor_b64 s[8:9], s[8:9], s[14:15]
	v_readfirstlane_b32 s18, v1
	s_mul_i32 s17, s8, s13
	s_mul_hi_u32 s19, s8, s18
	s_mul_hi_u32 s16, s8, s13
	s_add_u32 s17, s19, s17
	s_addc_u32 s16, 0, s16
	s_mul_hi_u32 s20, s9, s18
	s_mul_i32 s18, s9, s18
	s_add_u32 s17, s17, s18
	s_mul_hi_u32 s19, s9, s13
	s_addc_u32 s16, s16, s20
	s_addc_u32 s17, s19, 0
	s_mul_i32 s13, s9, s13
	s_add_u32 s13, s16, s13
	s_addc_u32 s16, 0, s17
	s_add_u32 s17, s13, 1
	s_addc_u32 s18, s16, 0
	s_add_u32 s19, s13, 2
	s_mul_i32 s21, s60, s16
	s_mul_hi_u32 s22, s60, s13
	s_addc_u32 s20, s16, 0
	s_add_i32 s22, s22, s21
	s_mul_i32 s21, s60, s13
	v_mov_b32_e32 v1, s21
	v_sub_co_u32_e32 v1, vcc, s8, v1
	s_cmp_lg_u64 vcc, 0
	s_subb_u32 s8, s9, s22
	v_subrev_co_u32_e32 v4, vcc, s60, v1
	s_cmp_lg_u64 vcc, 0
	s_subb_u32 s9, s8, 0
	v_readfirstlane_b32 s21, v4
	s_cmp_ge_u32 s21, s60
	s_cselect_b32 s21, -1, 0
	s_cmp_eq_u32 s9, 0
	s_cselect_b32 s9, s21, -1
	s_cmp_lg_u32 s9, 0
	s_cselect_b32 s9, s20, s18
	v_readfirstlane_b32 s18, v1
	s_cselect_b32 s17, s19, s17
	s_cmp_ge_u32 s18, s60
	s_cselect_b32 s18, -1, 0
	s_cmp_eq_u32 s8, 0
	s_cselect_b32 s8, s18, -1
	s_cmp_lg_u32 s8, 0
	s_cselect_b32 s9, s9, s16
	s_cselect_b32 s8, s17, s13
	s_xor_b64 s[8:9], s[8:9], s[14:15]
	s_sub_u32 s94, s8, s14
	s_branch .LBB14_3
.LBB14_2:
	s_mov_b64 s[6:7], -1
                                        ; implicit-def: $sgpr94_sgpr95
.LBB14_3:
	s_load_dwordx2 s[8:9], s[4:5], 0x74
	v_cvt_f32_u32_e32 v1, s60
	s_andn2_b64 vcc, exec, s[6:7]
	s_waitcnt lgkmcnt(0)
	v_writelane_b32 v179, s8, 8
	v_writelane_b32 v179, s9, 9
	s_cbranch_vccnz .LBB14_5
; %bb.4:
	v_rcp_iflag_f32_e32 v4, v1
	s_sub_i32 s6, 0, s60
	v_mul_f32_e32 v4, 0x4f7ffffe, v4
	v_cvt_u32_f32_e32 v4, v4
	v_readfirstlane_b32 s7, v4
	s_mul_i32 s6, s6, s7
	s_mul_hi_u32 s6, s7, s6
	s_add_i32 s7, s7, s6
	s_mul_hi_u32 s6, s12, s7
	s_mul_i32 s8, s6, s60
	s_sub_i32 s8, s12, s8
	s_add_i32 s7, s6, 1
	s_sub_i32 s9, s8, s60
	s_cmp_ge_u32 s8, s60
	s_cselect_b32 s6, s7, s6
	s_cselect_b32 s8, s9, s8
	s_add_i32 s7, s6, 1
	s_cmp_ge_u32 s8, s60
	s_cselect_b32 s94, s7, s6
.LBB14_5:
	s_add_i32 s6, s61, 1
	s_mul_i32 s7, s11, s6
	s_mul_hi_u32 s8, s10, s6
	s_add_i32 s9, s8, s7
	s_mov_b32 s8, 0
	s_cmp_lg_u64 s[8:9], 0
	s_mul_i32 s8, s10, s6
	s_cbranch_scc0 .LBB14_7
; %bb.6:
	v_madmk_f32 v2, v3, 0x4f800000, v2
	v_rcp_f32_e32 v2, v2
	s_sub_u32 s10, 0, s60
	s_subb_u32 s11, 0, 0
	s_mov_b64 s[6:7], 0
	v_mul_f32_e32 v2, 0x5f7ffffc, v2
	v_mul_f32_e32 v3, 0x2f800000, v2
	v_trunc_f32_e32 v3, v3
	v_madmk_f32 v2, v3, 0xcf800000, v2
	v_cvt_u32_f32_e32 v3, v3
	v_cvt_u32_f32_e32 v2, v2
	v_readfirstlane_b32 s12, v3
	v_readfirstlane_b32 s13, v2
	s_mul_hi_u32 s15, s10, s13
	s_mul_i32 s16, s10, s12
	s_mul_i32 s14, s11, s13
	s_add_i32 s15, s15, s16
	s_add_i32 s15, s15, s14
	s_mul_i32 s17, s10, s13
	s_mul_hi_u32 s14, s13, s15
	s_mul_i32 s16, s13, s15
	s_mul_hi_u32 s13, s13, s17
	s_add_u32 s13, s13, s16
	s_addc_u32 s14, 0, s14
	s_mul_hi_u32 s18, s12, s17
	s_mul_i32 s17, s12, s17
	s_add_u32 s13, s13, s17
	s_mul_hi_u32 s16, s12, s15
	s_addc_u32 s13, s14, s18
	s_addc_u32 s14, s16, 0
	s_mul_i32 s15, s12, s15
	s_add_u32 s13, s13, s15
	s_addc_u32 s14, 0, s14
	v_add_co_u32_e32 v2, vcc, s13, v2
	s_cmp_lg_u64 vcc, 0
	s_addc_u32 s12, s12, s14
	v_readfirstlane_b32 s14, v2
	s_mul_i32 s13, s10, s12
	s_mul_hi_u32 s15, s10, s14
	s_add_i32 s13, s15, s13
	s_mul_i32 s11, s11, s14
	s_add_i32 s13, s13, s11
	s_mul_i32 s10, s10, s14
	s_mul_hi_u32 s15, s12, s10
	s_mul_i32 s16, s12, s10
	s_mul_i32 s18, s14, s13
	s_mul_hi_u32 s10, s14, s10
	s_mul_hi_u32 s17, s14, s13
	s_add_u32 s10, s10, s18
	s_addc_u32 s14, 0, s17
	s_add_u32 s10, s10, s16
	s_mul_hi_u32 s11, s12, s13
	s_addc_u32 s10, s14, s15
	s_addc_u32 s11, s11, 0
	s_mul_i32 s13, s12, s13
	s_add_u32 s10, s10, s13
	s_addc_u32 s11, 0, s11
	v_add_co_u32_e32 v2, vcc, s10, v2
	s_cmp_lg_u64 vcc, 0
	s_addc_u32 s14, s12, s11
	s_ashr_i32 s10, s9, 31
	s_add_u32 s12, s8, s10
	s_mov_b32 s11, s10
	s_addc_u32 s13, s9, s10
	s_xor_b64 s[12:13], s[12:13], s[10:11]
	v_readfirstlane_b32 s16, v2
	s_mul_i32 s15, s12, s14
	s_mul_hi_u32 s17, s12, s16
	s_mul_hi_u32 s9, s12, s14
	s_add_u32 s15, s17, s15
	s_addc_u32 s9, 0, s9
	s_mul_hi_u32 s18, s13, s16
	s_mul_i32 s16, s13, s16
	s_add_u32 s15, s15, s16
	s_mul_hi_u32 s17, s13, s14
	s_addc_u32 s9, s9, s18
	s_addc_u32 s15, s17, 0
	s_mul_i32 s14, s13, s14
	s_add_u32 s9, s9, s14
	s_addc_u32 s14, 0, s15
	s_add_u32 s15, s9, 1
	s_addc_u32 s16, s14, 0
	s_add_u32 s17, s9, 2
	s_mul_i32 s19, s60, s14
	s_mul_hi_u32 s20, s60, s9
	s_addc_u32 s18, s14, 0
	s_add_i32 s20, s20, s19
	s_mul_i32 s19, s60, s9
	v_mov_b32_e32 v2, s19
	v_sub_co_u32_e32 v2, vcc, s12, v2
	s_cmp_lg_u64 vcc, 0
	s_subb_u32 s12, s13, s20
	v_subrev_co_u32_e32 v3, vcc, s60, v2
	s_cmp_lg_u64 vcc, 0
	s_subb_u32 s13, s12, 0
	v_readfirstlane_b32 s19, v3
	s_cmp_ge_u32 s19, s60
	s_cselect_b32 s19, -1, 0
	s_cmp_eq_u32 s13, 0
	s_cselect_b32 s13, s19, -1
	s_cmp_lg_u32 s13, 0
	s_cselect_b32 s13, s18, s16
	v_readfirstlane_b32 s16, v2
	s_cselect_b32 s15, s17, s15
	s_cmp_ge_u32 s16, s60
	s_cselect_b32 s16, -1, 0
	s_cmp_eq_u32 s12, 0
	s_cselect_b32 s12, s16, -1
	s_cmp_lg_u32 s12, 0
	s_cselect_b32 s13, s13, s14
	s_cselect_b32 s12, s15, s9
	s_xor_b64 s[12:13], s[12:13], s[10:11]
	s_sub_u32 s10, s12, s10
	v_writelane_b32 v179, s10, 12
	v_writelane_b32 v179, s11, 13
	s_branch .LBB14_8
.LBB14_7:
	s_mov_b64 s[6:7], -1
                                        ; implicit-def: $sgpr10_sgpr11
                                        ; kill: killed $sgpr10_sgpr11
.LBB14_8:
	s_load_dwordx2 s[10:11], s[4:5], 0x5c
	s_andn2_b64 vcc, exec, s[6:7]
	s_waitcnt lgkmcnt(0)
	v_writelane_b32 v179, s10, 10
	v_writelane_b32 v179, s11, 11
	s_cbranch_vccnz .LBB14_10
; %bb.9:
	v_rcp_iflag_f32_e32 v1, v1
	s_sub_i32 s6, 0, s60
	v_mul_f32_e32 v1, 0x4f7ffffe, v1
	v_cvt_u32_f32_e32 v1, v1
	v_readfirstlane_b32 s7, v1
	s_mul_i32 s6, s6, s7
	s_mul_hi_u32 s6, s7, s6
	s_add_i32 s7, s7, s6
	s_mul_hi_u32 s6, s8, s7
	s_mul_i32 s9, s6, s60
	s_sub_i32 s8, s8, s9
	s_add_i32 s7, s6, 1
	s_sub_i32 s9, s8, s60
	s_cmp_ge_u32 s8, s60
	s_cselect_b32 s6, s7, s6
	s_cselect_b32 s8, s9, s8
	s_add_i32 s7, s6, 1
	s_cmp_ge_u32 s8, s60
	s_cselect_b32 s6, s7, s6
	v_writelane_b32 v179, s6, 12
	v_writelane_b32 v179, s7, 13
.LBB14_10:
	s_load_dwordx16 s[40:55], s[4:5], 0x0
	s_load_dwordx4 s[20:23], s[4:5], 0x40
	s_load_dword s6, s[4:5], 0x50
	v_bfe_u32 v45, v0, 10, 10
	s_mov_b32 s91, 0
	v_lshlrev_b32_e32 v61, 2, v45
	v_lshlrev_b32_e32 v59, 4, v45
	s_waitcnt lgkmcnt(0)
	v_writelane_b32 v179, s6, 14
	s_load_dwordx2 s[6:7], s[4:5], 0x8c
	s_load_dwordx4 s[8:11], s[4:5], 0x98
	s_load_dwordx2 s[12:13], s[4:5], 0xa8
	s_load_dwordx2 s[24:25], s[4:5], 0xb8
	s_nop 0
	s_load_dwordx2 s[4:5], s[4:5], 0xc8
	v_and_b32_e32 v63, 3, v45
	s_waitcnt lgkmcnt(0)
	s_ashr_i32 s70, s6, 2
	s_ashr_i32 s58, s10, 2
	v_writelane_b32 v179, s12, 15
	v_writelane_b32 v179, s13, 16
	;; [unrolled: 1-line block ×4, first 2 shown]
	v_readlane_b32 s12, v179, 1
	s_abs_i32 s89, s12
	v_cvt_f32_u32_e32 v1, s89
	s_ashr_i32 s4, s79, 3
	v_writelane_b32 v179, s4, 19
	s_mov_b32 s5, s7
	v_rcp_iflag_f32_e32 v1, v1
	v_writelane_b32 v179, s4, 20
	v_writelane_b32 v179, s5, 21
	s_mov_b64 s[4:5], s[8:9]
	v_mul_f32_e32 v1, 0x4f7ffffe, v1
	s_mov_b32 s7, s11
	v_cvt_u32_f32_e32 v1, v1
	v_writelane_b32 v179, s4, 22
	v_writelane_b32 v179, s5, 23
	v_writelane_b32 v179, s6, 24
	v_writelane_b32 v179, s7, 25
	s_sub_i32 s6, 0, s89
	v_readfirstlane_b32 s7, v1
	s_mul_i32 s6, s6, s7
	s_ashr_i32 s5, s12, 31
	s_mul_hi_u32 s6, s7, s6
	v_writelane_b32 v179, s5, 26
	s_abs_i32 s5, s94
	s_add_i32 s33, s7, s6
	s_mul_hi_u32 s6, s5, s33
	s_mul_i32 s6, s6, s89
	s_sub_i32 s5, s5, s6
	s_ashr_i32 s64, s25, 1
	s_ashr_i32 s4, s94, 31
	s_sub_i32 s6, s5, s89
	s_cmp_ge_u32 s5, s89
	s_cselect_b32 s5, s6, s5
	s_sub_i32 s6, s5, s89
	s_cmp_ge_u32 s5, s89
	s_cselect_b32 s5, s6, s5
	s_xor_b32 s5, s5, s4
	s_sub_i32 s38, s5, s4
	v_readlane_b32 s4, v179, 12
	s_mov_b32 s8, s4
	s_sub_i32 s4, s4, s94
	s_add_i32 s6, s4, s38
	s_min_i32 s93, s12, s6
	s_cmp_gt_i32 s8, s94
	v_readlane_b32 s5, v179, 13
	s_cselect_b64 s[26:27], -1, 0
	s_cmp_le_i32 s8, s94
	v_cvt_f16_f32_e32 v1, s20
	s_cselect_b64 s[4:5], -1, 0
	s_cmp_gt_i32 s12, s6
	s_cselect_b64 s[6:7], -1, 0
	s_or_b64 s[4:5], s[6:7], s[4:5]
	s_and_b64 vcc, exec, s[4:5]
	v_pack_b32_f16 v35, v1, v1
	s_cbranch_vccz .LBB14_13
; %bb.11:
	s_andn2_b64 vcc, exec, s[26:27]
	s_cbranch_vccz .LBB14_210
.LBB14_12:
	s_endpgm
.LBB14_13:
	s_cmp_lg_u64 s[46:47], 0
	v_writelane_b32 v179, s60, 27
	s_cselect_b64 s[4:5], -1, 0
	v_writelane_b32 v179, s4, 28
	s_cmp_eq_u64 s[48:49], 0
	v_writelane_b32 v179, s5, 29
	s_cselect_b64 s[4:5], -1, 0
	v_writelane_b32 v179, s4, 30
	s_cmp_lg_u64 s[50:51], 0
	v_writelane_b32 v179, s5, 31
	s_cselect_b64 s[4:5], -1, 0
	v_and_b32_e32 v18, 0x3ff, v0
	v_writelane_b32 v179, s4, 32
	v_lshrrev_b32_e32 v6, 3, v18
	v_writelane_b32 v179, s5, 33
	v_and_b32_e32 v20, 15, v18
	v_and_b32_e32 v2, 0x3f0, v61
	s_movk_i32 s4, 0xd0
	v_and_b32_e32 v7, 30, v6
	v_lshrrev_b32_e32 v9, 2, v18
	v_lshlrev_b32_e32 v10, 2, v18
	v_mad_u32_u24 v3, v2, s4, 0
	v_mul_u32_u24_e32 v5, 0xd0, v20
	v_lshlrev_b32_e32 v8, 2, v7
	v_add_u32_e32 v67, v59, v9
	v_and_b32_e32 v22, 12, v10
	v_add3_u32 v65, v3, v5, v8
	v_mad_u32_u24 v3, v67, s4, 0
	v_lshlrev_b32_e32 v11, 2, v22
	s_movk_i32 s92, 0x80
	v_lshl_add_u32 v70, v45, 3, v6
	v_and_b32_e32 v24, 28, v10
	v_add3_u32 v69, v3, v11, s92
	v_mul_u32_u24_e32 v3, 0xd0, v70
	v_lshlrev_b32_e32 v6, 2, v24
	v_add3_u32 v71, 0, v3, v6
	v_and_b32_e32 v3, 48, v59
	v_mad_u32_u24 v6, v3, s4, 0
	v_add3_u32 v72, v6, v5, v8
	v_and_b32_e32 v5, 60, v9
	v_mul_u32_u24_e32 v8, 0x68, v5
	v_or_b32_e32 v8, v8, v20
	v_add_u32_e32 v73, v3, v5
	v_add_u16_e32 v3, v3, v5
	v_mul_u32_u24_e32 v5, 0xd0, v5
	v_lshl_add_u32 v75, v8, 1, v6
	v_lshlrev_b32_e32 v8, 1, v20
	s_lshl_b32 s90, s61, 4
	s_ashr_i32 s65, s64, 31
	s_ashr_i32 s71, s70, 31
	;; [unrolled: 1-line block ×3, first 2 shown]
	v_add3_u32 v76, v6, v5, v8
	s_lshl_b64 s[4:5], s[90:91], 3
	v_or_b32_e32 v5, v61, v18
	s_add_u32 s4, s54, s4
	v_lshlrev_b32_e32 v5, 3, v5
	v_or_b32_e32 v9, 3, v9
	v_add_co_u32_e32 v26, vcc, s4, v5
	v_or_b32_e32 v5, v59, v20
	v_lshrrev_b32_e32 v1, 5, v18
	v_mul_u32_u24_e32 v9, 0xd0, v9
	s_addc_u32 s5, s55, s5
	v_mad_u32_u24 v10, v5, 52, v7
	v_lshrrev_b32_e32 v5, 1, v45
	v_add3_u32 v77, v6, v9, v8
	v_mov_b32_e32 v6, s5
	v_add_u32_e32 v78, v1, v5
	v_addc_co_u32_e32 v27, vcc, 0, v6, vcc
	v_lshlrev_b32_e32 v5, 2, v78
	v_and_b32_e32 v6, 15, v78
	s_movk_i32 s4, 0x3c0
	v_add_u32_e32 v80, 2, v78
	v_and_or_b32 v11, v5, s4, v6
	v_lshlrev_b32_e32 v5, 2, v80
	v_and_b32_e32 v6, 15, v80
	s_movk_i32 s4, 0x7c0
	v_add_u32_e32 v81, 4, v78
	v_and_or_b32 v12, v5, s4, v6
	v_lshlrev_b32_e32 v5, 2, v81
	v_and_b32_e32 v6, 15, v81
	v_add_u32_e32 v82, 6, v78
	v_and_or_b32 v13, v5, s4, v6
	v_lshlrev_b32_e32 v5, 2, v82
	v_and_b32_e32 v6, 15, v82
	;; [unrolled: 4-line block ×4, first 2 shown]
	v_add_u32_e32 v85, 12, v78
	v_lshrrev_b32_e32 v4, 4, v18
	v_and_or_b32 v16, v5, s4, v6
	v_lshlrev_b32_e32 v5, 2, v85
	v_and_b32_e32 v6, 15, v85
	v_add_u32_e32 v86, 14, v78
	v_writelane_b32 v179, s61, 34
	v_add_u32_e32 v79, v4, v45
	v_and_or_b32 v17, v5, s4, v6
	v_lshlrev_b32_e32 v5, 2, v86
	v_and_b32_e32 v6, 15, v86
	v_and_or_b32 v19, v5, s4, v6
	v_lshlrev_b32_e32 v5, 2, v79
	v_and_b32_e32 v6, 15, v79
	v_add_u32_e32 v87, 4, v79
	v_readlane_b32 s16, v179, 7
	v_and_or_b32 v21, v5, s4, v6
	v_lshlrev_b32_e32 v5, 2, v87
	v_and_b32_e32 v6, 15, v87
	s_movk_i32 s4, 0xfc0
	v_add_u32_e32 v88, 8, v79
	s_abs_i32 s19, s16
	v_and_or_b32 v23, v5, s4, v6
	v_lshlrev_b32_e32 v5, 2, v88
	v_and_b32_e32 v6, 15, v88
	v_cvt_f32_u32_e32 v7, s19
	v_add_u32_e32 v89, 12, v79
	v_and_or_b32 v25, v5, s4, v6
	v_lshlrev_b32_e32 v5, 2, v89
	v_and_b32_e32 v8, 15, v89
	v_and_or_b32 v33, v5, s4, v8
	s_mov_b32 s4, s24
	v_readlane_b32 s18, v179, 6
	v_readlane_b32 s17, v179, 3
	v_writelane_b32 v179, s4, 35
	v_rcp_iflag_f32_e32 v6, v7
	s_abs_i32 s25, s18
	v_writelane_b32 v179, s5, 36
	s_mul_i32 s4, s76, s77
	v_cvt_f32_u32_e32 v7, s25
	v_writelane_b32 v179, s4, 37
	s_mov_b64 s[6:7], s[22:23]
	s_mov_b32 s5, s21
	v_writelane_b32 v179, s4, 38
	v_writelane_b32 v179, s5, 39
	v_mul_f32_e32 v5, 0x4f7ffffe, v6
	v_writelane_b32 v179, s6, 40
	v_rcp_iflag_f32_e32 v6, v7
	s_abs_i32 s96, s17
	v_cvt_u32_f32_e32 v5, v5
	v_writelane_b32 v179, s7, 41
	v_cmp_nle_f32_e64 s[4:5], s21, 0
	v_cvt_f32_u32_e32 v7, s96
	v_writelane_b32 v179, s4, 42
	v_writelane_b32 v179, s5, 43
	s_mul_i32 s21, s77, 48
	v_writelane_b32 v179, s21, 44
	s_ashr_i32 s16, s16, 31
	s_abs_i32 s20, s24
	v_mul_f32_e32 v6, 0x4f7ffffe, v6
	v_readfirstlane_b32 s8, v5
	v_writelane_b32 v179, s16, 45
	s_sub_i32 s16, 0, s19
	v_cvt_f32_u32_e32 v8, s20
	v_rcp_iflag_f32_e32 v7, v7
	v_cvt_u32_f32_e32 v6, v6
	s_mul_i32 s16, s16, s8
	s_mul_hi_u32 s16, s8, s16
	v_add_u32_e32 v91, v61, v4
	v_writelane_b32 v179, s19, 46
	s_add_i32 s8, s8, s16
	v_or_b32_e32 v2, v2, v20
	v_lshrrev_b16_e32 v3, 1, v3
	v_lshl_add_u32 v90, v45, 1, v1
	v_mad_u32_u24 v1, v91, 52, v20
	v_writelane_b32 v179, s8, 47
	s_ashr_i32 s8, s18, 31
	v_mul_u32_u24_e32 v2, 0x90, v2
	v_lshlrev_b32_e32 v3, 2, v3
	v_rcp_iflag_f32_e32 v8, v8
	v_mul_f32_e32 v7, 0x4f7ffffe, v7
	v_readfirstlane_b32 s9, v6
	v_lshl_add_u32 v92, v1, 2, 0
	v_mul_u32_u24_e32 v1, 0x90, v45
	v_lshlrev_b32_e32 v32, 1, v18
	v_writelane_b32 v179, s8, 48
	s_sub_i32 s8, 0, s25
	v_add3_u32 v74, 0, v2, v3
	v_mul_lo_u32 v2, s58, v67
	v_cvt_u32_f32_e32 v7, v7
	v_add3_u32 v93, 0, v1, v32
	v_add_u32_e32 v1, v59, v18
	v_and_b32_e32 v34, 31, v18
	s_mul_i32 s8, s8, s9
	v_ashrrev_i32_e32 v3, 31, v2
	v_and_b32_e32 v5, 3, v18
	v_mul_u32_u24_e32 v94, 0xd0, v1
	v_mad_u32_u24 v1, v90, 52, v34
	s_mul_hi_u32 s8, s9, s8
	v_lshlrev_b32_e32 v5, 4, v5
	v_lshlrev_b64 v[28:29], 2, v[2:3]
	v_lshl_add_u32 v96, v1, 2, 0
	v_mad_u32_u24 v1, v11, 52, v34
	v_writelane_b32 v179, s25, 49
	s_add_i32 s8, s9, s8
	v_mul_f32_e32 v8, 0x4f7ffffe, v8
	v_add_co_u32_e32 v2, vcc, v5, v28
	v_lshl_add_u32 v98, v1, 2, 0
	v_mad_u32_u24 v1, v12, 52, v34
	v_writelane_b32 v179, s8, 50
	s_ashr_i32 s8, s17, 31
	v_cvt_u32_f32_e32 v8, v8
	v_readfirstlane_b32 s14, v7
	v_addc_co_u32_e32 v3, vcc, 0, v29, vcc
	v_lshl_add_u32 v100, v1, 2, 0
	v_mad_u32_u24 v1, v13, 52, v34
	v_writelane_b32 v179, s8, 51
	s_sub_i32 s8, 0, s96
	v_mov_b32_e32 v6, s45
	v_add_co_u32_e32 v36, vcc, s44, v2
	v_mul_lo_u32 v2, s70, v67
	v_lshl_add_u32 v102, v1, 2, 0
	v_mad_u32_u24 v1, v14, 52, v34
	s_mul_i32 s8, s8, s14
	v_addc_co_u32_e32 v37, vcc, v3, v6, vcc
	v_ashrrev_i32_e32 v3, 31, v2
	v_lshl_add_u32 v104, v1, 2, 0
	v_mad_u32_u24 v1, v15, 52, v34
	s_mul_hi_u32 s8, s14, s8
	v_lshlrev_b64 v[30:31], 2, v[2:3]
	v_lshl_add_u32 v106, v1, 2, 0
	v_mad_u32_u24 v1, v16, 52, v34
	s_add_i32 s8, s14, s8
	v_readfirstlane_b32 s15, v8
	v_add_co_u32_e32 v2, vcc, v5, v30
	v_lshl_add_u32 v108, v1, 2, 0
	v_mad_u32_u24 v1, v17, 52, v34
	v_writelane_b32 v179, s8, 52
	s_sub_i32 s8, 0, s20
	v_addc_co_u32_e32 v3, vcc, 0, v31, vcc
	v_lshl_add_u32 v110, v1, 2, 0
	v_mad_u32_u24 v1, v19, 52, v34
	s_mul_i32 s8, s8, s15
	v_mov_b32_e32 v5, s43
	v_add_co_u32_e32 v40, vcc, s42, v2
	v_lshl_add_u32 v112, v1, 2, 0
	v_mad_u32_u24 v1, v21, 52, v20
	s_mul_hi_u32 s8, s15, s8
	v_addc_co_u32_e32 v41, vcc, v3, v5, vcc
	v_mul_lo_u32 v6, s58, v70
	v_lshl_add_u32 v114, v1, 2, 0
	v_mad_u32_u24 v1, v23, 52, v20
	v_writelane_b32 v179, s20, 53
	s_add_i32 s8, s15, s8
	v_ashrrev_i32_e32 v7, 31, v6
	v_lshl_add_u32 v116, v1, 2, 0
	v_mad_u32_u24 v1, v25, 52, v20
	v_writelane_b32 v179, s8, 54
	v_add_co_u32_e32 v121, vcc, s92, v36
	v_cmp_eq_u32_e64 s[8:9], 0, v63
	v_lshl_add_u32 v8, s58, 5, v6
	v_lshl_add_u32 v118, v1, 2, 0
	v_mad_u32_u24 v1, v33, 52, v20
	v_addc_co_u32_e32 v122, vcc, 0, v37, vcc
	v_lshlrev_b64 v[36:37], 2, v[6:7]
	v_writelane_b32 v179, s8, 55
	v_ashrrev_i32_e32 v9, 31, v8
	v_lshl_add_u32 v120, v1, 2, 0
	v_mov_b32_e32 v1, s45
	v_add_co_u32_e32 v123, vcc, s44, v36
	v_writelane_b32 v179, s9, 56
	v_cmp_ne_u32_e64 s[8:9], 0, v63
	v_addc_co_u32_e32 v124, vcc, v1, v37, vcc
	v_lshlrev_b64 v[38:39], 2, v[8:9]
	v_writelane_b32 v179, s8, 57
	v_add_co_u32_e32 v125, vcc, s44, v38
	v_writelane_b32 v179, s9, 58
	v_cmp_gt_u32_e64 s[8:9], 16, v18
	v_mul_lo_u32 v2, s70, v70
	v_addc_co_u32_e32 v126, vcc, v1, v39, vcc
	v_writelane_b32 v179, s8, 59
	v_ashrrev_i32_e32 v3, 31, v2
	v_add_co_u32_e32 v127, vcc, s92, v40
	v_writelane_b32 v179, s9, 60
	s_mov_b32 s8, s64
	v_lshl_add_u32 v4, s70, 5, v2
	v_addc_co_u32_e32 v128, vcc, 0, v41, vcc
	v_lshlrev_b64 v[40:41], 2, v[2:3]
	v_writelane_b32 v179, s8, 61
	v_ashrrev_i32_e32 v5, 31, v4
	v_mov_b32_e32 v1, s43
	v_add_co_u32_e32 v129, vcc, s42, v40
	v_writelane_b32 v179, s9, 62
	s_lshl_b64 s[8:9], s[64:65], 1
                                        ; implicit-def: $vgpr178 : SGPR spill to VGPR lane
	v_addc_co_u32_e32 v130, vcc, v1, v41, vcc
	v_lshlrev_b64 v[42:43], 2, v[4:5]
	v_writelane_b32 v179, s8, 63
	v_writelane_b32 v178, s9, 0
	v_add_co_u32_e32 v131, vcc, s42, v42
	v_writelane_b32 v178, s76, 1
	v_addc_co_u32_e32 v132, vcc, v1, v43, vcc
	v_mbcnt_lo_u32_b32 v1, -1, 0
	v_writelane_b32 v178, s77, 2
	s_mov_b64 s[66:67], src_private_base
	v_mbcnt_hi_u32_b32 v133, -1, v1
	v_and_b32_e32 v1, 7, v18
	v_writelane_b32 v178, s78, 3
	v_cmp_gt_u32_e64 s[4:5], 64, v18
	s_mov_b32 s66, 0
	v_cmp_gt_u32_e64 s[6:7], 64, v67
	v_cmp_gt_u32_e64 s[36:37], 64, v70
	;; [unrolled: 1-line block ×4, first 2 shown]
	v_lshl_add_u32 v95, v10, 2, 0
	v_mul_u32_u24_e32 v97, 0xd0, v11
	v_mul_u32_u24_e32 v99, 0xd0, v12
	;; [unrolled: 1-line block ×12, first 2 shown]
	s_mov_b32 s57, 0x42b17218
	s_mov_b32 s62, 0x3fb8aa3b
	;; [unrolled: 1-line block ×5, first 2 shown]
	v_mov_b32_e32 v134, 0
	v_add_u32_e32 v135, 4, v45
	v_add_u32_e32 v136, 0x240, v93
	;; [unrolled: 1-line block ×13, first 2 shown]
	v_or_b32_e32 v148, 1, v73
	v_or_b32_e32 v149, 2, v73
	;; [unrolled: 1-line block ×3, first 2 shown]
	v_add_u32_e32 v151, 8, v90
	v_lshlrev_b32_e32 v44, 4, v1
	v_mov_b32_e32 v152, 0x3ecccdef
	v_mov_b32_e32 v153, 0x37000000
	;; [unrolled: 1-line block ×4, first 2 shown]
	v_cmp_gt_u32_e64 s[14:15], 63, v73
	v_cmp_gt_u32_e64 s[16:17], 62, v73
	;; [unrolled: 1-line block ×3, first 2 shown]
	s_lshl_b64 s[8:9], s[58:59], 8
	s_lshl_b64 s[64:65], s[70:71], 8
	v_writelane_b32 v178, s79, 4
	v_writelane_b32 v178, s33, 5
	s_branch .LBB14_16
.LBB14_14:                              ;   in Loop: Header=BB14_16 Depth=1
	s_or_b64 exec, exec, s[26:27]
	s_barrier
.LBB14_15:                              ;   in Loop: Header=BB14_16 Depth=1
	v_readlane_b32 s24, v179, 1
	s_add_i32 s20, s94, s24
	s_abs_i32 s22, s20
	v_readlane_b32 s33, v178, 5
	s_mul_hi_u32 s23, s22, s33
	s_mul_i32 s23, s23, s89
	s_sub_i32 s22, s22, s23
	s_ashr_i32 s21, s20, 31
	s_sub_i32 s23, s22, s89
	s_cmp_ge_u32 s22, s89
	s_cselect_b32 s22, s23, s22
	s_sub_i32 s23, s22, s89
	s_cmp_ge_u32 s22, s89
	s_cselect_b32 s22, s23, s22
	s_xor_b32 s22, s22, s21
	s_sub_i32 s21, s21, s22
	s_add_i32 s94, s20, s21
	v_readlane_b32 s20, v179, 12
	s_mov_b32 s22, s20
	s_sub_i32 s20, s20, s94
	s_min_i32 s93, s24, s20
	s_cmp_gt_i32 s22, s94
	v_readlane_b32 s21, v179, 13
	s_cselect_b64 s[26:27], -1, 0
	s_cmp_le_i32 s24, s20
	s_cselect_b64 s[20:21], -1, 0
	s_and_b64 s[20:21], s[20:21], s[26:27]
	s_mov_b32 s38, 0
	s_and_b64 vcc, exec, s[20:21]
	s_cbranch_vccz .LBB14_209
.LBB14_16:                              ; =>This Loop Header: Depth=1
                                        ;     Child Loop BB14_134 Depth 2
                                        ;     Child Loop BB14_35 Depth 2
	s_ashr_i32 s20, s94, 31
	v_readlane_b32 s21, v179, 45
	s_xor_b32 s20, s20, s21
	s_abs_i32 s21, s94
	v_readlane_b32 s22, v179, 47
	s_mul_hi_u32 s22, s21, s22
	v_readlane_b32 s25, v179, 46
	s_mul_i32 s23, s22, s25
	s_sub_i32 s21, s21, s23
	s_add_i32 s23, s22, 1
	s_sub_i32 s24, s21, s25
	s_cmp_ge_u32 s21, s25
	s_cselect_b32 s22, s23, s22
	s_cselect_b32 s21, s24, s21
	s_add_i32 s23, s22, 1
	s_cmp_ge_u32 s21, s25
	s_cselect_b32 s21, s23, s22
	s_xor_b32 s21, s21, s20
	v_readlane_b32 s22, v179, 28
	s_sub_i32 s20, s21, s20
	v_readlane_b32 s23, v179, 29
	s_ashr_i32 s21, s20, 31
	s_andn2_b64 vcc, exec, s[22:23]
	s_mov_b64 s[68:69], 0
	s_cbranch_vccnz .LBB14_18
; %bb.17:                               ;   in Loop: Header=BB14_16 Depth=1
	s_abs_i32 s22, s20
	v_readlane_b32 s23, v179, 54
	s_mul_hi_u32 s23, s22, s23
	v_readlane_b32 s24, v179, 53
	s_mul_i32 s23, s23, s24
	s_sub_i32 s22, s22, s23
	s_sub_i32 s23, s22, s24
	s_cmp_ge_u32 s22, s24
	s_cselect_b32 s22, s23, s22
	s_sub_i32 s23, s22, s24
	s_cmp_ge_u32 s22, s24
	s_cselect_b32 s22, s23, s22
	s_xor_b32 s22, s22, s21
	v_readlane_b32 s26, v179, 17
	s_sub_i32 s22, s22, s21
	v_readlane_b32 s27, v179, 18
	s_ashr_i32 s23, s22, 31
	s_mul_i32 s24, s22, s27
	s_mul_hi_u32 s25, s22, s26
	s_add_i32 s24, s25, s24
	s_mul_i32 s23, s23, s26
	s_add_i32 s24, s24, s23
	s_mul_i32 s22, s22, s26
	s_add_u32 s68, s46, s22
	s_addc_u32 s69, s47, s24
.LBB14_18:                              ;   in Loop: Header=BB14_16 Depth=1
	v_readlane_b32 s22, v179, 7
	s_mul_i32 s22, s20, s22
	s_sub_i32 s23, s94, s22
	s_ashr_i32 s22, s23, 31
	v_readlane_b32 s24, v179, 48
	s_xor_b32 s22, s22, s24
	s_abs_i32 s24, s23
	v_readlane_b32 s25, v179, 50
	s_mul_hi_u32 s25, s24, s25
	v_readlane_b32 s28, v179, 49
	s_mul_i32 s26, s25, s28
	s_sub_i32 s24, s24, s26
	s_add_i32 s26, s25, 1
	s_sub_i32 s27, s24, s28
	s_cmp_ge_u32 s24, s28
	s_cselect_b32 s25, s26, s25
	s_cselect_b32 s24, s27, s24
	s_add_i32 s26, s25, 1
	s_cmp_ge_u32 s24, s28
	s_cselect_b32 s24, s26, s25
	s_xor_b32 s24, s24, s22
	s_sub_i32 s22, s24, s22
	v_readlane_b32 s24, v179, 6
	s_mul_i32 s24, s22, s24
	s_sub_i32 s23, s23, s24
	s_ashr_i32 s24, s23, 31
	v_readlane_b32 s25, v179, 51
	s_xor_b32 s24, s24, s25
	s_abs_i32 s25, s23
	v_readlane_b32 s26, v179, 52
	s_mul_hi_u32 s26, s25, s26
	s_mul_i32 s27, s26, s96
	s_sub_i32 s25, s25, s27
	s_add_i32 s27, s26, 1
	s_sub_i32 s28, s25, s96
	s_cmp_ge_u32 s25, s96
	s_cselect_b32 s26, s27, s26
	s_cselect_b32 s25, s28, s25
	s_add_i32 s27, s26, 1
	s_cmp_ge_u32 s25, s96
	s_cselect_b32 s25, s27, s26
	s_xor_b32 s25, s25, s24
	s_sub_i32 s24, s25, s24
	v_readlane_b32 s25, v179, 2
	v_readlane_b32 s26, v179, 42
	s_mul_i32 s25, s22, s25
	v_readlane_b32 s27, v179, 43
	s_add_i32 s34, s25, s24
	s_andn2_b64 vcc, exec, s[26:27]
	v_mov_b32_e32 v46, 1.0
	s_cbranch_vccnz .LBB14_20
; %bb.19:                               ;   in Loop: Header=BB14_16 Depth=1
	v_readlane_b32 s27, v179, 14
	s_sub_i32 s26, s34, s27
	s_lshl_b32 s26, s26, 1
	s_add_i32 s25, s34, 1
	s_or_b32 s28, s26, 1
	s_cmp_lt_u32 s34, s27
	v_readlane_b32 s72, v179, 38
	v_readlane_b32 s74, v179, 40
	;; [unrolled: 1-line block ×3, first 2 shown]
	s_cselect_b64 vcc, -1, 0
	s_mov_b64 s[30:31], s[74:75]
	s_and_b64 s[26:27], vcc, exec
	v_mov_b32_e32 v1, s31
	v_mov_b32_e32 v2, s30
	s_cselect_b32 s25, s25, s28
	v_cndmask_b32_e32 v19, v1, v2, vcc
	v_cvt_f32_i32_e32 v1, s25
	v_cmp_neq_f32_e32 vcc, 1.0, v19
	s_mov_b32 s25, 0x3f2aaaab
	s_mov_b32 s28, 0x7f800000
	v_cndmask_b32_e32 v21, 1.0, v1, vcc
	v_cmp_eq_f32_e32 vcc, 0, v21
	v_cndmask_b32_e64 v23, |v19|, 1.0, vcc
	v_frexp_mant_f32_e32 v1, v23
	v_cmp_gt_f32_e64 s[26:27], s25, v1
	v_cndmask_b32_e64 v2, 1.0, 2.0, s[26:27]
	v_mul_f32_e32 v1, v1, v2
	v_add_f32_e32 v2, 1.0, v1
	v_rcp_f32_e32 v10, v2
	v_add_f32_e32 v3, -1.0, v2
	v_sub_f32_e32 v5, v1, v3
	v_add_f32_e32 v3, -1.0, v1
	v_mul_f32_e32 v1, v3, v10
	v_mul_f32_e32 v4, v2, v1
	v_fma_f32 v6, v1, v2, -v4
	v_fmac_f32_e32 v6, v1, v5
	v_add_f32_e32 v2, v4, v6
	v_sub_f32_e32 v5, v3, v2
	v_pk_add_f32 v[8:9], v[2:3], v[4:5] neg_lo:[0,1] neg_hi:[0,1]
	v_mov_b32_e32 v7, v2
	v_pk_add_f32 v[2:3], v[8:9], v[6:7] neg_lo:[0,1] neg_hi:[0,1]
	v_add_f32_e32 v2, v2, v3
	v_add_f32_e32 v2, v5, v2
	v_mul_f32_e32 v3, v10, v2
	v_add_f32_e32 v2, v1, v3
	v_sub_f32_e32 v1, v2, v1
	v_sub_f32_e32 v1, v3, v1
	v_mul_f32_e32 v3, v2, v2
	v_fma_f32 v5, v2, v2, -v3
	v_add_f32_e32 v4, v1, v1
	v_fmac_f32_e32 v5, v2, v4
	v_add_f32_e32 v4, v3, v5
	v_mov_b32_e32 v6, 0x3e91f4c4
	v_fmac_f32_e32 v6, 0x3e76c4e1, v4
	v_fma_f32 v6, v4, v6, v152
	v_sub_f32_e32 v3, v4, v3
	v_sub_f32_e32 v12, v5, v3
	v_mul_f32_e32 v3, v4, v6
	v_fma_f32 v5, v4, v6, -v3
	v_fmac_f32_e32 v5, v12, v6
	v_add_f32_e32 v6, v3, v5
	v_add_f32_e32 v7, 0x3f2aaaaa, v6
	v_sub_f32_e32 v3, v6, v3
	v_sub_f32_e32 v3, v5, v3
	v_add_f32_e32 v5, 0xbf2aaaaa, v7
	v_add_f32_e32 v3, 0x31739010, v3
	v_sub_f32_e32 v5, v6, v5
	v_pk_mul_f32 v[8:9], v[2:3], v[4:5]
	v_fma_f32 v6, v4, v2, -v8
	v_pk_add_f32 v[10:11], v[2:3], v[4:5]
	v_fmac_f32_e32 v6, v4, v1
	v_mov_b32_e32 v9, v11
	v_fmac_f32_e32 v6, v12, v2
	v_pk_add_f32 v[4:5], v[8:9], v[6:7]
	v_sub_f32_e32 v3, v4, v8
	v_sub_f32_e32 v3, v6, v3
	;; [unrolled: 1-line block ×3, first 2 shown]
	v_add_f32_e32 v10, v11, v6
	v_mov_b32_e32 v6, v5
	v_pk_mul_f32 v[6:7], v[4:5], v[6:7]
	v_cvt_f64_f32_e32 v[8:9], v23
	v_frexp_exp_i32_f64_e32 v7, v[8:9]
	v_subbrev_co_u32_e64 v7, s[26:27], 0, v7, s[26:27]
	v_cvt_f32_i32_e32 v7, v7
	v_fma_f32 v8, v4, v5, -v6
	v_fmac_f32_e32 v8, v4, v10
	s_mov_b32 s25, 0x3f317218
	v_mul_f32_e32 v4, 0x3f317218, v7
	v_fmac_f32_e32 v8, v3, v5
	v_fma_f32 v10, v7, s25, -v4
	v_fmac_f32_e32 v10, 0xb102e308, v7
	v_ldexp_f32 v11, v2, 1
	v_add_f32_e32 v5, v6, v8
	v_pk_add_f32 v[2:3], v[4:5], v[10:11]
	v_mov_b32_e32 v12, v5
	v_mov_b32_e32 v13, v3
	;; [unrolled: 1-line block ×3, first 2 shown]
	v_pk_add_f32 v[6:7], v[12:13], v[6:7] neg_lo:[0,1] neg_hi:[0,1]
	v_mov_b32_e32 v9, v5
	v_ldexp_f32 v1, v1, 1
	v_pk_add_f32 v[6:7], v[8:9], v[6:7] neg_lo:[0,1] neg_hi:[0,1]
	v_add_f32_e32 v1, v1, v6
	v_add_f32_e32 v5, v1, v7
	v_pk_add_f32 v[6:7], v[2:3], v[4:5] neg_lo:[0,1] neg_hi:[0,1]
	v_pk_add_f32 v[8:9], v[2:3], v[4:5]
	v_mov_b32_e32 v12, v6
	v_mov_b32_e32 v13, v9
	;; [unrolled: 1-line block ×3, first 2 shown]
	v_pk_add_f32 v[12:13], v[10:11], v[12:13]
	v_mov_b32_e32 v4, v13
	v_pk_add_f32 v[14:15], v[4:5], v[2:3] neg_lo:[0,1] neg_hi:[0,1]
	v_mov_b32_e32 v1, v14
	v_mov_b32_e32 v12, v9
	;; [unrolled: 1-line block ×4, first 2 shown]
	v_pk_add_f32 v[6:7], v[10:11], v[6:7] neg_lo:[0,1] neg_hi:[0,1]
	v_pk_add_f32 v[16:17], v[8:9], v[0:1] neg_lo:[0,1] neg_hi:[0,1]
	;; [unrolled: 1-line block ×3, first 2 shown]
	v_mov_b32_e32 v10, v5
	v_pk_add_f32 v[2:3], v[10:11], v[2:3] neg_lo:[0,1] neg_hi:[0,1]
	v_mov_b32_e32 v16, v6
	v_pk_add_f32 v[8:9], v[16:17], v[2:3]
	v_mov_b32_e32 v10, v9
	v_pk_add_f32 v[10:11], v[8:9], v[10:11]
	v_pk_add_f32 v[4:5], v[4:5], v[10:11]
	v_mov_b32_e32 v7, v13
	v_mov_b32_e32 v9, v4
	v_pk_add_f32 v[12:13], v[8:9], v[6:7] neg_lo:[0,1] neg_hi:[0,1]
	v_mov_b32_e32 v3, v10
	v_sub_f32_e32 v1, v8, v12
	v_pk_add_f32 v[2:3], v[2:3], v[12:13] neg_lo:[0,1] neg_hi:[0,1]
	v_sub_f32_e32 v1, v6, v1
	v_add_f32_e32 v1, v2, v1
	v_add_f32_e32 v1, v1, v3
	;; [unrolled: 1-line block ×3, first 2 shown]
	v_sub_f32_e32 v3, v2, v4
	v_sub_f32_e32 v1, v1, v3
	v_mul_f32_e32 v3, v21, v2
	v_fma_f32 v2, v21, v2, -v3
	v_fmac_f32_e32 v2, v21, v1
	s_movk_i32 s25, 0x204
	v_add_f32_e32 v1, v3, v2
	v_cmp_class_f32_e64 s[26:27], v3, s25
	v_sub_f32_e32 v4, v1, v3
	v_cndmask_b32_e64 v1, v1, v3, s[26:27]
	v_cmp_eq_f32_e64 s[26:27], s57, v1
	v_cndmask_b32_e64 v3, 0, v153, s[26:27]
	v_sub_f32_e32 v2, v2, v4
	v_sub_f32_e32 v4, v1, v3
	v_mul_f32_e32 v5, 0x3fb8aa3b, v4
	v_fma_f32 v6, v4, s62, -v5
	v_rndne_f32_e32 v7, v5
	v_fmac_f32_e32 v6, 0x32a5705f, v4
	v_sub_f32_e32 v5, v5, v7
	v_add_f32_e32 v5, v5, v6
	v_exp_f32_e32 v5, v5
	v_cvt_i32_f32_e32 v6, v7
	v_cmp_neq_f32_e64 s[26:27], |v1|, s28
	v_cndmask_b32_e64 v1, 0, v2, s[26:27]
	v_cmp_ngt_f32_e64 s[26:27], s98, v4
	v_ldexp_f32 v2, v5, v6
	v_cndmask_b32_e64 v2, 0, v2, s[26:27]
	v_cmp_nlt_f32_e64 s[26:27], s57, v4
	v_add_f32_e32 v1, v3, v1
	v_cndmask_b32_e64 v2, v154, v2, s[26:27]
	v_fma_f32 v1, v2, v1, v2
	v_cmp_class_f32_e64 s[26:27], v2, s25
	v_trunc_f32_e32 v3, v21
	v_cndmask_b32_e64 v1, v1, v2, s[26:27]
	v_cndmask_b32_e64 v2, v19, 1.0, vcc
	v_cmp_eq_f32_e32 vcc, v3, v21
	v_mul_f32_e32 v3, 0.5, v21
	v_trunc_f32_e32 v4, v3
	v_cmp_neq_f32_e64 s[26:27], v4, v3
	s_and_b64 s[26:27], vcc, s[26:27]
	v_cndmask_b32_e64 v3, 1.0, v2, s[26:27]
	s_brev_b32 s25, -2
	v_bfi_b32 v1, s25, v1, v3
	v_cndmask_b32_e32 v3, v155, v1, vcc
	v_cmp_gt_f32_e32 vcc, 0, v2
	v_cndmask_b32_e32 v1, v1, v3, vcc
	v_cmp_eq_f32_e32 vcc, s28, v23
	v_cmp_eq_f32_e64 s[28:29], 0, v2
	v_cmp_gt_f32_e64 s[30:31], 0, v21
	s_xor_b64 s[30:31], s[30:31], s[28:29]
	v_cndmask_b32_e64 v3, v154, 0, s[30:31]
	v_cndmask_b32_e64 v4, 0, v2, s[26:27]
	v_bfi_b32 v3, s25, v3, v4
	s_or_b64 vcc, vcc, s[28:29]
	v_cndmask_b32_e32 v1, v1, v3, vcc
	v_cmp_o_f32_e32 vcc, v2, v2
	v_cndmask_b32_e32 v46, v155, v1, vcc
	v_readlane_b32 s73, v179, 39
.LBB14_20:                              ;   in Loop: Header=BB14_16 Depth=1
	v_readlane_b32 s25, v179, 3
	s_mul_i32 s24, s24, s25
	s_sub_i32 s23, s23, s24
	s_ashr_i32 s24, s23, 31
	v_readlane_b32 s25, v179, 26
	s_abs_i32 s23, s23
	s_xor_b32 s24, s24, s25
	s_mul_hi_u32 s25, s23, s33
	s_mul_i32 s26, s25, s89
	s_sub_i32 s23, s23, s26
	s_add_i32 s26, s25, 1
	s_sub_i32 s27, s23, s89
	s_cmp_ge_u32 s23, s89
	s_cselect_b32 s25, s26, s25
	s_cselect_b32 s23, s27, s23
	s_add_i32 s26, s25, 1
	s_cmp_ge_u32 s23, s89
	s_cselect_b32 s23, s26, s25
	v_readlane_b32 s26, v179, 32
	s_xor_b32 s23, s23, s24
	v_readlane_b32 s27, v179, 33
	s_andn2_b64 vcc, exec, s[26:27]
	s_sub_i32 s61, s23, s24
	s_cbranch_vccnz .LBB14_22
; %bb.21:                               ;   in Loop: Header=BB14_16 Depth=1
	v_readlane_b32 s23, v179, 0
	s_mul_i32 s23, s20, s23
	s_add_i32 s24, s61, s23
	s_ashr_i32 s25, s24, 31
	s_lshl_b64 s[24:25], s[24:25], 2
	s_add_u32 s24, s50, s24
	s_addc_u32 s25, s51, s25
	global_load_dword v1, v134, s[24:25]
	s_waitcnt vmcnt(0)
	v_readfirstlane_b32 s23, v1
	s_ashr_i32 s24, s23, 31
	s_lshr_b32 s24, s24, 26
	s_add_i32 s23, s23, s24
	s_ashr_i32 s23, s23, 6
	s_min_i32 s93, s93, s23
.LBB14_22:                              ;   in Loop: Header=BB14_16 Depth=1
	v_readlane_b32 s23, v179, 37
	s_mul_i32 s23, s23, s20
	s_add_i32 s23, s34, s23
	s_mul_i32 s90, s23, 48
	v_readlane_b32 s26, v179, 15
	s_lshl_b64 s[24:25], s[90:91], 3
	v_readlane_b32 s27, v179, 16
	s_add_u32 s39, s52, s24
	s_mul_i32 s23, s20, s27
	s_mul_hi_u32 s24, s20, s26
	s_addc_u32 s60, s53, s25
	s_add_i32 s23, s24, s23
	s_mul_i32 s24, s21, s26
	s_add_i32 s24, s23, s24
	s_mul_i32 s23, s20, s26
	v_readlane_b32 s28, v179, 22
	v_writelane_b32 v178, s23, 6
	s_add_u32 s23, s44, s23
	v_readlane_b32 s31, v179, 25
	v_writelane_b32 v178, s24, 7
	s_addc_u32 s26, s45, s24
	s_mul_i32 s24, s22, s31
	s_ashr_i32 s63, s24, 31
	s_add_u32 s33, s23, s24
	s_mov_b64 s[86:87], s[54:55]
	s_addc_u32 s56, s26, s63
	s_ashr_i32 s35, s34, 31
	s_mov_b64 s[80:81], s[48:49]
	s_lshl_b64 s[26:27], s[34:35], 2
	v_readlane_b32 s29, v179, 23
	s_add_u32 s23, s80, s26
	s_mov_b64 s[84:85], s[52:53]
	s_mov_b64 s[82:83], s[50:51]
	;; [unrolled: 1-line block ×7, first 2 shown]
	s_addc_u32 s28, s81, s27
	v_readlane_b32 s26, v179, 30
	v_readlane_b32 s27, v179, 31
	s_and_b64 s[26:27], s[26:27], exec
	s_cselect_b32 s25, 0, s28
	v_readlane_b32 s28, v179, 8
	v_readlane_b32 s29, v179, 9
	v_writelane_b32 v178, s24, 8
	s_cselect_b32 s24, 0, s23
	s_mul_i32 s23, s20, s29
	s_ashr_i32 s26, s23, 31
	s_add_u32 s23, s72, s23
	s_mul_i32 s27, s34, s28
	s_addc_u32 s26, s73, s26
	s_ashr_i32 s28, s27, 31
	s_add_u32 s90, s23, s27
	s_addc_u32 s88, s26, s28
	s_mul_i32 s23, s20, s41
	s_mul_hi_u32 s26, s20, s40
	s_add_i32 s23, s26, s23
	s_mul_i32 s21, s21, s40
	s_mul_i32 s20, s20, s40
	s_mov_b64 s[40:41], s[72:73]
	v_readlane_b32 s26, v179, 20
	s_add_i32 s95, s23, s21
	s_mov_b64 s[42:43], s[74:75]
	v_readlane_b32 s27, v179, 21
	s_mov_b64 s[44:45], s[76:77]
	s_mov_b64 s[46:47], s[78:79]
	;; [unrolled: 1-line block ×6, first 2 shown]
	s_mov_b32 s75, s20
	s_add_u32 s20, s42, s20
	s_mul_i32 s77, s22, s27
	s_addc_u32 s21, s43, s95
	s_ashr_i32 s72, s77, 31
	s_add_u32 s22, s20, s77
	s_addc_u32 s23, s21, s72
	s_cmp_lg_u32 s38, 0
	v_readlane_b32 s30, v179, 24
	s_cbranch_scc0 .LBB14_43
; %bb.23:                               ;   in Loop: Header=BB14_16 Depth=1
	s_lshl_b32 s20, s61, 4
	v_readlane_b32 s28, v178, 1
	v_add_u32_e32 v1, s20, v90
	s_mov_b32 s76, s28
	s_mov_b32 s80, s61
	v_cmp_le_i32_e32 vcc, s76, v1
	v_readlane_b32 s29, v178, 2
	v_readlane_b32 s30, v178, 3
	;; [unrolled: 1-line block ×3, first 2 shown]
	s_and_saveexec_b64 s[26:27], vcc
	s_xor_b64 s[26:27], exec, s[26:27]
	s_cbranch_execz .LBB14_25
; %bb.24:                               ;   in Loop: Header=BB14_16 Depth=1
	ds_write_b32 v96, v134
                                        ; implicit-def: $vgpr1
.LBB14_25:                              ;   in Loop: Header=BB14_16 Depth=1
	s_or_saveexec_b64 s[26:27], s[26:27]
	s_mov_b32 s73, s39
	s_mov_b32 s74, s60
	s_mov_b64 s[78:79], s[24:25]
	s_xor_b64 exec, exec, s[26:27]
	s_cbranch_execz .LBB14_27
; %bb.26:                               ;   in Loop: Header=BB14_16 Depth=1
	v_readlane_b32 s21, v179, 19
	v_mad_u64_u32 v[2:3], s[28:29], v1, s21, v[34:35]
	v_ashrrev_i32_e32 v3, 31, v2
	v_lshlrev_b64 v[2:3], 3, v[2:3]
	v_mov_b32_e32 v1, s88
	v_add_co_u32_e32 v2, vcc, s90, v2
	v_addc_co_u32_e32 v3, vcc, v1, v3, vcc
	global_load_dwordx2 v[2:3], v[2:3], off
	s_waitcnt vmcnt(0)
	v_cvt_f16_f32_e32 v1, v2
	v_cvt_f16_f32_e32 v2, v3
	v_pack_b32_f16 v1, v1, v2
	v_pk_mul_f16 v1, v35, v1
	ds_write_b32 v96, v1
.LBB14_27:                              ;   in Loop: Header=BB14_16 Depth=1
	s_or_b64 exec, exec, s[26:27]
	v_add_u32_e32 v1, s20, v151
	v_cmp_le_i32_e32 vcc, s76, v1
	s_and_saveexec_b64 s[26:27], vcc
	s_xor_b64 s[26:27], exec, s[26:27]
	s_cbranch_execz .LBB14_29
; %bb.28:                               ;   in Loop: Header=BB14_16 Depth=1
	ds_write_b32 v96, v134 offset:1664
                                        ; implicit-def: $vgpr1
.LBB14_29:                              ;   in Loop: Header=BB14_16 Depth=1
	s_andn2_saveexec_b64 s[26:27], s[26:27]
	s_cbranch_execz .LBB14_31
; %bb.30:                               ;   in Loop: Header=BB14_16 Depth=1
	v_readlane_b32 s21, v179, 19
	v_mad_u64_u32 v[2:3], s[28:29], v1, s21, v[34:35]
	v_ashrrev_i32_e32 v3, 31, v2
	v_lshlrev_b64 v[2:3], 3, v[2:3]
	v_mov_b32_e32 v1, s88
	v_add_co_u32_e32 v2, vcc, s90, v2
	v_addc_co_u32_e32 v3, vcc, v1, v3, vcc
	global_load_dwordx2 v[2:3], v[2:3], off
	s_waitcnt vmcnt(0)
	v_cvt_f16_f32_e32 v1, v2
	v_cvt_f16_f32_e32 v2, v3
	v_pack_b32_f16 v1, v1, v2
	v_pk_mul_f16 v1, v35, v1
	ds_write_b32 v96, v1 offset:1664
.LBB14_31:                              ;   in Loop: Header=BB14_16 Depth=1
	s_or_b64 exec, exec, s[26:27]
	v_add_u32_e32 v1, s20, v91
	v_cmp_gt_i32_e32 vcc, s76, v1
	v_mov_b32_e32 v160, 0
	v_mov_b32_e32 v2, 0
	s_and_saveexec_b64 s[26:27], vcc
	s_cbranch_execz .LBB14_33
; %bb.32:                               ;   in Loop: Header=BB14_16 Depth=1
	v_readlane_b32 s21, v179, 19
	v_mul_lo_u32 v1, v1, s21
	v_ashrrev_i32_e32 v3, 31, v1
	v_add_co_u32_e32 v2, vcc, v1, v20
	v_addc_co_u32_e32 v3, vcc, 0, v3, vcc
	v_lshlrev_b64 v[2:3], 3, v[2:3]
	v_mov_b32_e32 v1, s88
	v_add_co_u32_e32 v2, vcc, s90, v2
	v_addc_co_u32_e32 v3, vcc, v1, v3, vcc
	global_load_dwordx2 v[2:3], v[2:3], off offset:256
	s_waitcnt vmcnt(0)
	v_cvt_f16_f32_e32 v1, v2
	v_cvt_f16_f32_e32 v2, v3
	v_pack_b32_f16 v1, v1, v2
	v_pk_mul_f16 v2, v35, v1
.LBB14_33:                              ;   in Loop: Header=BB14_16 Depth=1
	s_or_b64 exec, exec, s[26:27]
	ds_write_b32 v92, v2 offset:128
	s_waitcnt lgkmcnt(0)
	s_barrier
	ds_read2_b64 v[10:13], v65 offset1:4
	ds_read2_b64 v[6:9], v65 offset0:8 offset1:12
	ds_read2_b64 v[2:5], v65 offset0:16 offset1:20
	s_add_i32 s21, s93, -1
	s_cmp_le_i32 s21, s38
	v_mov_b32_e32 v19, 0xfeffffff
	s_waitcnt lgkmcnt(0)
	s_barrier
	s_cbranch_scc1 .LBB14_44
; %bb.34:                               ;   in Loop: Header=BB14_16 Depth=1
	v_lshlrev_b32_e32 v1, 1, v18
	v_mov_b32_e32 v14, s69
	v_add_co_u32_e32 v21, vcc, s68, v1
	v_add_u32_e32 v1, s20, v45
	v_readlane_b32 s30, v179, 10
	v_addc_co_u32_e32 v23, vcc, 0, v14, vcc
	v_mul_hi_u32 v14, s30, v1
	v_readlane_b32 s31, v179, 11
	v_add_u32_e32 v14, v1, v14
	v_lshrrev_b32_e32 v14, s31, v14
	v_mul_lo_u32 v14, v14, s76
	v_readlane_b32 s26, v179, 61
	v_sub_u32_e32 v1, v1, v14
	v_readlane_b32 s27, v179, 62
	s_mov_b32 s34, s26
	v_mad_i64_i32 v[14:15], s[26:27], v1, s34, 0
	v_add_u32_e32 v1, s20, v135
	v_mul_hi_u32 v16, s30, v1
	v_add_u32_e32 v16, v1, v16
	v_lshrrev_b32_e32 v16, s31, v16
	v_mul_lo_u32 v16, v16, s76
	v_sub_u32_e32 v1, v1, v16
	v_mad_i64_i32 v[16:17], s[26:27], v1, s34, 0
	v_add_u32_e32 v1, s20, v137
	v_mul_hi_u32 v19, s30, v1
	v_add_u32_e32 v19, v1, v19
	v_lshrrev_b32_e32 v19, s31, v19
	v_mul_lo_u32 v19, v19, s76
	v_sub_u32_e32 v1, v1, v19
	;; [unrolled: 7-line block ×3, first 2 shown]
	v_mad_i64_i32 v[56:57], s[26:27], v1, s34, 0
	v_and_b32_e32 v1, 64, v133
	v_add_u32_e32 v1, 64, v1
	v_xor_b32_e32 v19, 32, v133
	v_cmp_lt_i32_e32 vcc, v19, v1
	v_cndmask_b32_e32 v19, v133, v19, vcc
	v_lshlrev_b32_e32 v25, 2, v19
	v_xor_b32_e32 v19, 16, v133
	v_cmp_lt_i32_e32 vcc, v19, v1
	s_cmp_lg_u64 s[68:69], 0
	v_cndmask_b32_e32 v1, v133, v19, vcc
	s_cselect_b64 s[28:29], -1, 0
	v_mov_b32_e32 v156, 0
	v_lshlrev_b32_e32 v33, 2, v1
	v_mov_b32_e32 v48, v46
	v_mov_b32_e32 v49, v46
	s_lshl_b32 s30, s38, 6
	v_mov_b32_e32 v162, 0
	v_mov_b32_e32 v165, 0xfeffffff
	v_lshlrev_b64 v[50:51], 1, v[14:15]
	v_lshlrev_b64 v[52:53], 1, v[16:17]
	;; [unrolled: 1-line block ×4, first 2 shown]
	v_mov_b32_e32 v157, 0
	v_mov_b32_e32 v68, 0
	;; [unrolled: 1-line block ×11, first 2 shown]
.LBB14_35:                              ;   Parent Loop BB14_16 Depth=1
                                        ; =>  This Inner Loop Header: Depth=2
	v_cndmask_b32_e64 v1, 0, 1, s[28:29]
	v_cmp_ne_u32_e64 s[26:27], 1, v1
	s_andn2_b64 vcc, exec, s[28:29]
	s_ashr_i32 s31, s30, 31
	s_cbranch_vccnz .LBB14_39
; %bb.36:                               ;   in Loop: Header=BB14_35 Depth=2
	v_mov_b32_e32 v1, 0
	v_mov_b32_e32 v14, 0
	;; [unrolled: 1-line block ×4, first 2 shown]
	s_and_saveexec_b64 s[34:35], s[4:5]
	s_cbranch_execz .LBB14_38
; %bb.37:                               ;   in Loop: Header=BB14_35 Depth=2
	s_lshl_b64 s[60:61], s[30:31], 1
	v_add_co_u32_e32 v19, vcc, s60, v21
	v_mov_b32_e32 v1, s61
	v_addc_co_u32_e32 v47, vcc, v23, v1, vcc
	v_add_co_u32_e32 v14, vcc, v19, v50
	v_addc_co_u32_e32 v15, vcc, v47, v51, vcc
	flat_load_ushort v1, v[14:15]
	v_add_co_u32_e32 v14, vcc, v19, v52
	v_addc_co_u32_e32 v15, vcc, v47, v53, vcc
	v_add_co_u32_e32 v16, vcc, v19, v54
	v_addc_co_u32_e32 v17, vcc, v47, v55, vcc
	flat_load_ushort v14, v[14:15]
	s_nop 0
	flat_load_ushort v15, v[16:17]
	v_add_co_u32_e32 v16, vcc, v19, v56
	v_addc_co_u32_e32 v17, vcc, v47, v57, vcc
	flat_load_ushort v16, v[16:17]
.LBB14_38:                              ;   in Loop: Header=BB14_35 Depth=2
	s_or_b64 exec, exec, s[34:35]
	s_waitcnt vmcnt(0) lgkmcnt(0)
	ds_write_b16 v93, v1 offset:13312
	ds_write_b16 v136, v14 offset:13312
	;; [unrolled: 1-line block ×4, first 2 shown]
.LBB14_39:                              ;   in Loop: Header=BB14_35 Depth=2
	s_mul_hi_i32 s35, s30, s70
	s_mul_i32 s34, s30, s70
	s_lshl_b64 s[34:35], s[34:35], 2
	s_add_u32 s31, s22, s34
	s_addc_u32 s34, s23, s35
	v_mov_b32_e32 v1, s34
	v_add_co_u32_e32 v14, vcc, s31, v30
	v_addc_co_u32_e32 v1, vcc, v1, v31, vcc
	v_lshlrev_b32_e32 v164, 2, v22
	v_add_co_u32_e32 v14, vcc, v14, v164
	v_addc_co_u32_e32 v1, vcc, 0, v1, vcc
	v_add_co_u32_e32 v14, vcc, s92, v14
	v_addc_co_u32_e32 v1, vcc, 0, v1, vcc
	v_mov_b32_e32 v19, s67
	v_cndmask_b32_e64 v15, v19, v1, s[6:7]
	v_mov_b32_e32 v1, s66
	buffer_store_dword v134, off, s[0:3], 0
	buffer_store_dword v134, off, s[0:3], 0 offset:4
	buffer_store_dword v134, off, s[0:3], 0 offset:8
	;; [unrolled: 1-line block ×3, first 2 shown]
	v_cndmask_b32_e64 v14, v1, v14, s[6:7]
	flat_load_dwordx4 v[14:17], v[14:15]
	v_mov_b32_e32 v47, s34
	v_add_co_u32_e32 v166, vcc, s31, v40
	v_lshlrev_b32_e32 v163, 2, v24
	v_addc_co_u32_e32 v47, vcc, v47, v41, vcc
	v_add_co_u32_e32 v166, vcc, v166, v163
	v_addc_co_u32_e32 v47, vcc, 0, v47, vcc
	v_cndmask_b32_e64 v166, v1, v166, s[36:37]
	v_cndmask_b32_e64 v167, v19, v47, s[36:37]
	v_mov_b32_e32 v47, s34
	s_waitcnt vmcnt(0) lgkmcnt(0)
	ds_write_b128 v69, v[14:17]
	flat_load_dwordx4 v[14:17], v[166:167]
	v_add_co_u32_e32 v166, vcc, s31, v42
	v_addc_co_u32_e32 v47, vcc, v47, v43, vcc
	v_add_co_u32_e32 v166, vcc, v166, v163
	v_addc_co_u32_e32 v47, vcc, 0, v47, vcc
	v_cndmask_b32_e64 v166, v1, v166, s[10:11]
	v_cndmask_b32_e64 v167, v19, v47, s[10:11]
	s_and_b64 vcc, exec, s[26:27]
	s_waitcnt vmcnt(0) lgkmcnt(0)
	ds_write_b128 v71, v[14:17]
	flat_load_dwordx4 v[14:17], v[166:167]
	s_waitcnt vmcnt(0) lgkmcnt(0)
	ds_write_b128 v142, v[14:17]
	s_waitcnt lgkmcnt(0)
	s_barrier
	ds_read2_b64 v[14:17], v72 offset1:4
	s_waitcnt lgkmcnt(0)
	v_mfma_f32_16x16x16f16 v[166:169], v[14:15], v[10:11], 0
	v_mfma_f32_16x16x16f16 v[14:17], v[16:17], v[12:13], v[166:169]
	s_nop 7
	s_nop 1
	ds_read2_b64 v[166:169], v72 offset0:8 offset1:12
	s_waitcnt lgkmcnt(0)
	v_mfma_f32_16x16x16f16 v[14:17], v[166:167], v[6:7], v[14:17]
	v_mfma_f32_16x16x16f16 v[14:17], v[168:169], v[8:9], v[14:17]
	ds_read2_b64 v[166:169], v72 offset0:16 offset1:20
	s_waitcnt lgkmcnt(0)
	s_barrier
	v_mfma_f32_16x16x16f16 v[14:17], v[166:167], v[2:3], v[14:17]
	v_mfma_f32_16x16x16f16 v[14:17], v[168:169], v[4:5], v[14:17]
	s_cbranch_vccnz .LBB14_41
; %bb.40:                               ;   in Loop: Header=BB14_35 Depth=2
	v_add_u32_e32 v1, 0x3400, v74
	ds_read2_b32 v[166:167], v1 offset1:1
	v_mov_b32_e32 v47, v46
	s_waitcnt lgkmcnt(0)
	v_cvt_f32_f16_e32 v168, v166
	v_cvt_f32_f16_e32 v170, v167
	v_cvt_f32_f16_sdwa v171, v167 dst_sel:DWORD dst_unused:UNUSED_PAD src0_sel:WORD_1
	v_cvt_f32_f16_sdwa v169, v166 dst_sel:DWORD dst_unused:UNUSED_PAD src0_sel:WORD_1
	s_nop 1
	v_pk_fma_f32 v[16:17], v[46:47], v[170:171], v[16:17]
	v_pk_fma_f32 v[14:15], v[48:49], v[168:169], v[14:15]
.LBB14_41:                              ;   in Loop: Header=BB14_35 Depth=2
	v_add_f32_e32 v1, 0x40051340, v14
	v_max_f32_e32 v19, v165, v165
	v_max_f32_e32 v1, v19, v1
	v_cndmask_b32_e64 v1, v165, v1, s[12:13]
	v_add_f32_e32 v19, 0x40051340, v15
	v_max_f32_e32 v47, v1, v1
	v_max_f32_e32 v19, v47, v19
	v_cndmask_b32_e64 v1, v1, v19, s[14:15]
	s_nop 1
	v_add_f32_e32 v19, 0x40051340, v16
	v_max_f32_e32 v47, v1, v1
	v_max_f32_e32 v19, v47, v19
	v_cndmask_b32_e64 v1, v1, v19, s[16:17]
	v_add_f32_e32 v19, 0x40051340, v17
	v_max_f32_e32 v47, v1, v1
	v_max_f32_e32 v19, v47, v19
	v_cndmask_b32_e64 v1, v1, v19, s[18:19]
	ds_bpermute_b32 v19, v25, v1
	v_max_f32_e32 v1, v1, v1
	v_cndmask_b32_e64 v16, v16, v16, s[14:15]
	v_cndmask_b32_e64 v17, v17, v17, s[14:15]
	s_mul_hi_i32 s27, s30, s58
	s_waitcnt lgkmcnt(0)
	v_max_f32_e32 v19, v19, v19
	v_max_f32_e32 v1, v1, v19
	ds_bpermute_b32 v19, v33, v1
	s_mul_i32 s26, s30, s58
	s_lshl_b64 s[26:27], s[26:27], 2
	s_add_u32 s26, s33, s26
	s_addc_u32 s27, s56, s27
	s_waitcnt lgkmcnt(0)
	v_max_f32_e32 v19, v19, v19
	v_max_f32_e32 v19, v1, v19
	v_sub_f32_e32 v1, v14, v19
	v_mul_f32_e32 v14, 0x3fb8aa3b, v1
	v_fma_f32 v47, v1, s62, -v14
	v_rndne_f32_e32 v166, v14
	v_fmac_f32_e32 v47, 0x32a5705f, v1
	v_sub_f32_e32 v14, v14, v166
	v_add_f32_e32 v14, v14, v47
	v_exp_f32_e32 v14, v14
	v_cvt_i32_f32_e32 v47, v166
	v_cmp_ngt_f32_e32 vcc, s98, v1
	v_mov_b32_e32 v168, s67
	buffer_store_dword v134, off, s[0:3], 0
	buffer_store_dword v134, off, s[0:3], 0 offset:4
	buffer_store_dword v134, off, s[0:3], 0 offset:8
	;; [unrolled: 1-line block ×3, first 2 shown]
	v_ldexp_f32 v14, v14, v47
	v_cndmask_b32_e32 v14, 0, v14, vcc
	v_cmp_nlt_f32_e32 vcc, s57, v1
	v_cndmask_b32_e32 v1, v154, v14, vcc
	v_cndmask_b32_e64 v14, 0, v1, s[12:13]
	v_sub_f32_e32 v1, v15, v19
	v_mul_f32_e32 v15, 0x3fb8aa3b, v1
	v_fma_f32 v47, v1, s62, -v15
	v_rndne_f32_e32 v166, v15
	v_fmac_f32_e32 v47, 0x32a5705f, v1
	v_sub_f32_e32 v15, v15, v166
	v_add_f32_e32 v15, v15, v47
	v_exp_f32_e32 v15, v15
	v_cvt_i32_f32_e32 v47, v166
	v_cmp_ngt_f32_e32 vcc, s98, v1
	s_add_i32 s38, s38, 1
	s_add_i32 s30, s30, 64
	v_ldexp_f32 v15, v15, v47
	v_cndmask_b32_e32 v15, 0, v15, vcc
	v_cmp_nlt_f32_e32 vcc, s57, v1
	v_cndmask_b32_e32 v15, v154, v15, vcc
	v_mov_b32_e32 v1, s91
	v_add_f32_e32 v47, v15, v14
	v_cndmask_b32_e64 v166, v1, v15, s[14:15]
	v_sub_f32_e32 v15, v16, v19
	v_mul_f32_e32 v16, 0x3fb8aa3b, v15
	v_cndmask_b32_e64 v1, v14, v47, s[14:15]
	v_fma_f32 v47, v15, s62, -v16
	v_rndne_f32_e32 v167, v16
	v_fmac_f32_e32 v47, 0x32a5705f, v15
	v_sub_f32_e32 v16, v16, v167
	v_add_f32_e32 v16, v16, v47
	v_exp_f32_e32 v16, v16
	v_cvt_i32_f32_e32 v47, v167
	v_cmp_ngt_f32_e32 vcc, s98, v15
	v_cvt_f16_f32_e32 v14, v14
	s_cmp_lt_i32 s38, s21
	v_ldexp_f32 v16, v16, v47
	v_cndmask_b32_e32 v16, 0, v16, vcc
	v_cmp_nlt_f32_e32 vcc, s57, v15
	v_cndmask_b32_e32 v15, v154, v16, vcc
	v_mov_b32_e32 v16, s91
	v_add_f32_e32 v47, v1, v15
	v_cndmask_b32_e64 v167, v16, v15, s[16:17]
	v_sub_f32_e32 v15, v17, v19
	v_mul_f32_e32 v16, 0x3fb8aa3b, v15
	v_cndmask_b32_e64 v1, v1, v47, s[16:17]
	v_fma_f32 v17, v15, s62, -v16
	v_rndne_f32_e32 v47, v16
	v_fmac_f32_e32 v17, 0x32a5705f, v15
	v_sub_f32_e32 v16, v16, v47
	v_add_f32_e32 v16, v16, v17
	v_exp_f32_e32 v16, v16
	v_cvt_i32_f32_e32 v17, v47
	v_cmp_ngt_f32_e32 vcc, s98, v15
	v_ldexp_f32 v16, v16, v17
	v_cndmask_b32_e32 v16, 0, v16, vcc
	v_cmp_nlt_f32_e32 vcc, s57, v15
	v_cndmask_b32_e32 v16, v154, v16, vcc
	v_mov_b32_e32 v15, s91
	v_add_f32_e32 v17, v1, v16
	v_cndmask_b32_e64 v15, v15, v16, s[18:19]
	v_sub_f32_e32 v16, v165, v19
	v_cndmask_b32_e64 v1, v1, v17, s[18:19]
	v_mul_f32_e32 v17, 0x3fb8aa3b, v16
	v_fma_f32 v47, v16, s62, -v17
	v_rndne_f32_e32 v165, v17
	v_fmac_f32_e32 v47, 0x32a5705f, v16
	v_sub_f32_e32 v17, v17, v165
	v_add_f32_e32 v17, v17, v47
	v_exp_f32_e32 v17, v17
	v_cvt_i32_f32_e32 v47, v165
	v_cmp_ngt_f32_e32 vcc, s98, v16
	v_cvt_f16_f32_e32 v15, v15
	v_ldexp_f32 v17, v17, v47
	v_cndmask_b32_e32 v17, 0, v17, vcc
	v_cmp_nlt_f32_e32 vcc, s57, v16
	v_cndmask_b32_e32 v17, v154, v17, vcc
	v_cmp_le_f32_e32 vcc, s99, v16
	v_cndmask_b32_e32 v16, 0, v17, vcc
	v_fmac_f32_e32 v1, v162, v16
	v_cvt_f16_f32_e32 v16, v16
	v_pk_mul_f16 v162, v16, v156 op_sel_hi:[0,1]
	v_pk_mul_f16 v156, v16, v157 op_sel_hi:[0,1]
	v_cvt_f16_f32_e32 v157, v166
	v_pk_mul_f16 v47, v16, v158 op_sel_hi:[0,1]
	v_mov_b32_e32 v158, s27
	v_pk_mul_f16 v17, v16, v161 op_sel_hi:[0,1]
	v_pack_b32_f16 v14, v14, v157
	v_cvt_f16_f32_e32 v157, v167
	v_pk_mul_f16 v60, v16, v60 op_sel_hi:[0,1]
	v_pk_mul_f16 v58, v16, v58 op_sel_hi:[0,1]
	;; [unrolled: 1-line block ×3, first 2 shown]
	v_pack_b32_f16 v15, v157, v15
	v_add_co_u32_e32 v157, vcc, s26, v28
	v_addc_co_u32_e32 v158, vcc, v158, v29, vcc
	v_add_co_u32_e32 v157, vcc, v157, v164
	v_addc_co_u32_e32 v158, vcc, 0, v158, vcc
	;; [unrolled: 2-line block ×3, first 2 shown]
	v_cndmask_b32_e64 v161, v168, v158, s[6:7]
	v_mov_b32_e32 v158, s66
	v_pk_mul_f16 v62, v16, v62 op_sel_hi:[0,1]
	v_pk_mul_f16 v68, v16, v68 op_sel_hi:[0,1]
	;; [unrolled: 1-line block ×5, first 2 shown]
	v_cndmask_b32_e64 v160, v158, v157, s[6:7]
	flat_load_dwordx4 v[164:167], v[160:161]
	v_add_co_u32_e32 v157, vcc, s26, v36
	v_mov_b32_e32 v160, s27
	v_addc_co_u32_e32 v160, vcc, v160, v37, vcc
	v_add_co_u32_e32 v157, vcc, v157, v163
	v_addc_co_u32_e32 v160, vcc, 0, v160, vcc
	v_cndmask_b32_e64 v161, v168, v160, s[36:37]
	v_cndmask_b32_e64 v160, v158, v157, s[36:37]
	v_add_co_u32_e32 v157, vcc, s26, v38
	s_waitcnt vmcnt(0) lgkmcnt(0)
	ds_write_b128 v69, v[164:167]
	flat_load_dwordx4 v[164:167], v[160:161]
	v_mov_b32_e32 v160, s27
	v_addc_co_u32_e32 v160, vcc, v160, v39, vcc
	v_add_co_u32_e32 v157, vcc, v157, v163
	v_addc_co_u32_e32 v160, vcc, 0, v160, vcc
	v_cndmask_b32_e64 v161, v168, v160, s[10:11]
	v_cndmask_b32_e64 v160, v158, v157, s[10:11]
	s_waitcnt vmcnt(0) lgkmcnt(0)
	ds_write_b128 v71, v[164:167]
	flat_load_dwordx4 v[164:167], v[160:161]
	s_waitcnt vmcnt(0) lgkmcnt(0)
	ds_write_b128 v142, v[164:167]
	s_waitcnt lgkmcnt(0)
	s_barrier
	ds_read_u16 v157, v76 offset:208
	ds_read_u16 v158, v76 offset:416
	v_cvt_f32_f16_e32 v166, v58
	v_cvt_f32_f16_sdwa v167, v58 dst_sel:DWORD dst_unused:UNUSED_PAD src0_sel:WORD_1
	ds_read_u16 v58, v77
	ds_read_u16 v163, v77 offset:32
	v_cvt_f32_f16_e32 v164, v60
	v_cvt_f32_f16_sdwa v165, v60 dst_sel:DWORD dst_unused:UNUSED_PAD src0_sel:WORD_1
	s_waitcnt lgkmcnt(1)
	v_perm_b32 v161, v58, v158, s97
	ds_read_u16 v58, v75
	ds_read_u16 v158, v75 offset:32
	s_waitcnt lgkmcnt(1)
	v_perm_b32 v160, v157, v58, s97
	s_nop 1
	v_mfma_f32_16x16x16f16 v[164:167], v[160:161], v[14:15], v[164:167]
	s_nop 7
	s_nop 2
	v_cvt_f16_f32_e32 v58, v164
	v_cvt_f16_f32_e32 v60, v165
	;; [unrolled: 1-line block ×4, first 2 shown]
	v_cvt_f32_f16_e32 v164, v64
	v_pack_b32_f16 v60, v58, v60
	v_cvt_f32_f16_sdwa v165, v64 dst_sel:DWORD dst_unused:UNUSED_PAD src0_sel:WORD_1
	v_pack_b32_f16 v58, v157, v160
	ds_read_u16 v157, v143 offset:208
	ds_read_u16 v160, v143 offset:416
	v_cvt_f32_f16_e32 v166, v62
	v_cvt_f32_f16_sdwa v167, v62 dst_sel:DWORD dst_unused:UNUSED_PAD src0_sel:WORD_1
	s_waitcnt lgkmcnt(0)
	v_perm_b32 v161, v163, v160, s97
	v_perm_b32 v160, v157, v158, s97
	v_cvt_f32_f16_sdwa v163, v156 dst_sel:DWORD dst_unused:UNUSED_PAD src0_sel:WORD_1
	s_nop 0
	v_mfma_f32_16x16x16f16 v[164:167], v[160:161], v[14:15], v[164:167]
	s_nop 7
	s_nop 2
	v_cvt_f16_f32_e32 v62, v164
	v_cvt_f16_f32_e32 v64, v165
	;; [unrolled: 1-line block ×4, first 2 shown]
	v_cvt_f32_f16_e32 v164, v68
	v_pack_b32_f16 v64, v62, v64
	v_cvt_f32_f16_sdwa v165, v68 dst_sel:DWORD dst_unused:UNUSED_PAD src0_sel:WORD_1
	v_pack_b32_f16 v62, v157, v158
	ds_read_u16 v157, v75 offset:64
	ds_read_u16 v158, v144 offset:208
	;; [unrolled: 1-line block ×4, first 2 shown]
	v_cvt_f32_f16_e32 v166, v66
	v_cvt_f32_f16_sdwa v167, v66 dst_sel:DWORD dst_unused:UNUSED_PAD src0_sel:WORD_1
	s_waitcnt lgkmcnt(0)
	v_perm_b32 v161, v161, v160, s97
	v_perm_b32 v160, v158, v157, s97
	s_nop 1
	v_mfma_f32_16x16x16f16 v[164:167], v[160:161], v[14:15], v[164:167]
	v_cvt_f32_f16_e32 v160, v162
	v_cvt_f32_f16_sdwa v161, v162 dst_sel:DWORD dst_unused:UNUSED_PAD src0_sel:WORD_1
	v_cvt_f32_f16_e32 v162, v156
	s_nop 7
	v_cvt_f16_f32_e32 v66, v164
	v_cvt_f16_f32_e32 v68, v165
	;; [unrolled: 1-line block ×4, first 2 shown]
	v_pack_b32_f16 v68, v66, v68
	v_pack_b32_f16 v66, v157, v158
	ds_read_u16 v158, v75 offset:96
	ds_read_u16 v164, v145 offset:208
	;; [unrolled: 1-line block ×4, first 2 shown]
	s_waitcnt lgkmcnt(2)
	v_perm_b32 v156, v164, v158, s97
	s_waitcnt lgkmcnt(0)
	v_perm_b32 v157, v165, v157, s97
	s_nop 1
	v_mfma_f32_16x16x16f16 v[160:163], v[156:157], v[14:15], v[160:163]
	s_nop 7
	s_nop 2
	v_cvt_f16_f32_e32 v156, v160
	v_cvt_f16_f32_e32 v158, v162
	;; [unrolled: 1-line block ×3, first 2 shown]
	ds_read_u16 v162, v75 offset:128
	ds_read_u16 v164, v146 offset:208
	;; [unrolled: 1-line block ×4, first 2 shown]
	v_cvt_f16_f32_e32 v157, v161
	v_cvt_f32_f16_sdwa v161, v47 dst_sel:DWORD dst_unused:UNUSED_PAD src0_sel:WORD_1
	s_waitcnt lgkmcnt(2)
	v_perm_b32 v162, v164, v162, s97
	s_waitcnt lgkmcnt(0)
	v_perm_b32 v163, v165, v163, s97
	v_pack_b32_f16 v156, v156, v157
	v_pack_b32_f16 v157, v158, v160
	v_cvt_f32_f16_e32 v158, v159
	v_cvt_f32_f16_sdwa v159, v159 dst_sel:DWORD dst_unused:UNUSED_PAD src0_sel:WORD_1
	v_cvt_f32_f16_e32 v160, v47
	s_nop 1
	v_mfma_f32_16x16x16f16 v[158:161], v[162:163], v[14:15], v[158:161]
	v_cvt_f32_f16_e32 v162, v16
	v_cvt_f32_f16_sdwa v163, v16 dst_sel:DWORD dst_unused:UNUSED_PAD src0_sel:WORD_1
	s_nop 7
	s_nop 0
	v_cvt_f16_f32_e32 v47, v158
	v_cvt_f16_f32_e32 v158, v159
	;; [unrolled: 1-line block ×4, first 2 shown]
	v_pack_b32_f16 v159, v47, v158
	ds_read_u16 v47, v75 offset:160
	ds_read_u16 v164, v147 offset:208
	;; [unrolled: 1-line block ×4, first 2 shown]
	v_pack_b32_f16 v158, v160, v161
	v_cvt_f32_f16_e32 v160, v17
	v_cvt_f32_f16_sdwa v161, v17 dst_sel:DWORD dst_unused:UNUSED_PAD src0_sel:WORD_1
	s_waitcnt lgkmcnt(2)
	v_perm_b32 v16, v164, v47, s97
	s_waitcnt lgkmcnt(0)
	v_perm_b32 v17, v166, v165, s97
	s_barrier
	s_nop 0
	v_mfma_f32_16x16x16f16 v[14:17], v[16:17], v[14:15], v[160:163]
	s_nop 7
	s_nop 2
	v_cvt_f16_f32_e32 v14, v14
	v_cvt_f16_f32_e32 v15, v15
	;; [unrolled: 1-line block ×4, first 2 shown]
	v_pack_b32_f16 v161, v14, v15
	v_pack_b32_f16 v160, v16, v17
	s_cbranch_scc0 .LBB14_45
; %bb.42:                               ;   in Loop: Header=BB14_35 Depth=2
	v_mov_b32_e32 v162, v1
	v_mov_b32_e32 v165, v19
	s_branch .LBB14_35
.LBB14_43:                              ;   in Loop: Header=BB14_16 Depth=1
	v_readlane_b32 s28, v178, 1
	s_mov_b32 s80, s61
	s_mov_b32 s76, s28
	;; [unrolled: 1-line block ×4, first 2 shown]
	s_mov_b64 s[78:79], s[24:25]
	v_readlane_b32 s29, v178, 2
	v_readlane_b32 s30, v178, 3
	;; [unrolled: 1-line block ×3, first 2 shown]
	s_cbranch_execz .LBB14_15
	s_branch .LBB14_119
.LBB14_44:                              ;   in Loop: Header=BB14_16 Depth=1
	v_mov_b32_e32 v161, 0
	v_mov_b32_e32 v158, 0
	;; [unrolled: 1-line block ×12, first 2 shown]
.LBB14_45:                              ;   in Loop: Header=BB14_16 Depth=1
	s_lshl_b32 s34, s38, 6
	v_readlane_b32 s26, v179, 4
	s_sub_i32 s21, s26, s34
	s_cmp_lg_u64 s[68:69], 0
	s_cselect_b64 s[38:39], -1, 0
	s_ashr_i32 s35, s34, 31
	s_cmp_eq_u64 s[68:69], 0
	v_readlane_b32 s27, v179, 5
	s_cbranch_scc1 .LBB14_51
; %bb.46:                               ;   in Loop: Header=BB14_16 Depth=1
	v_cmp_le_i32_e32 vcc, s21, v18
                                        ; implicit-def: $sgpr28
	s_and_saveexec_b64 s[26:27], vcc
	s_xor_b64 s[26:27], exec, s[26:27]
	s_cbranch_execz .LBB14_48
; %bb.47:                               ;   in Loop: Header=BB14_16 Depth=1
	ds_write_b16 v93, v134 offset:13312
	ds_write_b16 v136, v134 offset:13312
	s_mov_b32 s28, 0
.LBB14_48:                              ;   in Loop: Header=BB14_16 Depth=1
	s_or_saveexec_b64 s[26:27], s[26:27]
	v_mov_b32_e32 v14, s28
	v_mov_b32_e32 v15, s28
	s_xor_b64 exec, exec, s[26:27]
	s_cbranch_execz .LBB14_50
; %bb.49:                               ;   in Loop: Header=BB14_16 Depth=1
	s_lshl_b64 s[28:29], s[34:35], 1
	s_add_u32 s28, s68, s28
	s_addc_u32 s29, s69, s29
	v_lshlrev_b32_e32 v14, 1, v18
	v_add_co_u32_e32 v21, vcc, s28, v14
	v_mov_b32_e32 v14, s29
	v_addc_co_u32_e32 v23, vcc, 0, v14, vcc
	v_add_u32_e32 v14, s20, v45
	v_readlane_b32 s30, v179, 10
	v_mul_hi_u32 v15, s30, v14
	v_readlane_b32 s31, v179, 11
	v_add_u32_e32 v15, v14, v15
	v_lshrrev_b32_e32 v15, s31, v15
	v_mul_lo_u32 v15, v15, s76
	v_sub_u32_e32 v14, v14, v15
	v_readlane_b32 s60, v179, 61
	v_mad_i64_i32 v[14:15], s[28:29], v14, s60, 0
	v_lshlrev_b64 v[14:15], 1, v[14:15]
	v_add_co_u32_e32 v14, vcc, v21, v14
	v_addc_co_u32_e32 v15, vcc, v23, v15, vcc
	flat_load_ushort v16, v[14:15]
	v_add_u32_e32 v14, s20, v135
	v_mul_hi_u32 v15, s30, v14
	v_add_u32_e32 v15, v14, v15
	v_lshrrev_b32_e32 v15, s31, v15
	v_mul_lo_u32 v15, v15, s76
	v_sub_u32_e32 v14, v14, v15
	v_mad_i64_i32 v[14:15], s[28:29], v14, s60, 0
	v_lshlrev_b64 v[14:15], 1, v[14:15]
	v_add_co_u32_e32 v14, vcc, v21, v14
	v_addc_co_u32_e32 v15, vcc, v23, v15, vcc
	flat_load_ushort v14, v[14:15]
	v_readlane_b32 s61, v179, 62
	s_waitcnt vmcnt(0) lgkmcnt(0)
	ds_write_b16 v93, v16 offset:13312
	ds_write_b16 v136, v14 offset:13312
	v_add_u32_e32 v14, s20, v137
	v_mul_hi_u32 v15, s30, v14
	v_add_u32_e32 v15, v14, v15
	v_lshrrev_b32_e32 v15, s31, v15
	v_mul_lo_u32 v15, v15, s76
	v_sub_u32_e32 v14, v14, v15
	v_mad_i64_i32 v[14:15], s[28:29], v14, s60, 0
	v_lshlrev_b64 v[14:15], 1, v[14:15]
	v_add_co_u32_e32 v14, vcc, v21, v14
	v_addc_co_u32_e32 v15, vcc, v23, v15, vcc
	flat_load_ushort v14, v[14:15]
	v_add_u32_e32 v15, s20, v139
	v_mul_hi_u32 v16, s30, v15
	v_add_u32_e32 v16, v15, v16
	v_lshrrev_b32_e32 v16, s31, v16
	v_mul_lo_u32 v16, v16, s76
	v_sub_u32_e32 v15, v15, v16
	v_mad_i64_i32 v[16:17], s[28:29], v15, s60, 0
	v_lshlrev_b64 v[16:17], 1, v[16:17]
	v_add_co_u32_e32 v16, vcc, v21, v16
	v_addc_co_u32_e32 v17, vcc, v23, v17, vcc
	flat_load_ushort v15, v[16:17]
.LBB14_50:                              ;   in Loop: Header=BB14_16 Depth=1
	s_or_b64 exec, exec, s[26:27]
	s_waitcnt vmcnt(0) lgkmcnt(0)
	ds_write_b16 v138, v14 offset:13312
	ds_write_b16 v140, v15 offset:13312
.LBB14_51:                              ;   in Loop: Header=BB14_16 Depth=1
	s_mul_hi_i32 s27, s34, s70
	s_mul_i32 s26, s34, s70
	s_lshl_b64 s[26:27], s[26:27], 2
	s_add_u32 s26, s22, s26
	s_addc_u32 s27, s23, s27
	v_mov_b32_e32 v14, s27
	v_add_co_u32_e32 v16, vcc, s26, v30
	v_addc_co_u32_e32 v14, vcc, v14, v31, vcc
	v_lshlrev_b32_e32 v15, 2, v22
	v_add_co_u32_e32 v16, vcc, v16, v15
	v_addc_co_u32_e32 v14, vcc, 0, v14, vcc
	v_add_co_u32_e32 v16, vcc, s92, v16
	v_addc_co_u32_e32 v14, vcc, 0, v14, vcc
	v_mov_b32_e32 v21, s67
	v_cmp_gt_i32_e64 s[28:29], s21, v67
	v_mov_b32_e32 v23, s66
	buffer_store_dword v134, off, s[0:3], 0
	buffer_store_dword v134, off, s[0:3], 0 offset:4
	buffer_store_dword v134, off, s[0:3], 0 offset:8
	;; [unrolled: 1-line block ×3, first 2 shown]
	v_cndmask_b32_e64 v17, v21, v14, s[28:29]
	v_cndmask_b32_e64 v16, v23, v16, s[28:29]
	flat_load_dwordx4 v[48:51], v[16:17]
	v_mov_b32_e32 v16, s27
	v_add_co_u32_e32 v17, vcc, s26, v40
	v_lshlrev_b32_e32 v14, 2, v24
	v_addc_co_u32_e32 v16, vcc, v16, v41, vcc
	v_add_co_u32_e32 v25, vcc, v17, v14
	v_addc_co_u32_e32 v16, vcc, 0, v16, vcc
	v_cmp_gt_i32_e64 s[30:31], s21, v70
	v_cndmask_b32_e64 v17, v21, v16, s[30:31]
	v_cndmask_b32_e64 v16, v23, v25, s[30:31]
	s_waitcnt vmcnt(0) lgkmcnt(0)
	ds_write_b128 v69, v[48:51]
	flat_load_dwordx4 v[48:51], v[16:17]
	v_mov_b32_e32 v16, s27
	v_add_co_u32_e32 v17, vcc, s26, v42
	v_addc_co_u32_e32 v16, vcc, v16, v43, vcc
	v_add_co_u32_e32 v25, vcc, v17, v14
	v_addc_co_u32_e32 v16, vcc, 0, v16, vcc
	v_cmp_gt_i32_e64 s[26:27], s21, v141
	v_cndmask_b32_e64 v17, v21, v16, s[26:27]
	v_cndmask_b32_e64 v16, v23, v25, s[26:27]
	s_andn2_b64 vcc, exec, s[38:39]
	s_waitcnt vmcnt(0) lgkmcnt(0)
	ds_write_b128 v71, v[48:51]
	flat_load_dwordx4 v[48:51], v[16:17]
	s_waitcnt vmcnt(0) lgkmcnt(0)
	ds_write_b128 v142, v[48:51]
	s_waitcnt lgkmcnt(0)
	s_barrier
	ds_read2_b64 v[48:51], v72 offset1:4
	s_waitcnt lgkmcnt(0)
	v_mfma_f32_16x16x16f16 v[52:55], v[48:49], v[10:11], 0
	v_mfma_f32_16x16x16f16 v[10:13], v[50:51], v[12:13], v[52:55]
	ds_read2_b64 v[48:51], v72 offset0:8 offset1:12
	s_waitcnt lgkmcnt(0)
	v_mfma_f32_16x16x16f16 v[10:13], v[48:49], v[6:7], v[10:13]
	v_mfma_f32_16x16x16f16 v[6:9], v[50:51], v[8:9], v[10:13]
	s_nop 7
	s_nop 1
	ds_read2_b64 v[10:13], v72 offset0:16 offset1:20
	s_waitcnt lgkmcnt(0)
	v_mfma_f32_16x16x16f16 v[6:9], v[10:11], v[2:3], v[6:9]
	s_barrier
	v_mfma_f32_16x16x16f16 v[2:5], v[12:13], v[4:5], v[6:9]
	s_cbranch_vccnz .LBB14_53
; %bb.52:                               ;   in Loop: Header=BB14_16 Depth=1
	s_nop 7
	v_add_u32_e32 v6, 0x3400, v74
	ds_read2_b32 v[6:7], v6 offset1:1
	s_waitcnt lgkmcnt(0)
	v_cvt_f32_f16_e32 v8, v6
	v_cvt_f32_f16_e32 v10, v7
	v_cvt_f32_f16_sdwa v11, v7 dst_sel:DWORD dst_unused:UNUSED_PAD src0_sel:WORD_1
	v_cvt_f32_f16_sdwa v9, v6 dst_sel:DWORD dst_unused:UNUSED_PAD src0_sel:WORD_1
	v_pk_fma_f32 v[4:5], v[46:47], v[10:11], v[4:5] op_sel_hi:[0,1,1]
	v_pk_fma_f32 v[2:3], v[46:47], v[8:9], v[2:3] op_sel_hi:[0,1,1]
.LBB14_53:                              ;   in Loop: Header=BB14_16 Depth=1
	s_mul_hi_i32 s35, s34, s58
	s_mul_i32 s34, s34, s58
	s_lshl_b64 s[34:35], s[34:35], 2
	s_add_u32 s38, s33, s34
	s_addc_u32 s39, s56, s35
	s_nop 2
	v_mov_b32_e32 v6, s39
	v_add_co_u32_e32 v7, vcc, s38, v28
	v_addc_co_u32_e32 v6, vcc, v6, v29, vcc
	v_add_co_u32_e32 v7, vcc, v7, v15
	v_addc_co_u32_e32 v6, vcc, 0, v6, vcc
	;; [unrolled: 2-line block ×3, first 2 shown]
	v_mov_b32_e32 v12, s67
	v_mov_b32_e32 v15, s66
	buffer_store_dword v134, off, s[0:3], 0
	buffer_store_dword v134, off, s[0:3], 0 offset:4
	buffer_store_dword v134, off, s[0:3], 0 offset:8
	;; [unrolled: 1-line block ×3, first 2 shown]
	v_cndmask_b32_e64 v7, v12, v6, s[28:29]
	v_cndmask_b32_e64 v6, v15, v8, s[28:29]
	flat_load_dwordx4 v[6:9], v[6:7]
	v_mov_b32_e32 v10, s39
	v_add_co_u32_e32 v11, vcc, s38, v36
	v_addc_co_u32_e32 v10, vcc, v10, v37, vcc
	v_add_co_u32_e32 v11, vcc, v11, v14
	v_addc_co_u32_e32 v13, vcc, 0, v10, vcc
	v_cndmask_b32_e64 v10, v15, v11, s[30:31]
	v_cndmask_b32_e64 v11, v12, v13, s[30:31]
	v_add_f32_e32 v16, 0x40051340, v2
	v_max_f32_e32 v17, v19, v19
	v_and_b32_e32 v21, 64, v133
	v_xor_b32_e32 v23, 32, v133
	v_max_f32_e32 v16, v17, v16
	v_add_u32_e32 v17, 64, v21
	v_xor_b32_e32 v48, 16, v133
	v_cmp_gt_u32_e64 s[34:35], s21, v73
	v_cmp_lt_i32_e32 vcc, v23, v17
	v_cndmask_b32_e64 v16, v19, v16, s[34:35]
	v_cndmask_b32_e32 v21, v133, v23, vcc
	v_cmp_lt_i32_e32 vcc, v48, v17
	v_add_f32_e32 v25, 0x40051340, v3
	v_cndmask_b32_e32 v17, v133, v48, vcc
	v_max_f32_e32 v48, v16, v16
	v_lshlrev_b32_e32 v23, 2, v21
	v_lshlrev_b32_e32 v21, 2, v17
	v_max_f32_e32 v17, v48, v25
	v_cmp_gt_u32_e64 s[28:29], s21, v148
	v_cndmask_b32_e64 v16, v16, v17, s[28:29]
	v_add_f32_e32 v33, 0x40051340, v4
	v_cndmask_b32_e64 v17, v4, v4, s[28:29]
	v_max_f32_e32 v4, v16, v16
	v_mov_b32_e32 v25, s39
	v_max_f32_e32 v4, v4, v33
	v_add_co_u32_e64 v33, s[38:39], s38, v38
	v_addc_co_u32_e64 v25, s[38:39], v25, v39, s[38:39]
	v_add_co_u32_e64 v14, s[38:39], v33, v14
	v_addc_co_u32_e64 v25, s[38:39], 0, v25, s[38:39]
	v_cndmask_b32_e64 v14, v15, v14, s[26:27]
	v_cndmask_b32_e64 v15, v12, v25, s[26:27]
	v_cmp_gt_u32_e64 s[30:31], s21, v149
	v_cndmask_b32_e64 v4, v16, v4, s[30:31]
	v_add_f32_e32 v47, 0x40051340, v5
	v_max_f32_e32 v16, v4, v4
	v_max_f32_e32 v16, v16, v47
	v_cmp_gt_u32_e32 vcc, s21, v150
	v_cndmask_b32_e32 v4, v4, v16, vcc
	ds_bpermute_b32 v16, v23, v4
	v_max_f32_e32 v4, v4, v4
	v_cndmask_b32_e64 v5, v5, v5, s[28:29]
	v_mov_b32_e32 v13, s91
	s_cmp_eq_u64 s[78:79], 0
	s_waitcnt lgkmcnt(0)
	v_max_f32_e32 v16, v16, v16
	v_max_f32_e32 v4, v4, v16
	ds_bpermute_b32 v16, v21, v4
	s_waitcnt lgkmcnt(0)
	v_max_f32_e32 v12, v16, v16
	v_max_f32_e32 v4, v4, v12
	v_sub_f32_e32 v2, v2, v4
	v_sub_f32_e32 v3, v3, v4
	;; [unrolled: 1-line block ×3, first 2 shown]
	v_mul_f32_e32 v17, 0x3fb8aa3b, v2
	v_sub_f32_e32 v16, v19, v4
	v_mul_f32_e32 v19, 0x3fb8aa3b, v3
	v_fma_f32 v48, v2, s62, -v17
	v_rndne_f32_e32 v49, v17
	v_sub_f32_e32 v5, v5, v4
	v_mul_f32_e32 v25, 0x3fb8aa3b, v12
	v_fma_f32 v50, v3, s62, -v19
	v_rndne_f32_e32 v51, v19
	s_waitcnt vmcnt(0)
	ds_write_b128 v69, v[6:9]
	flat_load_dwordx4 v[6:9], v[10:11]
	v_fmac_f32_e32 v48, 0x32a5705f, v2
	v_mul_f32_e32 v33, 0x3fb8aa3b, v5
	v_fma_f32 v52, v12, s62, -v25
	v_rndne_f32_e32 v53, v25
	v_fmac_f32_e32 v50, 0x32a5705f, v3
	v_mul_f32_e32 v47, 0x3fb8aa3b, v16
	v_fma_f32 v54, v5, s62, -v33
	v_rndne_f32_e32 v55, v33
	v_fmac_f32_e32 v52, 0x32a5705f, v12
	v_sub_f32_e32 v25, v25, v53
	v_fma_f32 v56, v16, s62, -v47
	v_rndne_f32_e32 v57, v47
	v_fmac_f32_e32 v54, 0x32a5705f, v5
	v_sub_f32_e32 v33, v33, v55
	v_add_f32_e32 v25, v25, v52
	v_fmac_f32_e32 v56, 0x32a5705f, v16
	v_sub_f32_e32 v47, v47, v57
	v_add_f32_e32 v33, v33, v54
	v_exp_f32_e32 v25, v25
	v_add_f32_e32 v47, v47, v56
	v_exp_f32_e32 v33, v33
	v_exp_f32_e32 v47, v47
	v_cmp_ngt_f32_e64 s[26:27], s98, v2
	v_mov_b32_e32 v11, s91
	v_mov_b32_e32 v10, s91
	s_waitcnt vmcnt(0) lgkmcnt(0)
	ds_write_b128 v71, v[6:9]
	flat_load_dwordx4 v[6:9], v[14:15]
	v_sub_f32_e32 v14, v17, v49
	v_sub_f32_e32 v17, v19, v51
	v_add_f32_e32 v14, v14, v48
	v_cvt_i32_f32_e32 v15, v49
	v_add_f32_e32 v17, v17, v50
	v_exp_f32_e32 v14, v14
	v_cvt_i32_f32_e32 v19, v51
	v_exp_f32_e32 v17, v17
	v_cvt_i32_f32_e32 v49, v53
	v_cvt_i32_f32_e32 v51, v55
	;; [unrolled: 1-line block ×3, first 2 shown]
	v_ldexp_f32 v14, v14, v15
	v_ldexp_f32 v15, v17, v19
	v_cndmask_b32_e64 v14, 0, v14, s[26:27]
	v_cmp_ngt_f32_e64 s[26:27], s98, v3
	v_ldexp_f32 v17, v25, v49
	v_cndmask_b32_e64 v15, 0, v15, s[26:27]
	v_cmp_ngt_f32_e64 s[26:27], s98, v12
	;; [unrolled: 3-line block ×4, first 2 shown]
	v_cndmask_b32_e64 v25, 0, v25, s[26:27]
	v_cmp_nlt_f32_e64 s[26:27], s57, v2
	v_cndmask_b32_e64 v2, v154, v14, s[26:27]
	v_cmp_nlt_f32_e64 s[26:27], s57, v3
	;; [unrolled: 2-line block ×5, first 2 shown]
	v_cndmask_b32_e64 v14, v154, v25, s[26:27]
	v_cmp_le_f32_e64 s[26:27], s99, v16
	v_cndmask_b32_e64 v16, 0, v14, s[26:27]
	v_cndmask_b32_e64 v2, 0, v2, s[34:35]
	;; [unrolled: 1-line block ×3, first 2 shown]
	v_cvt_f16_f32_e32 v17, v16
	v_add_f32_e32 v3, v3, v2
	v_cvt_f16_f32_e32 v14, v2
	v_cvt_f16_f32_e32 v11, v11
	v_cndmask_b32_e64 v2, v2, v3, s[28:29]
	v_add_f32_e32 v3, v2, v12
	v_cndmask_b32_e64 v10, v10, v12, s[30:31]
	v_cndmask_b32_e32 v13, v13, v5, vcc
	v_cndmask_b32_e64 v25, v2, v3, s[30:31]
	v_pk_mul_f16 v2, v17, v60 op_sel_hi:[0,1]
	v_cvt_f16_f32_e32 v15, v10
	v_cvt_f16_f32_e32 v19, v13
	v_pk_mul_f16 v13, v17, v58 op_sel_hi:[0,1]
	v_pk_mul_f16 v33, v17, v64 op_sel_hi:[0,1]
	;; [unrolled: 1-line block ×6, first 2 shown]
	v_pack_b32_f16 v14, v14, v11
	v_cvt_f32_f16_e32 v10, v2
	v_cvt_f32_f16_sdwa v11, v2 dst_sel:DWORD dst_unused:UNUSED_PAD src0_sel:WORD_1
	v_cvt_f32_f16_e32 v12, v13
	v_cvt_f32_f16_sdwa v13, v13 dst_sel:DWORD dst_unused:UNUSED_PAD src0_sel:WORD_1
	v_pack_b32_f16 v15, v15, v19
	v_pk_mul_f16 v55, v17, v157 op_sel_hi:[0,1]
	v_pk_mul_f16 v57, v17, v158 op_sel_hi:[0,1]
	v_add_f32_e32 v5, v25, v5
	v_cndmask_b32_e32 v5, v25, v5, vcc
	v_fmac_f32_e32 v5, v1, v16
	v_pk_mul_f16 v56, v17, v159 op_sel_hi:[0,1]
	v_pk_mul_f16 v159, v17, v161 op_sel_hi:[0,1]
	v_readlane_b32 s28, v179, 55
	v_readlane_b32 s29, v179, 56
	s_cselect_b64 s[26:27], -1, 0
	s_xor_b64 s[28:29], s[28:29], -1
	s_or_b64 s[26:27], s[28:29], s[26:27]
	s_waitcnt vmcnt(0) lgkmcnt(0)
	ds_write_b128 v142, v[6:9]
	s_waitcnt lgkmcnt(0)
	s_barrier
	ds_read_u16 v2, v75
	ds_read_u16 v9, v75 offset:32
	ds_read_u16 v52, v75 offset:64
	;; [unrolled: 1-line block ×4, first 2 shown]
	ds_read_u16 v3, v77
	ds_read_u16 v48, v77 offset:32
	ds_read_u16 v54, v77 offset:64
	;; [unrolled: 1-line block ×10, first 2 shown]
	s_waitcnt lgkmcnt(5)
	v_perm_b32 v3, v3, v6, s97
	s_waitcnt lgkmcnt(4)
	v_perm_b32 v2, v7, v2, s97
	v_cvt_f32_f16_e32 v6, v33
	v_cvt_f32_f16_sdwa v7, v33 dst_sel:DWORD dst_unused:UNUSED_PAD src0_sel:WORD_1
	v_mfma_f32_16x16x16f16 v[10:13], v[2:3], v[14:15], v[10:13]
	s_waitcnt lgkmcnt(2)
	v_perm_b32 v3, v48, v50, s97
	s_waitcnt lgkmcnt(1)
	v_perm_b32 v2, v68, v9, s97
	v_cvt_f32_f16_e32 v8, v47
	v_cvt_f32_f16_sdwa v9, v47 dst_sel:DWORD dst_unused:UNUSED_PAD src0_sel:WORD_1
	v_cvt_f32_f16_e32 v48, v49
	v_cvt_f32_f16_sdwa v49, v49 dst_sel:DWORD dst_unused:UNUSED_PAD src0_sel:WORD_1
	v_cvt_f32_f16_e32 v50, v51
	v_mfma_f32_16x16x16f16 v[6:9], v[2:3], v[14:15], v[6:9]
	ds_read_u16 v2, v144 offset:208
	ds_read_u16 v3, v144 offset:416
	;; [unrolled: 1-line block ×8, first 2 shown]
	s_waitcnt lgkmcnt(6)
	v_perm_b32 v3, v54, v3, s97
	v_perm_b32 v2, v2, v52, s97
	v_cvt_f32_f16_sdwa v51, v51 dst_sel:DWORD dst_unused:UNUSED_PAD src0_sel:WORD_1
	v_cvt_f32_f16_e32 v52, v53
	v_cvt_f32_f16_sdwa v53, v53 dst_sel:DWORD dst_unused:UNUSED_PAD src0_sel:WORD_1
	v_cvt_f32_f16_e32 v54, v55
	v_mfma_f32_16x16x16f16 v[48:51], v[2:3], v[14:15], v[48:51]
	s_waitcnt lgkmcnt(4)
	v_perm_b32 v3, v62, v33, s97
	v_perm_b32 v2, v19, v58, s97
	v_cvt_f32_f16_sdwa v55, v55 dst_sel:DWORD dst_unused:UNUSED_PAD src0_sel:WORD_1
	v_cvt_f16_f32_e32 v1, v10
	v_cvt_f16_f32_e32 v10, v13
	;; [unrolled: 1-line block ×4, first 2 shown]
	v_mfma_f32_16x16x16f16 v[52:55], v[2:3], v[14:15], v[52:55]
	v_cvt_f16_f32_e32 v2, v11
	v_cvt_f16_f32_e32 v3, v12
	v_pk_mul_f16 v19, v17, v160 op_sel_hi:[0,1]
	v_cvt_f16_f32_e32 v6, v6
	v_cvt_f16_f32_e32 v7, v7
	;; [unrolled: 1-line block ×6, first 2 shown]
	s_nop 1
	v_cvt_f16_f32_e32 v25, v52
	v_cvt_f16_f32_e32 v52, v54
	v_pack_b32_f16 v2, v1, v2
	v_pack_b32_f16 v1, v3, v10
	;; [unrolled: 1-line block ×3, first 2 shown]
	v_cvt_f16_f32_e32 v9, v55
	v_pack_b32_f16 v6, v6, v7
	v_pack_b32_f16 v8, v11, v12
	s_waitcnt lgkmcnt(2)
	v_perm_b32 v13, v64, v68, s97
	v_perm_b32 v12, v47, v60, s97
	v_pack_b32_f16 v7, v16, v17
	s_waitcnt lgkmcnt(0)
	v_perm_b32 v17, v156, v158, s97
	v_perm_b32 v16, v157, v66, s97
	v_cvt_f16_f32_e32 v33, v53
	v_cvt_f32_f16_e32 v48, v56
	v_cvt_f32_f16_sdwa v49, v56 dst_sel:DWORD dst_unused:UNUSED_PAD src0_sel:WORD_1
	v_cvt_f32_f16_e32 v50, v57
	v_cvt_f32_f16_sdwa v51, v57 dst_sel:DWORD dst_unused:UNUSED_PAD src0_sel:WORD_1
	v_pack_b32_f16 v9, v52, v9
	v_cvt_f32_f16_e32 v52, v159
	v_cvt_f32_f16_sdwa v53, v159 dst_sel:DWORD dst_unused:UNUSED_PAD src0_sel:WORD_1
	v_cvt_f32_f16_e32 v54, v19
	v_cvt_f32_f16_sdwa v55, v19 dst_sel:DWORD dst_unused:UNUSED_PAD src0_sel:WORD_1
	v_mfma_f32_16x16x16f16 v[48:51], v[12:13], v[14:15], v[48:51]
	v_pack_b32_f16 v10, v25, v33
	ds_bpermute_b32 v25, v23, v5
	s_waitcnt lgkmcnt(0)
	s_barrier
	v_add_f32_e32 v5, v5, v25
	v_mfma_f32_16x16x16f16 v[14:17], v[16:17], v[14:15], v[52:55]
	s_nop 4
	v_cvt_f16_f32_e32 v11, v48
	v_cvt_f16_f32_e32 v12, v49
	;; [unrolled: 1-line block ×4, first 2 shown]
	v_pack_b32_f16 v12, v11, v12
	s_nop 0
	v_cvt_f16_f32_e32 v14, v14
	v_cvt_f16_f32_e32 v15, v15
	v_pack_b32_f16 v11, v13, v19
	v_cvt_f16_f32_e32 v13, v16
	v_cvt_f16_f32_e32 v16, v17
	v_pack_b32_f16 v14, v14, v15
	ds_bpermute_b32 v15, v21, v5
	v_pack_b32_f16 v13, v13, v16
	s_waitcnt lgkmcnt(0)
	v_add_f32_e32 v5, v5, v15
	s_and_saveexec_b64 s[28:29], s[26:27]
	s_xor_b64 s[26:27], exec, s[28:29]
	s_andn2_saveexec_b64 s[26:27], s[26:27]
	s_cbranch_execz .LBB14_55
; %bb.54:                               ;   in Loop: Header=BB14_16 Depth=1
	global_load_dword v15, v134, s[78:79]
	v_max_f32_e32 v17, v4, v4
	s_waitcnt vmcnt(0)
	v_max_f32_e32 v16, v15, v15
	v_max_f32_e32 v16, v17, v16
	v_sub_f32_e32 v4, v4, v16
	v_mul_f32_e32 v17, 0x3fb8aa3b, v4
	v_fma_f32 v19, v4, s62, -v17
	v_rndne_f32_e32 v25, v17
	v_fmac_f32_e32 v19, 0x32a5705f, v4
	v_sub_f32_e32 v17, v17, v25
	v_add_f32_e32 v17, v17, v19
	v_exp_f32_e32 v17, v17
	v_cvt_i32_f32_e32 v19, v25
	v_cmp_ngt_f32_e32 vcc, s98, v4
	v_sub_f32_e32 v15, v15, v16
	v_ldexp_f32 v17, v17, v19
	v_cndmask_b32_e32 v17, 0, v17, vcc
	v_cmp_nlt_f32_e32 vcc, s57, v4
	v_cndmask_b32_e32 v17, v154, v17, vcc
	v_cmp_le_f32_e32 vcc, s99, v4
	v_cndmask_b32_e32 v4, 0, v17, vcc
	v_cvt_f16_f32_e32 v17, v4
	v_cmp_ngt_f32_e32 vcc, s98, v15
	v_pk_mul_f16 v2, v17, v2 op_sel_hi:[0,1]
	v_pk_mul_f16 v1, v17, v1 op_sel_hi:[0,1]
	;; [unrolled: 1-line block ×12, first 2 shown]
	v_mul_f32_e32 v17, 0x3fb8aa3b, v15
	v_fma_f32 v19, v15, s62, -v17
	v_rndne_f32_e32 v25, v17
	v_fmac_f32_e32 v19, 0x32a5705f, v15
	v_sub_f32_e32 v17, v17, v25
	v_add_f32_e32 v17, v17, v19
	v_exp_f32_e32 v17, v17
	v_cvt_i32_f32_e32 v19, v25
	v_ldexp_f32 v17, v17, v19
	v_cndmask_b32_e32 v17, 0, v17, vcc
	v_cmp_nlt_f32_e32 vcc, s57, v15
	v_cndmask_b32_e32 v17, v154, v17, vcc
	v_fmac_f32_e32 v17, v5, v4
	v_pk_mov_b32 v[4:5], v[16:17], v[16:17] op_sel:[0,1]
.LBB14_55:                              ;   in Loop: Header=BB14_16 Depth=1
	s_or_b64 exec, exec, s[26:27]
	s_mov_b64 s[26:27], exec
	v_readlane_b32 s28, v179, 59
	v_readlane_b32 s29, v179, 60
	s_and_b64 s[28:29], s[26:27], s[28:29]
	s_mov_b64 exec, s[28:29]
	s_cbranch_execz .LBB14_57
; %bb.56:                               ;   in Loop: Header=BB14_16 Depth=1
	v_add_u32_e32 v15, 0, v94
	ds_write2_b32 v15, v4, v5 offset0:48 offset1:49
.LBB14_57:                              ;   in Loop: Header=BB14_16 Depth=1
	s_or_b64 exec, exec, s[26:27]
	s_waitcnt lgkmcnt(0)
	s_barrier
	s_mov_b64 s[26:27], exec
	v_readlane_b32 s28, v179, 57
	v_readlane_b32 s29, v179, 58
	s_and_b64 s[28:29], s[26:27], s[28:29]
	s_xor_b64 s[26:27], s[28:29], s[26:27]
	s_mov_b64 exec, s[28:29]
	s_cbranch_execz .LBB14_59
; %bb.58:                               ;   in Loop: Header=BB14_16 Depth=1
	s_barrier
	s_waitcnt lgkmcnt(0)
                                        ; implicit-def: $vgpr23
                                        ; implicit-def: $vgpr21
.LBB14_59:                              ;   in Loop: Header=BB14_16 Depth=1
	s_andn2_saveexec_b64 s[26:27], s[26:27]
	s_cbranch_execz .LBB14_63
; %bb.60:                               ;   in Loop: Header=BB14_16 Depth=1
	v_add_u32_e32 v5, 0, v94
	ds_read_b64 v[16:17], v5 offset:192
	s_waitcnt lgkmcnt(0)
	s_barrier
	ds_bpermute_b32 v4, v23, v16
	v_max_f32_e32 v15, v16, v16
	s_waitcnt lgkmcnt(0)
	v_max_f32_e32 v4, v4, v4
	v_max_f32_e32 v4, v15, v4
	ds_bpermute_b32 v15, v21, v4
	s_waitcnt lgkmcnt(0)
	v_max_f32_e32 v15, v15, v15
	v_max_f32_e32 v4, v4, v15
	v_sub_f32_e32 v15, v16, v4
	v_mul_f32_e32 v16, 0x3fb8aa3b, v15
	v_fma_f32 v19, v15, s62, -v16
	v_rndne_f32_e32 v25, v16
	v_fmac_f32_e32 v19, 0x32a5705f, v15
	v_sub_f32_e32 v16, v16, v25
	v_add_f32_e32 v16, v16, v19
	v_cvt_i32_f32_e32 v25, v25
	v_exp_f32_e32 v16, v16
	v_cmp_ngt_f32_e32 vcc, s98, v15
	v_ldexp_f32 v16, v16, v25
	v_cndmask_b32_e32 v16, 0, v16, vcc
	v_cmp_nlt_f32_e32 vcc, s57, v15
	v_cndmask_b32_e32 v16, v154, v16, vcc
	v_mul_f32_e32 v15, v17, v16
	ds_bpermute_b32 v15, v23, v15
	s_waitcnt lgkmcnt(0)
	v_fmac_f32_e32 v15, v17, v16
	ds_bpermute_b32 v17, v21, v15
	s_waitcnt lgkmcnt(0)
	v_add_f32_e32 v17, v15, v17
	ds_write_b64 v5, v[16:17] offset:192
	s_mov_b64 s[28:29], exec
	v_readlane_b32 s30, v179, 59
	v_readlane_b32 s31, v179, 60
	s_and_b64 s[30:31], s[28:29], s[30:31]
	s_mov_b64 exec, s[30:31]
	s_cbranch_execz .LBB14_62
; %bb.61:                               ;   in Loop: Header=BB14_16 Depth=1
	v_mov_b32_e32 v5, v17
	global_store_dwordx2 v[26:27], v[4:5], off
.LBB14_62:                              ;   in Loop: Header=BB14_16 Depth=1
	s_or_b64 exec, exec, s[28:29]
.LBB14_63:                              ;   in Loop: Header=BB14_16 Depth=1
	s_or_b64 exec, exec, s[26:27]
	ds_write2_b32 v95, v2, v1 offset1:1
	ds_write2_b32 v95, v6, v3 offset0:8 offset1:9
	ds_write2_b32 v95, v8, v7 offset0:16 offset1:17
	;; [unrolled: 1-line block ×5, first 2 shown]
	s_waitcnt lgkmcnt(0)
	s_barrier
	s_mov_b64 s[26:27], exec
	v_readlane_b32 s28, v179, 55
	v_readlane_b32 s29, v179, 56
	s_and_b64 s[28:29], s[26:27], s[28:29]
	s_mov_b64 exec, s[28:29]
	s_cbranch_execz .LBB14_118
; %bb.64:                               ;   in Loop: Header=BB14_16 Depth=1
	v_add_u32_e32 v1, s20, v78
	v_cmp_gt_i32_e32 vcc, s76, v1
	v_mov_b32_e32 v2, 0x47
	s_and_saveexec_b64 s[28:29], vcc
	s_cbranch_execz .LBB14_66
; %bb.65:                               ;   in Loop: Header=BB14_16 Depth=1
	v_add_u32_e32 v2, 0, v97
	v_add_u32_e32 v6, 0xc0, v2
	ds_read2st64_b32 v[2:3], v6 offset1:13
	ds_read2st64_b32 v[4:5], v98 offset1:13
	ds_read2st64_b32 v[6:7], v6 offset0:26 offset1:39
	ds_read2st64_b32 v[8:9], v98 offset0:26 offset1:39
	v_readlane_b32 s21, v179, 44
	v_mad_u64_u32 v[10:11], s[30:31], v1, s21, v[34:35]
	s_waitcnt lgkmcnt(2)
	v_cvt_f32_f16_sdwa v13, v4 dst_sel:DWORD dst_unused:UNUSED_PAD src0_sel:WORD_1
	v_cvt_f32_f16_e32 v12, v4
	v_cvt_f32_f16_sdwa v15, v5 dst_sel:DWORD dst_unused:UNUSED_PAD src0_sel:WORD_1
	v_cvt_f32_f16_e32 v14, v5
	s_waitcnt lgkmcnt(0)
	v_cvt_f32_f16_sdwa v5, v8 dst_sel:DWORD dst_unused:UNUSED_PAD src0_sel:WORD_1
	v_cvt_f32_f16_e32 v4, v8
	v_pk_fma_f32 v[12:13], v[2:3], v[12:13], 0 op_sel_hi:[0,1,0]
	v_mov_b32_e32 v2, v3
	v_pk_fma_f32 v[2:3], v[2:3], v[14:15], v[12:13] op_sel_hi:[0,1,1]
	v_pk_fma_f32 v[2:3], v[6:7], v[4:5], v[2:3] op_sel_hi:[0,1,1]
	v_cvt_f32_f16_sdwa v5, v9 dst_sel:DWORD dst_unused:UNUSED_PAD src0_sel:WORD_1
	v_cvt_f32_f16_e32 v4, v9
	v_ashrrev_i32_e32 v11, 31, v10
	v_lshlrev_b64 v[10:11], 3, v[10:11]
	v_add_co_u32_e32 v10, vcc, s73, v10
	v_mov_b32_e32 v1, s74
	v_mov_b32_e32 v6, v7
	v_addc_co_u32_e32 v11, vcc, v1, v11, vcc
	v_pk_fma_f32 v[2:3], v[6:7], v[4:5], v[2:3] op_sel_hi:[0,1,1]
	global_store_dwordx2 v[10:11], v[2:3], off
	v_mov_b32_e32 v2, 0
.LBB14_66:                              ;   in Loop: Header=BB14_16 Depth=1
	s_or_b64 exec, exec, s[28:29]
	s_movk_i32 s21, 0x47
	v_cmp_gt_i32_e32 vcc, s21, v2
	s_mov_b64 s[30:31], -1
	s_and_saveexec_b64 s[28:29], vcc
; %bb.67:                               ;   in Loop: Header=BB14_16 Depth=1
	v_cmp_eq_u32_e32 vcc, 0, v2
	s_orn2_b64 s[30:31], vcc, exec
; %bb.68:                               ;   in Loop: Header=BB14_16 Depth=1
	s_or_b64 exec, exec, s[28:29]
	s_and_saveexec_b64 s[28:29], s[30:31]
	s_cbranch_execz .LBB14_101
; %bb.69:                               ;   in Loop: Header=BB14_16 Depth=1
	v_add_u32_e32 v1, s20, v80
	v_cmp_gt_i32_e32 vcc, s76, v1
	v_mov_b32_e32 v2, 0x47
	s_and_saveexec_b64 s[30:31], vcc
	s_cbranch_execz .LBB14_71
; %bb.70:                               ;   in Loop: Header=BB14_16 Depth=1
	v_add_u32_e32 v2, 0, v99
	v_add_u32_e32 v6, 0xc0, v2
	ds_read2st64_b32 v[2:3], v6 offset1:13
	ds_read2st64_b32 v[4:5], v100 offset1:13
	ds_read2st64_b32 v[6:7], v6 offset0:26 offset1:39
	ds_read2st64_b32 v[8:9], v100 offset0:26 offset1:39
	v_readlane_b32 s21, v179, 44
	v_mad_u64_u32 v[10:11], s[34:35], v1, s21, v[34:35]
	s_waitcnt lgkmcnt(2)
	v_cvt_f32_f16_sdwa v13, v4 dst_sel:DWORD dst_unused:UNUSED_PAD src0_sel:WORD_1
	v_cvt_f32_f16_e32 v12, v4
	v_cvt_f32_f16_sdwa v15, v5 dst_sel:DWORD dst_unused:UNUSED_PAD src0_sel:WORD_1
	v_cvt_f32_f16_e32 v14, v5
	s_waitcnt lgkmcnt(0)
	v_cvt_f32_f16_sdwa v5, v8 dst_sel:DWORD dst_unused:UNUSED_PAD src0_sel:WORD_1
	v_cvt_f32_f16_e32 v4, v8
	v_pk_fma_f32 v[12:13], v[2:3], v[12:13], 0 op_sel_hi:[0,1,0]
	v_mov_b32_e32 v2, v3
	v_pk_fma_f32 v[2:3], v[2:3], v[14:15], v[12:13] op_sel_hi:[0,1,1]
	v_pk_fma_f32 v[2:3], v[6:7], v[4:5], v[2:3] op_sel_hi:[0,1,1]
	v_cvt_f32_f16_sdwa v5, v9 dst_sel:DWORD dst_unused:UNUSED_PAD src0_sel:WORD_1
	v_cvt_f32_f16_e32 v4, v9
	v_ashrrev_i32_e32 v11, 31, v10
	v_lshlrev_b64 v[10:11], 3, v[10:11]
	v_add_co_u32_e32 v10, vcc, s73, v10
	v_mov_b32_e32 v1, s74
	v_mov_b32_e32 v6, v7
	v_addc_co_u32_e32 v11, vcc, v1, v11, vcc
	v_pk_fma_f32 v[2:3], v[6:7], v[4:5], v[2:3] op_sel_hi:[0,1,1]
	global_store_dwordx2 v[10:11], v[2:3], off
	v_mov_b32_e32 v2, 0
.LBB14_71:                              ;   in Loop: Header=BB14_16 Depth=1
	s_or_b64 exec, exec, s[30:31]
	s_movk_i32 s21, 0x47
	v_cmp_gt_i32_e32 vcc, s21, v2
	s_mov_b64 s[30:31], -1
	s_and_saveexec_b64 s[34:35], vcc
; %bb.72:                               ;   in Loop: Header=BB14_16 Depth=1
	v_cmp_eq_u32_e32 vcc, 0, v2
	s_orn2_b64 s[30:31], vcc, exec
; %bb.73:                               ;   in Loop: Header=BB14_16 Depth=1
	s_or_b64 exec, exec, s[34:35]
	s_and_b64 exec, exec, s[30:31]
	s_cbranch_execz .LBB14_101
; %bb.74:                               ;   in Loop: Header=BB14_16 Depth=1
	v_add_u32_e32 v1, s20, v81
	v_cmp_gt_i32_e32 vcc, s76, v1
	v_mov_b32_e32 v2, 0x47
	s_and_saveexec_b64 s[30:31], vcc
	s_cbranch_execz .LBB14_76
; %bb.75:                               ;   in Loop: Header=BB14_16 Depth=1
	v_add_u32_e32 v2, 0, v101
	v_add_u32_e32 v6, 0xc0, v2
	ds_read2st64_b32 v[2:3], v6 offset1:13
	ds_read2st64_b32 v[4:5], v102 offset1:13
	ds_read2st64_b32 v[6:7], v6 offset0:26 offset1:39
	ds_read2st64_b32 v[8:9], v102 offset0:26 offset1:39
	v_readlane_b32 s21, v179, 44
	v_mad_u64_u32 v[10:11], s[34:35], v1, s21, v[34:35]
	s_waitcnt lgkmcnt(2)
	v_cvt_f32_f16_sdwa v13, v4 dst_sel:DWORD dst_unused:UNUSED_PAD src0_sel:WORD_1
	v_cvt_f32_f16_e32 v12, v4
	v_cvt_f32_f16_sdwa v15, v5 dst_sel:DWORD dst_unused:UNUSED_PAD src0_sel:WORD_1
	v_cvt_f32_f16_e32 v14, v5
	s_waitcnt lgkmcnt(0)
	v_cvt_f32_f16_sdwa v5, v8 dst_sel:DWORD dst_unused:UNUSED_PAD src0_sel:WORD_1
	v_cvt_f32_f16_e32 v4, v8
	v_pk_fma_f32 v[12:13], v[2:3], v[12:13], 0 op_sel_hi:[0,1,0]
	v_mov_b32_e32 v2, v3
	v_pk_fma_f32 v[2:3], v[2:3], v[14:15], v[12:13] op_sel_hi:[0,1,1]
	v_pk_fma_f32 v[2:3], v[6:7], v[4:5], v[2:3] op_sel_hi:[0,1,1]
	v_cvt_f32_f16_sdwa v5, v9 dst_sel:DWORD dst_unused:UNUSED_PAD src0_sel:WORD_1
	v_cvt_f32_f16_e32 v4, v9
	v_ashrrev_i32_e32 v11, 31, v10
	v_lshlrev_b64 v[10:11], 3, v[10:11]
	v_add_co_u32_e32 v10, vcc, s73, v10
	v_mov_b32_e32 v1, s74
	v_mov_b32_e32 v6, v7
	v_addc_co_u32_e32 v11, vcc, v1, v11, vcc
	v_pk_fma_f32 v[2:3], v[6:7], v[4:5], v[2:3] op_sel_hi:[0,1,1]
	global_store_dwordx2 v[10:11], v[2:3], off
	v_mov_b32_e32 v2, 0
.LBB14_76:                              ;   in Loop: Header=BB14_16 Depth=1
	s_or_b64 exec, exec, s[30:31]
	s_movk_i32 s21, 0x47
	v_cmp_gt_i32_e32 vcc, s21, v2
	s_mov_b64 s[30:31], -1
	s_and_saveexec_b64 s[34:35], vcc
; %bb.77:                               ;   in Loop: Header=BB14_16 Depth=1
	v_cmp_eq_u32_e32 vcc, 0, v2
	s_orn2_b64 s[30:31], vcc, exec
; %bb.78:                               ;   in Loop: Header=BB14_16 Depth=1
	s_or_b64 exec, exec, s[34:35]
	s_and_b64 exec, exec, s[30:31]
	;; [unrolled: 51-line block ×6, first 2 shown]
	s_cbranch_execz .LBB14_101
; %bb.99:                               ;   in Loop: Header=BB14_16 Depth=1
	v_add_u32_e32 v1, s20, v86
	v_cmp_gt_i32_e32 vcc, s76, v1
	s_and_b64 exec, exec, vcc
	s_cbranch_execz .LBB14_101
; %bb.100:                              ;   in Loop: Header=BB14_16 Depth=1
	v_add_u32_e32 v2, 0, v111
	v_add_u32_e32 v6, 0xc0, v2
	ds_read2st64_b32 v[2:3], v6 offset1:13
	ds_read2st64_b32 v[4:5], v112 offset1:13
	ds_read2st64_b32 v[6:7], v6 offset0:26 offset1:39
	ds_read2st64_b32 v[8:9], v112 offset0:26 offset1:39
	v_readlane_b32 s21, v179, 44
	v_mad_u64_u32 v[10:11], s[30:31], v1, s21, v[34:35]
	s_waitcnt lgkmcnt(2)
	v_cvt_f32_f16_sdwa v13, v4 dst_sel:DWORD dst_unused:UNUSED_PAD src0_sel:WORD_1
	v_cvt_f32_f16_e32 v12, v4
	v_cvt_f32_f16_sdwa v15, v5 dst_sel:DWORD dst_unused:UNUSED_PAD src0_sel:WORD_1
	v_cvt_f32_f16_e32 v14, v5
	s_waitcnt lgkmcnt(0)
	v_cvt_f32_f16_sdwa v5, v8 dst_sel:DWORD dst_unused:UNUSED_PAD src0_sel:WORD_1
	v_cvt_f32_f16_e32 v4, v8
	v_pk_fma_f32 v[12:13], v[2:3], v[12:13], 0 op_sel_hi:[0,1,0]
	v_mov_b32_e32 v2, v3
	v_pk_fma_f32 v[2:3], v[2:3], v[14:15], v[12:13] op_sel_hi:[0,1,1]
	v_pk_fma_f32 v[2:3], v[6:7], v[4:5], v[2:3] op_sel_hi:[0,1,1]
	v_cvt_f32_f16_sdwa v5, v9 dst_sel:DWORD dst_unused:UNUSED_PAD src0_sel:WORD_1
	v_cvt_f32_f16_e32 v4, v9
	v_ashrrev_i32_e32 v11, 31, v10
	v_lshlrev_b64 v[10:11], 3, v[10:11]
	v_add_co_u32_e32 v10, vcc, s73, v10
	v_mov_b32_e32 v1, s74
	v_mov_b32_e32 v6, v7
	v_addc_co_u32_e32 v11, vcc, v1, v11, vcc
	v_pk_fma_f32 v[2:3], v[6:7], v[4:5], v[2:3] op_sel_hi:[0,1,1]
	global_store_dwordx2 v[10:11], v[2:3], off
.LBB14_101:                             ;   in Loop: Header=BB14_16 Depth=1
	s_or_b64 exec, exec, s[28:29]
	v_add_u32_e32 v2, s20, v79
	v_cmp_gt_i32_e32 vcc, s76, v2
	v_mov_b32_e32 v1, 0x47
	s_and_saveexec_b64 s[28:29], vcc
	s_cbranch_execz .LBB14_103
; %bb.102:                              ;   in Loop: Header=BB14_16 Depth=1
	v_readlane_b32 s21, v179, 44
	v_mul_lo_u32 v1, v2, s21
	v_add_u32_e32 v2, 0, v113
	v_add_u32_e32 v6, 0xc0, v2
	v_add_u32_e32 v8, 0x80, v114
	ds_read2st64_b32 v[2:3], v6 offset1:13
	ds_read2st64_b32 v[4:5], v8 offset1:13
	ds_read2st64_b32 v[6:7], v6 offset0:26 offset1:39
	ds_read2st64_b32 v[8:9], v8 offset0:26 offset1:39
	v_ashrrev_i32_e32 v11, 31, v1
	v_add_co_u32_e32 v10, vcc, v1, v20
	s_waitcnt lgkmcnt(2)
	v_cvt_f32_f16_sdwa v13, v4 dst_sel:DWORD dst_unused:UNUSED_PAD src0_sel:WORD_1
	v_cvt_f32_f16_e32 v12, v4
	v_cvt_f32_f16_sdwa v15, v5 dst_sel:DWORD dst_unused:UNUSED_PAD src0_sel:WORD_1
	v_cvt_f32_f16_e32 v14, v5
	s_waitcnt lgkmcnt(0)
	v_cvt_f32_f16_sdwa v5, v8 dst_sel:DWORD dst_unused:UNUSED_PAD src0_sel:WORD_1
	v_cvt_f32_f16_e32 v4, v8
	v_pk_fma_f32 v[12:13], v[2:3], v[12:13], 0 op_sel_hi:[0,1,0]
	v_mov_b32_e32 v2, v3
	v_pk_fma_f32 v[2:3], v[2:3], v[14:15], v[12:13] op_sel_hi:[0,1,1]
	v_pk_fma_f32 v[2:3], v[6:7], v[4:5], v[2:3] op_sel_hi:[0,1,1]
	v_cvt_f32_f16_sdwa v5, v9 dst_sel:DWORD dst_unused:UNUSED_PAD src0_sel:WORD_1
	v_cvt_f32_f16_e32 v4, v9
	v_addc_co_u32_e32 v11, vcc, 0, v11, vcc
	v_lshlrev_b64 v[10:11], 3, v[10:11]
	v_add_co_u32_e32 v10, vcc, s73, v10
	v_mov_b32_e32 v1, s74
	v_mov_b32_e32 v6, v7
	v_addc_co_u32_e32 v11, vcc, v1, v11, vcc
	v_pk_fma_f32 v[2:3], v[6:7], v[4:5], v[2:3] op_sel_hi:[0,1,1]
	v_mov_b32_e32 v1, 0
	global_store_dwordx2 v[10:11], v[2:3], off offset:256
.LBB14_103:                             ;   in Loop: Header=BB14_16 Depth=1
	s_or_b64 exec, exec, s[28:29]
	s_movk_i32 s21, 0x47
	v_cmp_gt_i32_e32 vcc, s21, v1
	s_mov_b64 s[28:29], -1
	s_and_saveexec_b64 s[30:31], vcc
; %bb.104:                              ;   in Loop: Header=BB14_16 Depth=1
	v_cmp_eq_u32_e32 vcc, 0, v1
	s_orn2_b64 s[28:29], vcc, exec
; %bb.105:                              ;   in Loop: Header=BB14_16 Depth=1
	s_or_b64 exec, exec, s[30:31]
	s_and_b64 exec, exec, s[28:29]
	s_cbranch_execz .LBB14_118
; %bb.106:                              ;   in Loop: Header=BB14_16 Depth=1
	v_add_u32_e32 v2, s20, v87
	v_cmp_gt_i32_e32 vcc, s76, v2
	v_mov_b32_e32 v1, 0x47
	s_and_saveexec_b64 s[28:29], vcc
	s_cbranch_execz .LBB14_108
; %bb.107:                              ;   in Loop: Header=BB14_16 Depth=1
	v_readlane_b32 s21, v179, 44
	v_mul_lo_u32 v1, v2, s21
	v_add_u32_e32 v2, 0, v115
	v_add_u32_e32 v6, 0xc0, v2
	v_add_u32_e32 v8, 0x80, v116
	ds_read2st64_b32 v[2:3], v6 offset1:13
	ds_read2st64_b32 v[4:5], v8 offset1:13
	ds_read2st64_b32 v[6:7], v6 offset0:26 offset1:39
	ds_read2st64_b32 v[8:9], v8 offset0:26 offset1:39
	v_ashrrev_i32_e32 v11, 31, v1
	v_add_co_u32_e32 v10, vcc, v1, v20
	s_waitcnt lgkmcnt(2)
	v_cvt_f32_f16_sdwa v13, v4 dst_sel:DWORD dst_unused:UNUSED_PAD src0_sel:WORD_1
	v_cvt_f32_f16_e32 v12, v4
	v_cvt_f32_f16_sdwa v15, v5 dst_sel:DWORD dst_unused:UNUSED_PAD src0_sel:WORD_1
	v_cvt_f32_f16_e32 v14, v5
	s_waitcnt lgkmcnt(0)
	v_cvt_f32_f16_sdwa v5, v8 dst_sel:DWORD dst_unused:UNUSED_PAD src0_sel:WORD_1
	v_cvt_f32_f16_e32 v4, v8
	v_pk_fma_f32 v[12:13], v[2:3], v[12:13], 0 op_sel_hi:[0,1,0]
	v_mov_b32_e32 v2, v3
	v_pk_fma_f32 v[2:3], v[2:3], v[14:15], v[12:13] op_sel_hi:[0,1,1]
	v_pk_fma_f32 v[2:3], v[6:7], v[4:5], v[2:3] op_sel_hi:[0,1,1]
	v_cvt_f32_f16_sdwa v5, v9 dst_sel:DWORD dst_unused:UNUSED_PAD src0_sel:WORD_1
	v_cvt_f32_f16_e32 v4, v9
	v_addc_co_u32_e32 v11, vcc, 0, v11, vcc
	v_lshlrev_b64 v[10:11], 3, v[10:11]
	v_add_co_u32_e32 v10, vcc, s73, v10
	v_mov_b32_e32 v1, s74
	v_mov_b32_e32 v6, v7
	v_addc_co_u32_e32 v11, vcc, v1, v11, vcc
	v_pk_fma_f32 v[2:3], v[6:7], v[4:5], v[2:3] op_sel_hi:[0,1,1]
	v_mov_b32_e32 v1, 0
	global_store_dwordx2 v[10:11], v[2:3], off offset:256
.LBB14_108:                             ;   in Loop: Header=BB14_16 Depth=1
	s_or_b64 exec, exec, s[28:29]
	s_movk_i32 s21, 0x47
	v_cmp_gt_i32_e32 vcc, s21, v1
	s_mov_b64 s[28:29], -1
	s_and_saveexec_b64 s[30:31], vcc
; %bb.109:                              ;   in Loop: Header=BB14_16 Depth=1
	v_cmp_eq_u32_e32 vcc, 0, v1
	s_orn2_b64 s[28:29], vcc, exec
; %bb.110:                              ;   in Loop: Header=BB14_16 Depth=1
	s_or_b64 exec, exec, s[30:31]
	s_and_b64 exec, exec, s[28:29]
	s_cbranch_execz .LBB14_118
; %bb.111:                              ;   in Loop: Header=BB14_16 Depth=1
	;; [unrolled: 54-line block ×3, first 2 shown]
	v_add_u32_e32 v1, s20, v89
	v_cmp_gt_i32_e32 vcc, s76, v1
	s_and_b64 exec, exec, vcc
	s_cbranch_execz .LBB14_118
; %bb.117:                              ;   in Loop: Header=BB14_16 Depth=1
	v_add_u32_e32 v2, 0, v119
	v_add_u32_e32 v6, 0xc0, v2
	;; [unrolled: 1-line block ×3, first 2 shown]
	ds_read2st64_b32 v[2:3], v6 offset1:13
	ds_read2st64_b32 v[4:5], v8 offset1:13
	ds_read2st64_b32 v[6:7], v6 offset0:26 offset1:39
	ds_read2st64_b32 v[8:9], v8 offset0:26 offset1:39
	v_readlane_b32 s20, v179, 44
	v_mul_lo_u32 v1, v1, s20
	s_waitcnt lgkmcnt(2)
	v_cvt_f32_f16_sdwa v13, v4 dst_sel:DWORD dst_unused:UNUSED_PAD src0_sel:WORD_1
	v_cvt_f32_f16_e32 v12, v4
	v_cvt_f32_f16_sdwa v15, v5 dst_sel:DWORD dst_unused:UNUSED_PAD src0_sel:WORD_1
	v_cvt_f32_f16_e32 v14, v5
	s_waitcnt lgkmcnt(0)
	v_cvt_f32_f16_sdwa v5, v8 dst_sel:DWORD dst_unused:UNUSED_PAD src0_sel:WORD_1
	v_cvt_f32_f16_e32 v4, v8
	v_pk_fma_f32 v[12:13], v[2:3], v[12:13], 0 op_sel_hi:[0,1,0]
	v_mov_b32_e32 v2, v3
	v_pk_fma_f32 v[2:3], v[2:3], v[14:15], v[12:13] op_sel_hi:[0,1,1]
	v_ashrrev_i32_e32 v11, 31, v1
	v_add_co_u32_e32 v10, vcc, v1, v20
	v_pk_fma_f32 v[2:3], v[6:7], v[4:5], v[2:3] op_sel_hi:[0,1,1]
	v_cvt_f32_f16_sdwa v5, v9 dst_sel:DWORD dst_unused:UNUSED_PAD src0_sel:WORD_1
	v_cvt_f32_f16_e32 v4, v9
	v_addc_co_u32_e32 v11, vcc, 0, v11, vcc
	v_lshlrev_b64 v[10:11], 3, v[10:11]
	v_add_co_u32_e32 v10, vcc, s73, v10
	v_mov_b32_e32 v1, s74
	v_mov_b32_e32 v6, v7
	v_addc_co_u32_e32 v11, vcc, v1, v11, vcc
	v_pk_fma_f32 v[2:3], v[6:7], v[4:5], v[2:3] op_sel_hi:[0,1,1]
	global_store_dwordx2 v[10:11], v[2:3], off offset:256
.LBB14_118:                             ;   in Loop: Header=BB14_16 Depth=1
	s_or_b64 exec, exec, s[26:27]
	s_barrier
	s_branch .LBB14_15
.LBB14_119:                             ;   in Loop: Header=BB14_16 Depth=1
	s_lshl_b32 s85, s80, 4
	v_add_u32_e32 v1, s85, v90
	v_cmp_le_i32_e32 vcc, s76, v1
	s_and_saveexec_b64 s[20:21], vcc
	s_xor_b64 s[26:27], exec, s[20:21]
	s_cbranch_execz .LBB14_121
; %bb.120:                              ;   in Loop: Header=BB14_16 Depth=1
	ds_write_b32 v96, v134
                                        ; implicit-def: $vgpr1
.LBB14_121:                             ;   in Loop: Header=BB14_16 Depth=1
	s_andn2_saveexec_b64 s[26:27], s[26:27]
	s_cbranch_execz .LBB14_123
; %bb.122:                              ;   in Loop: Header=BB14_16 Depth=1
	v_readlane_b32 s20, v179, 19
	v_mad_u64_u32 v[2:3], s[20:21], v1, s20, v[34:35]
	v_ashrrev_i32_e32 v3, 31, v2
	v_lshlrev_b64 v[2:3], 3, v[2:3]
	v_mov_b32_e32 v1, s88
	v_add_co_u32_e32 v2, vcc, s90, v2
	v_addc_co_u32_e32 v3, vcc, v1, v3, vcc
	global_load_dwordx2 v[2:3], v[2:3], off
	s_waitcnt vmcnt(0)
	v_cvt_f16_f32_e32 v1, v2
	v_cvt_f16_f32_e32 v2, v3
	v_pack_b32_f16 v1, v1, v2
	v_pk_mul_f16 v1, v35, v1
	ds_write_b32 v96, v1
.LBB14_123:                             ;   in Loop: Header=BB14_16 Depth=1
	s_or_b64 exec, exec, s[26:27]
	v_add_u32_e32 v1, s85, v151
	v_cmp_le_i32_e32 vcc, s76, v1
	s_and_saveexec_b64 s[20:21], vcc
	s_xor_b64 s[26:27], exec, s[20:21]
	s_cbranch_execz .LBB14_125
; %bb.124:                              ;   in Loop: Header=BB14_16 Depth=1
	ds_write_b32 v96, v134 offset:1664
                                        ; implicit-def: $vgpr1
.LBB14_125:                             ;   in Loop: Header=BB14_16 Depth=1
	s_andn2_saveexec_b64 s[26:27], s[26:27]
	s_cbranch_execz .LBB14_127
; %bb.126:                              ;   in Loop: Header=BB14_16 Depth=1
	v_readlane_b32 s20, v179, 19
	v_mad_u64_u32 v[2:3], s[20:21], v1, s20, v[34:35]
	v_ashrrev_i32_e32 v3, 31, v2
	v_lshlrev_b64 v[2:3], 3, v[2:3]
	v_mov_b32_e32 v1, s88
	v_add_co_u32_e32 v2, vcc, s90, v2
	v_addc_co_u32_e32 v3, vcc, v1, v3, vcc
	global_load_dwordx2 v[2:3], v[2:3], off
	s_waitcnt vmcnt(0)
	v_cvt_f16_f32_e32 v1, v2
	v_cvt_f16_f32_e32 v2, v3
	v_pack_b32_f16 v1, v1, v2
	v_pk_mul_f16 v1, v35, v1
	ds_write_b32 v96, v1 offset:1664
.LBB14_127:                             ;   in Loop: Header=BB14_16 Depth=1
	s_or_b64 exec, exec, s[26:27]
	v_add_u32_e32 v1, s85, v91
	v_cmp_gt_i32_e32 vcc, s76, v1
	v_mov_b32_e32 v156, 0
	v_mov_b32_e32 v2, 0
	s_and_saveexec_b64 s[26:27], vcc
	s_cbranch_execz .LBB14_129
; %bb.128:                              ;   in Loop: Header=BB14_16 Depth=1
	v_readlane_b32 s20, v179, 19
	v_mul_lo_u32 v1, v1, s20
	v_ashrrev_i32_e32 v3, 31, v1
	v_add_co_u32_e32 v2, vcc, v1, v20
	v_addc_co_u32_e32 v3, vcc, 0, v3, vcc
	v_lshlrev_b64 v[2:3], 3, v[2:3]
	v_mov_b32_e32 v1, s88
	v_add_co_u32_e32 v2, vcc, s90, v2
	v_addc_co_u32_e32 v3, vcc, v1, v3, vcc
	global_load_dwordx2 v[2:3], v[2:3], off offset:256
	s_waitcnt vmcnt(0)
	v_cvt_f16_f32_e32 v1, v2
	v_cvt_f16_f32_e32 v2, v3
	v_pack_b32_f16 v1, v1, v2
	v_pk_mul_f16 v2, v35, v1
.LBB14_129:                             ;   in Loop: Header=BB14_16 Depth=1
	s_or_b64 exec, exec, s[26:27]
	ds_write_b32 v92, v2 offset:128
	s_waitcnt lgkmcnt(0)
	s_barrier
	ds_read2_b64 v[10:13], v65 offset1:4
	ds_read2_b64 v[6:9], v65 offset0:8 offset1:12
	ds_read2_b64 v[2:5], v65 offset0:16 offset1:20
	s_mov_b32 s20, 0
	s_cmp_lt_i32 s93, 2
	v_mov_b32_e32 v47, 0xfeffffff
	v_mov_b32_e32 v157, 0
	;; [unrolled: 1-line block ×13, first 2 shown]
	s_waitcnt lgkmcnt(0)
	s_barrier
	s_cbranch_scc1 .LBB14_138
; %bb.130:                              ;   in Loop: Header=BB14_16 Depth=1
	v_add_u32_e32 v1, s85, v45
	v_readlane_b32 s26, v179, 10
	v_mul_hi_u32 v14, s26, v1
	v_readlane_b32 s27, v179, 11
	v_add_u32_e32 v14, v1, v14
	v_lshrrev_b32_e32 v14, s27, v14
	v_mul_lo_u32 v14, v14, s76
	v_sub_u32_e32 v1, v1, v14
	v_add_u32_e32 v14, s85, v135
	v_mul_hi_u32 v15, s26, v14
	v_add_u32_e32 v15, v14, v15
	v_lshrrev_b32_e32 v15, s27, v15
	v_mul_lo_u32 v15, v15, s76
	v_sub_u32_e32 v16, v14, v15
	v_add_u32_e32 v14, s85, v137
	v_mul_hi_u32 v15, s26, v14
	;; [unrolled: 6-line block ×3, first 2 shown]
	v_add_u32_e32 v15, v14, v15
	v_lshrrev_b32_e32 v15, s27, v15
	v_mul_lo_u32 v15, v15, s76
	v_sub_u32_e32 v19, v14, v15
	v_and_b32_e32 v14, 64, v133
	v_add_u32_e32 v14, 64, v14
	v_xor_b32_e32 v15, 32, v133
	v_cmp_lt_i32_e32 vcc, v15, v14
	v_cndmask_b32_e32 v15, v133, v15, vcc
	s_add_i32 s20, s93, -1
	v_lshlrev_b32_e32 v168, 2, v15
	v_xor_b32_e32 v15, 16, v133
	s_cmp_lg_u64 s[68:69], 0
	v_cmp_lt_i32_e32 vcc, v15, v14
	v_readlane_b32 s21, v178, 6
	v_readlane_b32 s24, v178, 8
	s_cselect_b64 s[28:29], -1, 0
	v_cndmask_b32_e32 v14, v133, v15, vcc
	v_readlane_b32 s26, v179, 63
	s_add_u32 s21, s21, s24
	v_readlane_b32 s24, v178, 7
	v_lshlrev_b32_e32 v169, 2, v14
	v_pk_mov_b32 v[14:15], s[68:69], s[68:69] op_sel:[0,1]
	v_readlane_b32 s27, v178, 0
	s_mov_b32 s30, s26
	s_addc_u32 s24, s24, s63
	v_mad_i64_i32 v[56:57], s[26:27], s30, v1, v[14:15]
	v_mov_b32_e32 v1, s24
	v_add_co_u32_e32 v58, vcc, s21, v121
	v_addc_co_u32_e32 v1, vcc, v122, v1, vcc
	v_mad_i64_i32 v[50:51], s[26:27], s30, v19, v[14:15]
	v_mad_i64_i32 v[52:53], s[26:27], s30, v17, v[14:15]
	;; [unrolled: 1-line block ×3, first 2 shown]
	v_mov_b32_e32 v14, s24
	v_add_co_u32_e32 v60, vcc, s21, v123
	v_addc_co_u32_e32 v19, vcc, v124, v14, vcc
	v_add_co_u32_e32 v62, vcc, s21, v125
	s_add_u32 s21, s75, s77
	v_addc_co_u32_e32 v21, vcc, v126, v14, vcc
	s_addc_u32 s24, s95, s72
	v_mov_b32_e32 v14, s24
	v_add_co_u32_e32 v64, vcc, s21, v127
	v_addc_co_u32_e32 v23, vcc, v128, v14, vcc
	v_add_co_u32_e32 v66, vcc, s21, v129
	v_addc_co_u32_e32 v25, vcc, v130, v14, vcc
	v_add_co_u32_e32 v68, vcc, s21, v131
	v_mov_b32_e32 v158, 0
	v_mov_b32_e32 v48, v46
	;; [unrolled: 1-line block ×3, first 2 shown]
	v_addc_co_u32_e32 v33, vcc, v132, v14, vcc
	v_mov_b32_e32 v170, 0
	v_mov_b32_e32 v171, 0xfeffffff
	s_mov_b32 s21, s20
	v_mov_b32_e32 v165, 0
	v_mov_b32_e32 v164, 0
	;; [unrolled: 1-line block ×11, first 2 shown]
	v_cndmask_b32_e64 v14, 0, 1, s[28:29]
	v_cmp_ne_u32_e64 s[26:27], 1, v14
	s_andn2_b64 vcc, exec, s[28:29]
	s_cbranch_vccnz .LBB14_134
.LBB14_131:                             ;   in Loop: Header=BB14_16 Depth=1
	v_mov_b32_e32 v14, 0
	v_mov_b32_e32 v15, 0
	;; [unrolled: 1-line block ×4, first 2 shown]
	s_and_saveexec_b64 s[30:31], s[4:5]
	s_cbranch_execz .LBB14_133
; %bb.132:                              ;   in Loop: Header=BB14_16 Depth=1
	v_add_co_u32_e32 v14, vcc, v56, v32
	v_addc_co_u32_e32 v15, vcc, 0, v57, vcc
	v_add_co_u32_e32 v16, vcc, v54, v32
	v_addc_co_u32_e32 v17, vcc, 0, v55, vcc
	flat_load_ushort v14, v[14:15]
	s_nop 0
	flat_load_ushort v15, v[16:17]
	v_add_co_u32_e32 v16, vcc, v52, v32
	v_addc_co_u32_e32 v17, vcc, 0, v53, vcc
	v_add_co_u32_e32 v172, vcc, v50, v32
	v_addc_co_u32_e32 v173, vcc, 0, v51, vcc
	flat_load_ushort v16, v[16:17]
	s_nop 0
	flat_load_ushort v17, v[172:173]
.LBB14_133:                             ;   in Loop: Header=BB14_16 Depth=1
	s_or_b64 exec, exec, s[30:31]
	s_waitcnt vmcnt(0) lgkmcnt(0)
	ds_write_b16 v93, v14 offset:13312
	ds_write_b16 v136, v15 offset:13312
	;; [unrolled: 1-line block ×4, first 2 shown]
.LBB14_134:                             ;   Parent Loop BB14_16 Depth=1
                                        ; =>  This Inner Loop Header: Depth=2
	v_mov_b32_e32 v47, s67
	v_mov_b32_e32 v174, s66
	buffer_store_dword v134, off, s[0:3], 0
	buffer_store_dword v134, off, s[0:3], 0 offset:4
	buffer_store_dword v134, off, s[0:3], 0 offset:8
	;; [unrolled: 1-line block ×3, first 2 shown]
	v_cndmask_b32_e64 v15, v47, v23, s[6:7]
	v_cndmask_b32_e64 v14, v174, v64, s[6:7]
	flat_load_dwordx4 v[14:17], v[14:15]
	v_add_co_u32_e32 v172, vcc, v66, v44
	v_addc_co_u32_e32 v173, vcc, 0, v25, vcc
	v_cndmask_b32_e64 v173, v47, v173, s[36:37]
	v_cndmask_b32_e64 v172, v174, v172, s[36:37]
	s_waitcnt vmcnt(0) lgkmcnt(0)
	ds_write_b128 v69, v[14:17]
	flat_load_dwordx4 v[14:17], v[172:173]
	v_add_co_u32_e32 v172, vcc, v68, v44
	v_addc_co_u32_e32 v173, vcc, 0, v33, vcc
	v_cndmask_b32_e64 v173, v47, v173, s[10:11]
	v_cndmask_b32_e64 v172, v174, v172, s[10:11]
	s_and_b64 vcc, exec, s[26:27]
	s_waitcnt vmcnt(0) lgkmcnt(0)
	ds_write_b128 v71, v[14:17]
	flat_load_dwordx4 v[14:17], v[172:173]
	s_waitcnt vmcnt(0) lgkmcnt(0)
	ds_write_b128 v142, v[14:17]
	s_waitcnt lgkmcnt(0)
	s_barrier
	ds_read2_b64 v[14:17], v72 offset1:4
	s_waitcnt lgkmcnt(0)
	v_mfma_f32_16x16x16f16 v[172:175], v[14:15], v[10:11], 0
	v_mfma_f32_16x16x16f16 v[14:17], v[16:17], v[12:13], v[172:175]
	s_nop 7
	s_nop 1
	ds_read2_b64 v[172:175], v72 offset0:8 offset1:12
	s_waitcnt lgkmcnt(0)
	v_mfma_f32_16x16x16f16 v[14:17], v[172:173], v[6:7], v[14:17]
	v_mfma_f32_16x16x16f16 v[14:17], v[174:175], v[8:9], v[14:17]
	ds_read2_b64 v[172:175], v72 offset0:16 offset1:20
	s_waitcnt lgkmcnt(0)
	s_barrier
	v_mfma_f32_16x16x16f16 v[14:17], v[172:173], v[2:3], v[14:17]
	v_mfma_f32_16x16x16f16 v[14:17], v[174:175], v[4:5], v[14:17]
	s_cbranch_vccnz .LBB14_136
; %bb.135:                              ;   in Loop: Header=BB14_134 Depth=2
	v_add_u32_e32 v47, 0x3400, v74
	ds_read2_b32 v[172:173], v47 offset1:1
	v_mov_b32_e32 v47, v46
	s_waitcnt lgkmcnt(0)
	v_cvt_f32_f16_e32 v174, v172
	v_cvt_f32_f16_e32 v176, v173
	v_cvt_f32_f16_sdwa v177, v173 dst_sel:DWORD dst_unused:UNUSED_PAD src0_sel:WORD_1
	v_cvt_f32_f16_sdwa v175, v172 dst_sel:DWORD dst_unused:UNUSED_PAD src0_sel:WORD_1
	s_nop 1
	v_pk_fma_f32 v[16:17], v[46:47], v[176:177], v[16:17]
	v_pk_fma_f32 v[14:15], v[48:49], v[174:175], v[14:15]
.LBB14_136:                             ;   in Loop: Header=BB14_134 Depth=2
	v_add_f32_e32 v47, 0x40051340, v14
	v_max_f32_e32 v172, v171, v171
	v_max_f32_e32 v47, v172, v47
	v_cndmask_b32_e64 v47, v171, v47, s[12:13]
	v_add_f32_e32 v172, 0x40051340, v15
	v_max_f32_e32 v173, v47, v47
	v_max_f32_e32 v172, v173, v172
	v_cndmask_b32_e64 v47, v47, v172, s[14:15]
	s_nop 1
	v_add_f32_e32 v172, 0x40051340, v16
	v_max_f32_e32 v173, v47, v47
	v_max_f32_e32 v172, v173, v172
	v_cndmask_b32_e64 v47, v47, v172, s[16:17]
	v_add_f32_e32 v172, 0x40051340, v17
	v_max_f32_e32 v173, v47, v47
	v_max_f32_e32 v172, v173, v172
	v_cndmask_b32_e64 v47, v47, v172, s[18:19]
	ds_bpermute_b32 v172, v168, v47
	v_max_f32_e32 v47, v47, v47
	v_cndmask_b32_e64 v16, v16, v16, s[14:15]
	v_cndmask_b32_e64 v17, v17, v17, s[14:15]
	buffer_store_dword v134, off, s[0:3], 0
	buffer_store_dword v134, off, s[0:3], 0 offset:4
	buffer_store_dword v134, off, s[0:3], 0 offset:8
	;; [unrolled: 1-line block ×3, first 2 shown]
	s_waitcnt lgkmcnt(0)
	v_max_f32_e32 v172, v172, v172
	v_max_f32_e32 v47, v47, v172
	ds_bpermute_b32 v172, v169, v47
	s_add_i32 s21, s21, -1
	s_cmp_lg_u32 s21, 0
	s_waitcnt lgkmcnt(0)
	v_max_f32_e32 v172, v172, v172
	v_max_f32_e32 v47, v47, v172
	v_sub_f32_e32 v14, v14, v47
	v_mul_f32_e32 v172, 0x3fb8aa3b, v14
	v_fma_f32 v173, v14, s62, -v172
	v_rndne_f32_e32 v174, v172
	v_fmac_f32_e32 v173, 0x32a5705f, v14
	v_sub_f32_e32 v172, v172, v174
	v_add_f32_e32 v172, v172, v173
	v_exp_f32_e32 v172, v172
	v_cvt_i32_f32_e32 v173, v174
	v_cmp_ngt_f32_e32 vcc, s98, v14
	v_sub_f32_e32 v15, v15, v47
	v_sub_f32_e32 v16, v16, v47
	v_ldexp_f32 v172, v172, v173
	v_cndmask_b32_e32 v172, 0, v172, vcc
	v_cmp_nlt_f32_e32 vcc, s57, v14
	v_cndmask_b32_e32 v14, v154, v172, vcc
	v_mul_f32_e32 v172, 0x3fb8aa3b, v15
	v_fma_f32 v173, v15, s62, -v172
	v_rndne_f32_e32 v174, v172
	v_fmac_f32_e32 v173, 0x32a5705f, v15
	v_sub_f32_e32 v172, v172, v174
	v_add_f32_e32 v172, v172, v173
	v_exp_f32_e32 v172, v172
	v_cvt_i32_f32_e32 v173, v174
	v_cmp_ngt_f32_e32 vcc, s98, v15
	v_cndmask_b32_e64 v14, 0, v14, s[12:13]
	v_ldexp_f32 v172, v172, v173
	v_cndmask_b32_e32 v172, 0, v172, vcc
	v_cmp_nlt_f32_e32 vcc, s57, v15
	v_cndmask_b32_e32 v172, v154, v172, vcc
	v_add_f32_e32 v173, v172, v14
	v_mov_b32_e32 v15, s91
	v_cndmask_b32_e64 v172, v15, v172, s[14:15]
	v_cndmask_b32_e64 v15, v14, v173, s[14:15]
	v_mul_f32_e32 v173, 0x3fb8aa3b, v16
	v_fma_f32 v174, v16, s62, -v173
	v_rndne_f32_e32 v175, v173
	v_fmac_f32_e32 v174, 0x32a5705f, v16
	v_sub_f32_e32 v173, v173, v175
	v_add_f32_e32 v173, v173, v174
	v_exp_f32_e32 v173, v173
	v_cvt_i32_f32_e32 v174, v175
	v_cmp_ngt_f32_e32 vcc, s98, v16
	v_cvt_f16_f32_e32 v14, v14
	v_ldexp_f32 v173, v173, v174
	v_cndmask_b32_e32 v173, 0, v173, vcc
	v_cmp_nlt_f32_e32 vcc, s57, v16
	v_cndmask_b32_e32 v173, v154, v173, vcc
	v_add_f32_e32 v174, v15, v173
	v_mov_b32_e32 v16, s91
	v_cndmask_b32_e64 v173, v16, v173, s[16:17]
	v_cndmask_b32_e64 v16, v15, v174, s[16:17]
	v_sub_f32_e32 v15, v17, v47
	v_mul_f32_e32 v17, 0x3fb8aa3b, v15
	v_fma_f32 v174, v15, s62, -v17
	v_rndne_f32_e32 v175, v17
	v_fmac_f32_e32 v174, 0x32a5705f, v15
	v_sub_f32_e32 v17, v17, v175
	v_add_f32_e32 v17, v17, v174
	v_exp_f32_e32 v17, v17
	v_cvt_i32_f32_e32 v174, v175
	v_cmp_ngt_f32_e32 vcc, s98, v15
	v_ldexp_f32 v17, v17, v174
	v_cndmask_b32_e32 v17, 0, v17, vcc
	v_cmp_nlt_f32_e32 vcc, s57, v15
	v_cndmask_b32_e32 v17, v154, v17, vcc
	v_mov_b32_e32 v15, s91
	v_add_f32_e32 v174, v16, v17
	v_cndmask_b32_e64 v15, v15, v17, s[18:19]
	v_sub_f32_e32 v17, v171, v47
	v_mul_f32_e32 v171, 0x3fb8aa3b, v17
	v_cndmask_b32_e64 v16, v16, v174, s[18:19]
	v_fma_f32 v174, v17, s62, -v171
	v_rndne_f32_e32 v175, v171
	v_fmac_f32_e32 v174, 0x32a5705f, v17
	v_sub_f32_e32 v171, v171, v175
	v_add_f32_e32 v171, v171, v174
	v_exp_f32_e32 v171, v171
	v_cvt_i32_f32_e32 v174, v175
	v_cmp_ngt_f32_e32 vcc, s98, v17
	v_cvt_f16_f32_e32 v15, v15
	v_ldexp_f32 v171, v171, v174
	v_cndmask_b32_e32 v171, 0, v171, vcc
	v_cmp_nlt_f32_e32 vcc, s57, v17
	v_cndmask_b32_e32 v171, v154, v171, vcc
	v_cmp_le_f32_e32 vcc, s99, v17
	v_cndmask_b32_e32 v17, 0, v171, vcc
	v_fmac_f32_e32 v16, v170, v17
	v_cvt_f16_f32_e32 v17, v17
	v_add_co_u32_e32 v171, vcc, v60, v44
	v_pk_mul_f16 v160, v17, v160 op_sel_hi:[0,1]
	v_pk_mul_f16 v159, v17, v159 op_sel_hi:[0,1]
	v_pk_mul_f16 v162, v17, v162 op_sel_hi:[0,1]
	v_pk_mul_f16 v161, v17, v161 op_sel_hi:[0,1]
	v_pk_mul_f16 v164, v17, v164 op_sel_hi:[0,1]
	v_pk_mul_f16 v163, v17, v163 op_sel_hi:[0,1]
	v_pk_mul_f16 v170, v17, v158 op_sel_hi:[0,1]
	v_pk_mul_f16 v158, v17, v165 op_sel_hi:[0,1]
	v_pk_mul_f16 v167, v17, v167 op_sel_hi:[0,1]
	v_pk_mul_f16 v166, v17, v166 op_sel_hi:[0,1]
	v_pk_mul_f16 v157, v17, v157 op_sel_hi:[0,1]
	v_pk_mul_f16 v17, v17, v156 op_sel_hi:[0,1]
	v_cvt_f16_f32_e32 v156, v172
	v_mov_b32_e32 v165, s66
	v_cndmask_b32_e64 v172, v165, v58, s[6:7]
	v_pack_b32_f16 v14, v14, v156
	v_cvt_f16_f32_e32 v156, v173
	v_pack_b32_f16 v15, v156, v15
	v_mov_b32_e32 v156, s67
	v_cndmask_b32_e64 v173, v156, v1, s[6:7]
	flat_load_dwordx4 v[172:175], v[172:173]
	s_waitcnt vmcnt(0) lgkmcnt(0)
	ds_write_b128 v69, v[172:175]
	v_addc_co_u32_e32 v172, vcc, 0, v19, vcc
	v_cndmask_b32_e64 v173, v156, v172, s[36:37]
	v_cndmask_b32_e64 v172, v165, v171, s[36:37]
	flat_load_dwordx4 v[172:175], v[172:173]
	v_add_co_u32_e32 v171, vcc, v62, v44
	s_waitcnt vmcnt(0) lgkmcnt(0)
	ds_write_b128 v71, v[172:175]
	v_addc_co_u32_e32 v172, vcc, 0, v21, vcc
	v_cndmask_b32_e64 v173, v156, v172, s[10:11]
	v_cndmask_b32_e64 v172, v165, v171, s[10:11]
	flat_load_dwordx4 v[172:175], v[172:173]
	v_add_co_u32_e32 v50, vcc, s92, v50
	v_addc_co_u32_e32 v51, vcc, 0, v51, vcc
	v_add_co_u32_e32 v52, vcc, s92, v52
	v_addc_co_u32_e32 v53, vcc, 0, v53, vcc
	;; [unrolled: 2-line block ×4, first 2 shown]
	v_add_co_u32_e32 v58, vcc, s8, v58
	s_waitcnt vmcnt(0) lgkmcnt(0)
	ds_write_b128 v142, v[172:175]
	s_waitcnt lgkmcnt(0)
	s_barrier
	ds_read_u16 v156, v76 offset:208
	ds_read_u16 v165, v76 offset:416
	v_cvt_f32_f16_e32 v174, v159
	v_cvt_f32_f16_sdwa v175, v159 dst_sel:DWORD dst_unused:UNUSED_PAD src0_sel:WORD_1
	ds_read_u16 v159, v77
	ds_read_u16 v171, v77 offset:32
	v_cvt_f32_f16_e32 v172, v160
	v_cvt_f32_f16_sdwa v173, v160 dst_sel:DWORD dst_unused:UNUSED_PAD src0_sel:WORD_1
	s_waitcnt lgkmcnt(1)
	v_perm_b32 v177, v159, v165, s97
	ds_read_u16 v159, v75
	ds_read_u16 v165, v75 offset:32
	s_waitcnt lgkmcnt(1)
	v_perm_b32 v176, v156, v159, s97
	s_nop 1
	v_mfma_f32_16x16x16f16 v[172:175], v[176:177], v[14:15], v[172:175]
	s_nop 7
	s_nop 2
	v_cvt_f16_f32_e32 v156, v172
	v_cvt_f16_f32_e32 v159, v173
	;; [unrolled: 1-line block ×4, first 2 shown]
	v_cvt_f32_f16_e32 v174, v161
	v_pack_b32_f16 v160, v156, v159
	ds_read_u16 v156, v143 offset:208
	ds_read_u16 v176, v143 offset:416
	v_pack_b32_f16 v159, v172, v173
	v_cvt_f32_f16_e32 v172, v162
	v_cvt_f32_f16_sdwa v173, v162 dst_sel:DWORD dst_unused:UNUSED_PAD src0_sel:WORD_1
	v_cvt_f32_f16_sdwa v175, v161 dst_sel:DWORD dst_unused:UNUSED_PAD src0_sel:WORD_1
	s_waitcnt lgkmcnt(0)
	v_perm_b32 v177, v171, v176, s97
	v_perm_b32 v176, v156, v165, s97
	s_nop 1
	v_mfma_f32_16x16x16f16 v[172:175], v[176:177], v[14:15], v[172:175]
	s_nop 7
	s_nop 2
	v_cvt_f16_f32_e32 v156, v172
	v_cvt_f16_f32_e32 v161, v173
	;; [unrolled: 1-line block ×4, first 2 shown]
	v_cvt_f32_f16_e32 v172, v164
	v_pack_b32_f16 v162, v156, v161
	v_cvt_f32_f16_sdwa v173, v164 dst_sel:DWORD dst_unused:UNUSED_PAD src0_sel:WORD_1
	v_pack_b32_f16 v161, v165, v171
	ds_read_u16 v156, v75 offset:64
	ds_read_u16 v171, v144 offset:208
	ds_read_u16 v165, v144 offset:416
	ds_read_u16 v176, v77 offset:64
	v_cvt_f32_f16_e32 v174, v163
	v_cvt_f32_f16_sdwa v175, v163 dst_sel:DWORD dst_unused:UNUSED_PAD src0_sel:WORD_1
	s_waitcnt lgkmcnt(2)
	v_perm_b32 v164, v171, v156, s97
	s_waitcnt lgkmcnt(0)
	v_perm_b32 v165, v176, v165, s97
	s_nop 1
	v_mfma_f32_16x16x16f16 v[172:175], v[164:165], v[14:15], v[172:175]
	s_nop 7
	s_nop 2
	v_cvt_f16_f32_e32 v156, v172
	v_cvt_f16_f32_e32 v163, v173
	;; [unrolled: 1-line block ×4, first 2 shown]
	v_cvt_f32_f16_e32 v172, v170
	v_pack_b32_f16 v164, v156, v163
	v_cvt_f32_f16_sdwa v173, v170 dst_sel:DWORD dst_unused:UNUSED_PAD src0_sel:WORD_1
	v_pack_b32_f16 v163, v165, v171
	ds_read_u16 v156, v75 offset:96
	ds_read_u16 v165, v145 offset:208
	;; [unrolled: 1-line block ×4, first 2 shown]
	v_cvt_f32_f16_e32 v174, v158
	v_cvt_f32_f16_sdwa v175, v158 dst_sel:DWORD dst_unused:UNUSED_PAD src0_sel:WORD_1
	s_waitcnt lgkmcnt(2)
	v_perm_b32 v170, v165, v156, s97
	s_waitcnt lgkmcnt(0)
	v_perm_b32 v171, v176, v171, s97
	s_nop 1
	v_mfma_f32_16x16x16f16 v[170:173], v[170:171], v[14:15], v[172:175]
	s_nop 7
	s_nop 2
	v_cvt_f16_f32_e32 v156, v170
	v_cvt_f16_f32_e32 v158, v171
	;; [unrolled: 1-line block ×4, first 2 shown]
	v_cvt_f32_f16_sdwa v171, v167 dst_sel:DWORD dst_unused:UNUSED_PAD src0_sel:WORD_1
	v_pack_b32_f16 v158, v156, v158
	ds_read_u16 v156, v75 offset:128
	ds_read_u16 v174, v146 offset:208
	;; [unrolled: 1-line block ×4, first 2 shown]
	v_pack_b32_f16 v165, v165, v170
	v_cvt_f32_f16_e32 v170, v167
	v_cvt_f32_f16_e32 v172, v166
	v_cvt_f32_f16_sdwa v173, v166 dst_sel:DWORD dst_unused:UNUSED_PAD src0_sel:WORD_1
	s_waitcnt lgkmcnt(0)
	v_perm_b32 v167, v176, v175, s97
	v_perm_b32 v166, v174, v156, s97
	s_nop 1
	v_mfma_f32_16x16x16f16 v[170:173], v[166:167], v[14:15], v[170:173]
	s_nop 7
	s_nop 2
	v_cvt_f16_f32_e32 v156, v170
	v_cvt_f16_f32_e32 v166, v171
	;; [unrolled: 1-line block ×4, first 2 shown]
	v_cvt_f32_f16_e32 v172, v17
	v_pack_b32_f16 v167, v156, v166
	ds_read_u16 v156, v75 offset:160
	ds_read_u16 v174, v147 offset:208
	;; [unrolled: 1-line block ×4, first 2 shown]
	v_pack_b32_f16 v166, v170, v171
	v_cvt_f32_f16_e32 v170, v157
	v_cvt_f32_f16_sdwa v171, v157 dst_sel:DWORD dst_unused:UNUSED_PAD src0_sel:WORD_1
	s_waitcnt lgkmcnt(2)
	v_perm_b32 v156, v174, v156, s97
	s_waitcnt lgkmcnt(0)
	v_perm_b32 v157, v176, v175, s97
	v_cvt_f32_f16_sdwa v173, v17 dst_sel:DWORD dst_unused:UNUSED_PAD src0_sel:WORD_1
	s_barrier
	s_nop 0
	v_mfma_f32_16x16x16f16 v[170:173], v[156:157], v[14:15], v[170:173]
	s_nop 7
	s_nop 2
	v_cvt_f16_f32_e32 v14, v170
	v_cvt_f16_f32_e32 v15, v171
	;; [unrolled: 1-line block ×4, first 2 shown]
	v_pack_b32_f16 v157, v14, v15
	v_mov_b32_e32 v14, s9
	v_addc_co_u32_e32 v1, vcc, v1, v14, vcc
	v_add_co_u32_e32 v60, vcc, s8, v60
	v_addc_co_u32_e32 v19, vcc, v19, v14, vcc
	v_add_co_u32_e32 v62, vcc, s8, v62
	;; [unrolled: 2-line block ×3, first 2 shown]
	v_mov_b32_e32 v14, s65
	v_addc_co_u32_e32 v23, vcc, v23, v14, vcc
	v_add_co_u32_e32 v66, vcc, s64, v66
	v_addc_co_u32_e32 v25, vcc, v25, v14, vcc
	v_add_co_u32_e32 v68, vcc, s64, v68
	v_pack_b32_f16 v156, v17, v156
	v_addc_co_u32_e32 v33, vcc, v33, v14, vcc
	s_cbranch_scc0 .LBB14_138
; %bb.137:                              ;   in Loop: Header=BB14_134 Depth=2
	v_mov_b32_e32 v170, v16
	v_mov_b32_e32 v171, v47
	v_cndmask_b32_e64 v14, 0, 1, s[28:29]
	v_cmp_ne_u32_e64 s[26:27], 1, v14
	s_andn2_b64 vcc, exec, s[28:29]
	s_cbranch_vccz .LBB14_131
	s_branch .LBB14_134
.LBB14_138:                             ;   in Loop: Header=BB14_16 Depth=1
	s_lshl_b32 s90, s20, 6
	v_readlane_b32 s20, v179, 4
	s_sub_i32 s20, s20, s90
	s_cmp_lg_u64 s[68:69], 0
	s_cselect_b64 s[34:35], -1, 0
	s_cmp_eq_u64 s[68:69], 0
	v_readlane_b32 s21, v179, 5
	s_cbranch_scc1 .LBB14_144
; %bb.139:                              ;   in Loop: Header=BB14_16 Depth=1
	v_cmp_le_i32_e32 vcc, s20, v18
                                        ; implicit-def: $sgpr21
	s_and_saveexec_b64 s[24:25], vcc
	s_xor_b64 s[26:27], exec, s[24:25]
	s_cbranch_execz .LBB14_141
; %bb.140:                              ;   in Loop: Header=BB14_16 Depth=1
	ds_write_b16 v93, v134 offset:13312
	ds_write_b16 v136, v134 offset:13312
	s_mov_b32 s21, 0
.LBB14_141:                             ;   in Loop: Header=BB14_16 Depth=1
	s_or_saveexec_b64 s[26:27], s[26:27]
	v_mov_b32_e32 v1, s21
	v_mov_b32_e32 v14, s21
	s_xor_b64 exec, exec, s[26:27]
	s_cbranch_execz .LBB14_143
; %bb.142:                              ;   in Loop: Header=BB14_16 Depth=1
	s_lshl_b64 s[24:25], s[90:91], 1
	s_add_u32 s21, s68, s24
	s_addc_u32 s24, s69, s25
	v_lshlrev_b32_e32 v1, 1, v18
	v_add_co_u32_e32 v17, vcc, s21, v1
	v_mov_b32_e32 v1, s24
	v_addc_co_u32_e32 v19, vcc, 0, v1, vcc
	v_add_u32_e32 v1, s85, v45
	v_readlane_b32 s28, v179, 10
	v_mul_hi_u32 v14, s28, v1
	v_readlane_b32 s29, v179, 11
	v_add_u32_e32 v14, v1, v14
	v_lshrrev_b32_e32 v14, s29, v14
	v_mul_lo_u32 v14, v14, s76
	v_sub_u32_e32 v1, v1, v14
	v_readlane_b32 s30, v179, 61
	v_mad_i64_i32 v[14:15], s[24:25], v1, s30, 0
	v_lshlrev_b64 v[14:15], 1, v[14:15]
	v_add_co_u32_e32 v14, vcc, v17, v14
	v_addc_co_u32_e32 v15, vcc, v19, v15, vcc
	flat_load_ushort v1, v[14:15]
	v_add_u32_e32 v14, s85, v135
	v_mul_hi_u32 v15, s28, v14
	v_add_u32_e32 v15, v14, v15
	v_lshrrev_b32_e32 v15, s29, v15
	v_mul_lo_u32 v15, v15, s76
	v_sub_u32_e32 v14, v14, v15
	v_mad_i64_i32 v[14:15], s[24:25], v14, s30, 0
	v_lshlrev_b64 v[14:15], 1, v[14:15]
	v_add_co_u32_e32 v14, vcc, v17, v14
	v_addc_co_u32_e32 v15, vcc, v19, v15, vcc
	flat_load_ushort v14, v[14:15]
	v_readlane_b32 s31, v179, 62
	s_waitcnt vmcnt(0) lgkmcnt(0)
	ds_write_b16 v93, v1 offset:13312
	ds_write_b16 v136, v14 offset:13312
	v_add_u32_e32 v1, s85, v137
	v_mul_hi_u32 v14, s28, v1
	v_add_u32_e32 v14, v1, v14
	v_lshrrev_b32_e32 v14, s29, v14
	v_mul_lo_u32 v14, v14, s76
	v_sub_u32_e32 v1, v1, v14
	v_mad_i64_i32 v[14:15], s[24:25], v1, s30, 0
	v_lshlrev_b64 v[14:15], 1, v[14:15]
	v_add_co_u32_e32 v14, vcc, v17, v14
	v_addc_co_u32_e32 v15, vcc, v19, v15, vcc
	flat_load_ushort v1, v[14:15]
	v_add_u32_e32 v14, s85, v139
	v_mul_hi_u32 v15, s28, v14
	v_add_u32_e32 v15, v14, v15
	v_lshrrev_b32_e32 v15, s29, v15
	v_mul_lo_u32 v15, v15, s76
	v_sub_u32_e32 v14, v14, v15
	v_mad_i64_i32 v[14:15], s[24:25], v14, s30, 0
	v_lshlrev_b64 v[14:15], 1, v[14:15]
	v_add_co_u32_e32 v14, vcc, v17, v14
	v_addc_co_u32_e32 v15, vcc, v19, v15, vcc
	flat_load_ushort v14, v[14:15]
.LBB14_143:                             ;   in Loop: Header=BB14_16 Depth=1
	s_or_b64 exec, exec, s[26:27]
	s_waitcnt vmcnt(0) lgkmcnt(0)
	ds_write_b16 v138, v1 offset:13312
	ds_write_b16 v140, v14 offset:13312
.LBB14_144:                             ;   in Loop: Header=BB14_16 Depth=1
	s_mul_i32 s21, s90, s71
	s_mul_hi_u32 s24, s90, s70
	s_add_i32 s25, s24, s21
	s_mul_i32 s24, s90, s70
	s_lshl_b64 s[24:25], s[24:25], 2
	s_add_u32 s21, s22, s24
	s_addc_u32 s22, s23, s25
	v_mov_b32_e32 v1, s22
	v_add_co_u32_e32 v15, vcc, s21, v30
	v_addc_co_u32_e32 v1, vcc, v1, v31, vcc
	v_lshlrev_b32_e32 v14, 2, v22
	v_add_co_u32_e32 v15, vcc, v15, v14
	v_addc_co_u32_e32 v1, vcc, 0, v1, vcc
	v_add_co_u32_e32 v15, vcc, s92, v15
	v_addc_co_u32_e32 v1, vcc, 0, v1, vcc
	v_mov_b32_e32 v17, s67
	v_cmp_gt_i32_e64 s[28:29], s20, v67
	v_mov_b32_e32 v19, s66
	buffer_store_dword v134, off, s[0:3], 0
	buffer_store_dword v134, off, s[0:3], 0 offset:4
	buffer_store_dword v134, off, s[0:3], 0 offset:8
	;; [unrolled: 1-line block ×3, first 2 shown]
	v_cndmask_b32_e64 v49, v17, v1, s[28:29]
	v_cndmask_b32_e64 v48, v19, v15, s[28:29]
	flat_load_dwordx4 v[48:51], v[48:49]
	v_mov_b32_e32 v15, s22
	v_add_co_u32_e32 v21, vcc, s21, v40
	v_lshlrev_b32_e32 v1, 2, v24
	v_addc_co_u32_e32 v15, vcc, v15, v41, vcc
	v_add_co_u32_e32 v21, vcc, v21, v1
	v_addc_co_u32_e32 v15, vcc, 0, v15, vcc
	v_cmp_gt_i32_e64 s[30:31], s20, v70
	v_cndmask_b32_e64 v53, v17, v15, s[30:31]
	v_cndmask_b32_e64 v52, v19, v21, s[30:31]
	v_mov_b32_e32 v15, s22
	v_add_co_u32_e32 v21, vcc, s21, v42
	v_addc_co_u32_e32 v15, vcc, v15, v43, vcc
	v_add_co_u32_e32 v21, vcc, v21, v1
	v_addc_co_u32_e32 v15, vcc, 0, v15, vcc
	v_cmp_gt_i32_e64 s[26:27], s20, v141
	s_andn2_b64 vcc, exec, s[34:35]
	s_waitcnt vmcnt(0) lgkmcnt(0)
	ds_write_b128 v69, v[48:51]
	flat_load_dwordx4 v[48:51], v[52:53]
	v_cndmask_b32_e64 v53, v17, v15, s[26:27]
	v_cndmask_b32_e64 v52, v19, v21, s[26:27]
	s_waitcnt vmcnt(0) lgkmcnt(0)
	ds_write_b128 v71, v[48:51]
	flat_load_dwordx4 v[48:51], v[52:53]
	s_waitcnt vmcnt(0) lgkmcnt(0)
	ds_write_b128 v142, v[48:51]
	s_waitcnt lgkmcnt(0)
	s_barrier
	ds_read2_b64 v[48:51], v72 offset1:4
	s_waitcnt lgkmcnt(0)
	v_mfma_f32_16x16x16f16 v[52:55], v[48:49], v[10:11], 0
	v_mfma_f32_16x16x16f16 v[10:13], v[50:51], v[12:13], v[52:55]
	ds_read2_b64 v[48:51], v72 offset0:8 offset1:12
	s_waitcnt lgkmcnt(0)
	v_mfma_f32_16x16x16f16 v[10:13], v[48:49], v[6:7], v[10:13]
	v_mfma_f32_16x16x16f16 v[6:9], v[50:51], v[8:9], v[10:13]
	s_nop 7
	s_nop 1
	ds_read2_b64 v[10:13], v72 offset0:16 offset1:20
	s_waitcnt lgkmcnt(0)
	v_mfma_f32_16x16x16f16 v[6:9], v[10:11], v[2:3], v[6:9]
	s_barrier
	v_mfma_f32_16x16x16f16 v[2:5], v[12:13], v[4:5], v[6:9]
	s_cbranch_vccnz .LBB14_146
; %bb.145:                              ;   in Loop: Header=BB14_16 Depth=1
	s_nop 7
	v_add_u32_e32 v6, 0x3400, v74
	ds_read2_b32 v[6:7], v6 offset1:1
	s_waitcnt lgkmcnt(0)
	v_cvt_f32_f16_e32 v8, v6
	v_cvt_f32_f16_e32 v10, v7
	v_cvt_f32_f16_sdwa v11, v7 dst_sel:DWORD dst_unused:UNUSED_PAD src0_sel:WORD_1
	v_cvt_f32_f16_sdwa v9, v6 dst_sel:DWORD dst_unused:UNUSED_PAD src0_sel:WORD_1
	v_pk_fma_f32 v[4:5], v[46:47], v[10:11], v[4:5] op_sel_hi:[0,1,1]
	v_pk_fma_f32 v[2:3], v[46:47], v[8:9], v[2:3] op_sel_hi:[0,1,1]
.LBB14_146:                             ;   in Loop: Header=BB14_16 Depth=1
	s_mul_i32 s21, s90, s59
	s_mul_hi_u32 s22, s90, s58
	s_add_i32 s23, s22, s21
	s_mul_i32 s22, s90, s58
	s_lshl_b64 s[22:23], s[22:23], 2
	s_add_u32 s21, s33, s22
	s_addc_u32 s22, s56, s23
	s_nop 0
	v_mov_b32_e32 v6, s22
	v_add_co_u32_e32 v7, vcc, s21, v28
	v_addc_co_u32_e32 v6, vcc, v6, v29, vcc
	v_add_co_u32_e32 v7, vcc, v7, v14
	v_addc_co_u32_e32 v6, vcc, 0, v6, vcc
	;; [unrolled: 2-line block ×3, first 2 shown]
	v_mov_b32_e32 v12, s67
	v_mov_b32_e32 v14, s66
	buffer_store_dword v134, off, s[0:3], 0
	buffer_store_dword v134, off, s[0:3], 0 offset:4
	buffer_store_dword v134, off, s[0:3], 0 offset:8
	;; [unrolled: 1-line block ×3, first 2 shown]
	v_cndmask_b32_e64 v7, v12, v6, s[28:29]
	v_cndmask_b32_e64 v6, v14, v8, s[28:29]
	flat_load_dwordx4 v[6:9], v[6:7]
	v_mov_b32_e32 v10, s22
	v_add_co_u32_e32 v11, vcc, s21, v36
	v_addc_co_u32_e32 v10, vcc, v10, v37, vcc
	v_add_co_u32_e32 v11, vcc, v11, v1
	v_addc_co_u32_e32 v13, vcc, 0, v10, vcc
	v_cndmask_b32_e64 v10, v14, v11, s[30:31]
	v_cndmask_b32_e64 v11, v12, v13, s[30:31]
	v_add_f32_e32 v15, 0x40051340, v2
	v_max_f32_e32 v17, v47, v47
	v_and_b32_e32 v19, 64, v133
	v_xor_b32_e32 v21, 32, v133
	v_max_f32_e32 v15, v17, v15
	v_add_u32_e32 v17, 64, v19
	v_xor_b32_e32 v46, 16, v133
	v_cmp_gt_u32_e64 s[34:35], s20, v73
	v_cmp_lt_i32_e32 vcc, v21, v17
	v_cndmask_b32_e64 v15, v47, v15, s[34:35]
	v_cndmask_b32_e32 v19, v133, v21, vcc
	v_cmp_lt_i32_e32 vcc, v46, v17
	v_add_f32_e32 v23, 0x40051340, v3
	v_cndmask_b32_e32 v17, v133, v46, vcc
	v_max_f32_e32 v46, v15, v15
	v_lshlrev_b32_e32 v21, 2, v19
	v_lshlrev_b32_e32 v19, 2, v17
	v_max_f32_e32 v17, v46, v23
	v_cmp_gt_u32_e64 s[28:29], s20, v148
	v_cndmask_b32_e64 v15, v15, v17, s[28:29]
	v_add_f32_e32 v25, 0x40051340, v4
	v_max_f32_e32 v23, v15, v15
	v_max_f32_e32 v23, v23, v25
	v_cmp_gt_u32_e64 s[30:31], s20, v149
	v_cndmask_b32_e64 v15, v15, v23, s[30:31]
	v_add_f32_e32 v33, 0x40051340, v5
	v_max_f32_e32 v23, v15, v15
	v_max_f32_e32 v23, v23, v33
	v_cmp_gt_u32_e32 vcc, s20, v150
	v_cndmask_b32_e32 v15, v15, v23, vcc
	ds_bpermute_b32 v23, v21, v15
	v_cndmask_b32_e64 v17, v4, v4, s[28:29]
	v_mov_b32_e32 v4, s22
	v_add_co_u32_e64 v25, s[38:39], s21, v38
	v_addc_co_u32_e64 v4, s[38:39], v4, v39, s[38:39]
	v_add_co_u32_e64 v1, s[38:39], v25, v1
	v_max_f32_e32 v15, v15, v15
	s_waitcnt lgkmcnt(0)
	v_max_f32_e32 v23, v23, v23
	v_addc_co_u32_e64 v4, s[38:39], 0, v4, s[38:39]
	v_max_f32_e32 v23, v15, v23
	v_cndmask_b32_e64 v14, v14, v1, s[26:27]
	v_cndmask_b32_e64 v15, v12, v4, s[26:27]
	ds_bpermute_b32 v33, v19, v23
	v_cndmask_b32_e64 v5, v5, v5, s[28:29]
	v_mov_b32_e32 v13, s91
	v_readlane_b32 s22, v179, 55
	s_cmp_eq_u64 s[78:79], 0
	s_waitcnt lgkmcnt(0)
	v_max_f32_e32 v1, v33, v33
	v_max_f32_e32 v4, v23, v1
	v_sub_f32_e32 v1, v2, v4
	v_sub_f32_e32 v2, v3, v4
	;; [unrolled: 1-line block ×3, first 2 shown]
	v_mul_f32_e32 v17, 0x3fb8aa3b, v1
	v_sub_f32_e32 v12, v47, v4
	v_mul_f32_e32 v23, 0x3fb8aa3b, v2
	v_fma_f32 v47, v1, s62, -v17
	v_rndne_f32_e32 v48, v17
	v_sub_f32_e32 v5, v5, v4
	v_mul_f32_e32 v25, 0x3fb8aa3b, v3
	v_fma_f32 v49, v2, s62, -v23
	v_rndne_f32_e32 v50, v23
	v_fmac_f32_e32 v47, 0x32a5705f, v1
	v_mul_f32_e32 v33, 0x3fb8aa3b, v5
	v_fma_f32 v51, v3, s62, -v25
	s_waitcnt vmcnt(0)
	ds_write_b128 v69, v[6:9]
	flat_load_dwordx4 v[6:9], v[10:11]
	v_rndne_f32_e32 v52, v25
	v_fmac_f32_e32 v49, 0x32a5705f, v2
	v_mul_f32_e32 v46, 0x3fb8aa3b, v12
	v_fma_f32 v53, v5, s62, -v33
	v_rndne_f32_e32 v54, v33
	v_fmac_f32_e32 v51, 0x32a5705f, v3
	v_sub_f32_e32 v25, v25, v52
	v_fma_f32 v55, v12, s62, -v46
	v_rndne_f32_e32 v56, v46
	v_fmac_f32_e32 v53, 0x32a5705f, v5
	v_sub_f32_e32 v33, v33, v54
	v_add_f32_e32 v25, v25, v51
	v_fmac_f32_e32 v55, 0x32a5705f, v12
	v_sub_f32_e32 v46, v46, v56
	v_add_f32_e32 v33, v33, v53
	v_exp_f32_e32 v25, v25
	v_add_f32_e32 v46, v46, v55
	v_exp_f32_e32 v33, v33
	v_exp_f32_e32 v46, v46
	v_cmp_ngt_f32_e64 s[26:27], s98, v1
	v_mov_b32_e32 v11, s91
	v_mov_b32_e32 v10, s91
	v_readlane_b32 s23, v179, 56
	s_cselect_b64 s[20:21], -1, 0
	s_xor_b64 s[22:23], s[22:23], -1
	s_or_b64 s[20:21], s[22:23], s[20:21]
	s_waitcnt vmcnt(0) lgkmcnt(0)
	ds_write_b128 v71, v[6:9]
	flat_load_dwordx4 v[6:9], v[14:15]
	v_sub_f32_e32 v14, v17, v48
	v_sub_f32_e32 v17, v23, v50
	v_add_f32_e32 v14, v14, v47
	v_cvt_i32_f32_e32 v15, v48
	v_add_f32_e32 v17, v17, v49
	v_exp_f32_e32 v14, v14
	v_cvt_i32_f32_e32 v23, v50
	v_exp_f32_e32 v17, v17
	v_cvt_i32_f32_e32 v48, v52
	v_cvt_i32_f32_e32 v50, v54
	;; [unrolled: 1-line block ×3, first 2 shown]
	v_ldexp_f32 v14, v14, v15
	v_ldexp_f32 v15, v17, v23
	v_cndmask_b32_e64 v14, 0, v14, s[26:27]
	v_cmp_ngt_f32_e64 s[26:27], s98, v2
	v_ldexp_f32 v17, v25, v48
	v_cndmask_b32_e64 v15, 0, v15, s[26:27]
	v_cmp_ngt_f32_e64 s[26:27], s98, v3
	;; [unrolled: 3-line block ×4, first 2 shown]
	v_cndmask_b32_e64 v25, 0, v25, s[26:27]
	v_cmp_nlt_f32_e64 s[26:27], s57, v1
	v_cndmask_b32_e64 v1, v154, v14, s[26:27]
	v_cmp_nlt_f32_e64 s[26:27], s57, v2
	;; [unrolled: 2-line block ×5, first 2 shown]
	v_cndmask_b32_e64 v15, v154, v25, s[26:27]
	v_cmp_le_f32_e64 s[26:27], s99, v12
	v_cndmask_b32_e64 v17, 0, v15, s[26:27]
	v_cndmask_b32_e64 v2, 0, v1, s[34:35]
	v_cndmask_b32_e64 v1, v11, v14, s[28:29]
	v_cvt_f16_f32_e32 v23, v17
	v_cndmask_b32_e32 v11, v13, v5, vcc
	v_add_f32_e32 v12, v14, v2
	v_cvt_f16_f32_e32 v13, v2
	v_cvt_f16_f32_e32 v1, v1
	v_cndmask_b32_e64 v2, v2, v12, s[28:29]
	v_cndmask_b32_e64 v10, v10, v3, s[30:31]
	v_add_f32_e32 v3, v2, v3
	v_cndmask_b32_e64 v33, v2, v3, s[30:31]
	v_pk_mul_f16 v2, v23, v160 op_sel_hi:[0,1]
	v_cvt_f16_f32_e32 v15, v10
	v_cvt_f16_f32_e32 v25, v11
	v_pk_mul_f16 v46, v23, v159 op_sel_hi:[0,1]
	v_pk_mul_f16 v51, v23, v158 op_sel_hi:[0,1]
	v_pack_b32_f16 v14, v13, v1
	v_cvt_f32_f16_e32 v10, v2
	v_cvt_f32_f16_sdwa v11, v2 dst_sel:DWORD dst_unused:UNUSED_PAD src0_sel:WORD_1
	v_cvt_f32_f16_e32 v12, v46
	v_cvt_f32_f16_sdwa v13, v46 dst_sel:DWORD dst_unused:UNUSED_PAD src0_sel:WORD_1
	v_pack_b32_f16 v15, v15, v25
	v_pk_mul_f16 v47, v23, v162 op_sel_hi:[0,1]
	v_pk_mul_f16 v48, v23, v161 op_sel_hi:[0,1]
	;; [unrolled: 1-line block ×4, first 2 shown]
	v_cvt_f32_f16_e32 v46, v49
	v_pk_mul_f16 v53, v23, v165 op_sel_hi:[0,1]
	v_add_f32_e32 v5, v33, v5
	v_cndmask_b32_e32 v5, v33, v5, vcc
	v_fmac_f32_e32 v5, v16, v17
	v_pk_mul_f16 v54, v23, v167 op_sel_hi:[0,1]
	v_pk_mul_f16 v55, v23, v166 op_sel_hi:[0,1]
	s_waitcnt vmcnt(0) lgkmcnt(0)
	ds_write_b128 v142, v[6:9]
	s_waitcnt lgkmcnt(0)
	s_barrier
	ds_read_u16 v1, v75
	ds_read_u16 v9, v75 offset:32
	ds_read_u16 v52, v75 offset:64
	;; [unrolled: 1-line block ×4, first 2 shown]
	ds_read_u16 v2, v77
	ds_read_u16 v58, v77 offset:32
	ds_read_u16 v60, v77 offset:64
	;; [unrolled: 1-line block ×10, first 2 shown]
	s_waitcnt lgkmcnt(5)
	v_perm_b32 v3, v2, v3, s97
	s_waitcnt lgkmcnt(4)
	v_perm_b32 v2, v6, v1, s97
	v_cvt_f32_f16_e32 v6, v47
	v_cvt_f32_f16_sdwa v7, v47 dst_sel:DWORD dst_unused:UNUSED_PAD src0_sel:WORD_1
	v_mfma_f32_16x16x16f16 v[10:13], v[2:3], v[14:15], v[10:13]
	s_waitcnt lgkmcnt(2)
	v_perm_b32 v3, v58, v68, s97
	s_waitcnt lgkmcnt(1)
	v_perm_b32 v2, v158, v9, s97
	v_cvt_f32_f16_e32 v8, v48
	v_cvt_f32_f16_sdwa v9, v48 dst_sel:DWORD dst_unused:UNUSED_PAD src0_sel:WORD_1
	v_cvt_f32_f16_sdwa v47, v49 dst_sel:DWORD dst_unused:UNUSED_PAD src0_sel:WORD_1
	v_cvt_f32_f16_e32 v48, v50
	v_cvt_f32_f16_sdwa v49, v50 dst_sel:DWORD dst_unused:UNUSED_PAD src0_sel:WORD_1
	v_mfma_f32_16x16x16f16 v[6:9], v[2:3], v[14:15], v[6:9]
	ds_read_u16 v1, v144 offset:208
	ds_read_u16 v2, v144 offset:416
	ds_read_u16 v25, v145 offset:208
	ds_read_u16 v58, v145 offset:416
	ds_read_u16 v68, v146 offset:208
	ds_read_u16 v158, v146 offset:416
	ds_read_u16 v160, v147 offset:208
	ds_read_u16 v161, v147 offset:416
	s_waitcnt lgkmcnt(6)
	v_perm_b32 v3, v60, v2, s97
	v_perm_b32 v2, v1, v52, s97
	v_cvt_f32_f16_e32 v50, v51
	v_cvt_f32_f16_sdwa v51, v51 dst_sel:DWORD dst_unused:UNUSED_PAD src0_sel:WORD_1
	v_cvt_f32_f16_e32 v52, v53
	v_cvt_f32_f16_sdwa v53, v53 dst_sel:DWORD dst_unused:UNUSED_PAD src0_sel:WORD_1
	v_mfma_f32_16x16x16f16 v[46:49], v[2:3], v[14:15], v[46:49]
	s_waitcnt lgkmcnt(4)
	v_perm_b32 v3, v62, v58, s97
	v_perm_b32 v2, v25, v56, s97
	v_cvt_f16_f32_e32 v1, v10
	v_cvt_f16_f32_e32 v10, v13
	;; [unrolled: 1-line block ×5, first 2 shown]
	v_mfma_f32_16x16x16f16 v[50:53], v[2:3], v[14:15], v[50:53]
	v_cvt_f16_f32_e32 v2, v11
	v_cvt_f16_f32_e32 v3, v12
	;; [unrolled: 1-line block ×7, first 2 shown]
	v_pk_mul_f16 v60, v23, v157 op_sel_hi:[0,1]
	v_pk_mul_f16 v23, v23, v156 op_sel_hi:[0,1]
	v_pack_b32_f16 v2, v1, v2
	v_pack_b32_f16 v1, v3, v10
	;; [unrolled: 1-line block ×5, first 2 shown]
	s_waitcnt lgkmcnt(2)
	v_perm_b32 v13, v64, v158, s97
	v_perm_b32 v12, v68, v57, s97
	v_pack_b32_f16 v7, v16, v17
	s_waitcnt lgkmcnt(0)
	v_perm_b32 v17, v159, v161, s97
	v_perm_b32 v16, v160, v66, s97
	v_cvt_f16_f32_e32 v25, v50
	v_cvt_f16_f32_e32 v33, v51
	v_cvt_f16_f32_e32 v9, v52
	v_cvt_f16_f32_e32 v11, v53
	v_cvt_f32_f16_e32 v46, v54
	v_cvt_f32_f16_sdwa v47, v54 dst_sel:DWORD dst_unused:UNUSED_PAD src0_sel:WORD_1
	v_cvt_f32_f16_e32 v48, v55
	v_cvt_f32_f16_sdwa v49, v55 dst_sel:DWORD dst_unused:UNUSED_PAD src0_sel:WORD_1
	;; [unrolled: 2-line block ×4, first 2 shown]
	v_mfma_f32_16x16x16f16 v[46:49], v[12:13], v[14:15], v[46:49]
	v_pack_b32_f16 v10, v25, v33
	ds_bpermute_b32 v25, v21, v5
	v_pack_b32_f16 v9, v9, v11
	s_waitcnt lgkmcnt(0)
	s_barrier
	v_add_f32_e32 v5, v5, v25
	v_mfma_f32_16x16x16f16 v[14:17], v[16:17], v[14:15], v[50:53]
	s_nop 3
	v_cvt_f16_f32_e32 v11, v46
	v_cvt_f16_f32_e32 v12, v47
	;; [unrolled: 1-line block ×4, first 2 shown]
	v_pack_b32_f16 v12, v11, v12
	s_nop 1
	v_cvt_f16_f32_e32 v14, v14
	v_cvt_f16_f32_e32 v15, v15
	v_pack_b32_f16 v11, v13, v23
	v_cvt_f16_f32_e32 v13, v16
	v_cvt_f16_f32_e32 v16, v17
	v_pack_b32_f16 v14, v14, v15
	ds_bpermute_b32 v15, v19, v5
	v_pack_b32_f16 v13, v13, v16
	s_waitcnt lgkmcnt(0)
	v_add_f32_e32 v5, v5, v15
	s_and_saveexec_b64 s[22:23], s[20:21]
	s_xor_b64 s[26:27], exec, s[22:23]
	s_andn2_saveexec_b64 s[26:27], s[26:27]
	s_cbranch_execz .LBB14_148
; %bb.147:                              ;   in Loop: Header=BB14_16 Depth=1
	global_load_dword v15, v134, s[78:79]
	v_max_f32_e32 v17, v4, v4
	s_waitcnt vmcnt(0)
	v_max_f32_e32 v16, v15, v15
	v_max_f32_e32 v16, v17, v16
	v_sub_f32_e32 v4, v4, v16
	v_mul_f32_e32 v17, 0x3fb8aa3b, v4
	v_fma_f32 v23, v4, s62, -v17
	v_rndne_f32_e32 v25, v17
	v_fmac_f32_e32 v23, 0x32a5705f, v4
	v_sub_f32_e32 v17, v17, v25
	v_add_f32_e32 v17, v17, v23
	v_exp_f32_e32 v17, v17
	v_cvt_i32_f32_e32 v23, v25
	v_cmp_ngt_f32_e32 vcc, s98, v4
	v_sub_f32_e32 v15, v15, v16
	v_ldexp_f32 v17, v17, v23
	v_cndmask_b32_e32 v17, 0, v17, vcc
	v_cmp_nlt_f32_e32 vcc, s57, v4
	v_cndmask_b32_e32 v17, v154, v17, vcc
	v_cmp_le_f32_e32 vcc, s99, v4
	v_cndmask_b32_e32 v4, 0, v17, vcc
	v_cvt_f16_f32_e32 v17, v4
	v_cmp_ngt_f32_e32 vcc, s98, v15
	v_pk_mul_f16 v2, v17, v2 op_sel_hi:[0,1]
	v_pk_mul_f16 v1, v17, v1 op_sel_hi:[0,1]
	v_pk_mul_f16 v6, v17, v6 op_sel_hi:[0,1]
	v_pk_mul_f16 v3, v17, v3 op_sel_hi:[0,1]
	v_pk_mul_f16 v8, v17, v8 op_sel_hi:[0,1]
	v_pk_mul_f16 v7, v17, v7 op_sel_hi:[0,1]
	v_pk_mul_f16 v10, v17, v10 op_sel_hi:[0,1]
	v_pk_mul_f16 v9, v17, v9 op_sel_hi:[0,1]
	v_pk_mul_f16 v12, v17, v12 op_sel_hi:[0,1]
	v_pk_mul_f16 v11, v17, v11 op_sel_hi:[0,1]
	v_pk_mul_f16 v14, v17, v14 op_sel_hi:[0,1]
	v_pk_mul_f16 v13, v17, v13 op_sel_hi:[0,1]
	v_mul_f32_e32 v17, 0x3fb8aa3b, v15
	v_fma_f32 v23, v15, s62, -v17
	v_rndne_f32_e32 v25, v17
	v_fmac_f32_e32 v23, 0x32a5705f, v15
	v_sub_f32_e32 v17, v17, v25
	v_add_f32_e32 v17, v17, v23
	v_exp_f32_e32 v17, v17
	v_cvt_i32_f32_e32 v23, v25
	v_ldexp_f32 v17, v17, v23
	v_cndmask_b32_e32 v17, 0, v17, vcc
	v_cmp_nlt_f32_e32 vcc, s57, v15
	v_cndmask_b32_e32 v17, v154, v17, vcc
	v_fmac_f32_e32 v17, v5, v4
	v_pk_mov_b32 v[4:5], v[16:17], v[16:17] op_sel:[0,1]
.LBB14_148:                             ;   in Loop: Header=BB14_16 Depth=1
	s_or_b64 exec, exec, s[26:27]
	s_mov_b64 s[26:27], exec
	v_readlane_b32 s20, v179, 59
	v_readlane_b32 s21, v179, 60
	s_and_b64 s[20:21], s[26:27], s[20:21]
	s_mov_b64 exec, s[20:21]
	s_cbranch_execz .LBB14_150
; %bb.149:                              ;   in Loop: Header=BB14_16 Depth=1
	v_add_u32_e32 v15, 0, v94
	ds_write2_b32 v15, v4, v5 offset0:48 offset1:49
.LBB14_150:                             ;   in Loop: Header=BB14_16 Depth=1
	s_or_b64 exec, exec, s[26:27]
	s_waitcnt lgkmcnt(0)
	s_barrier
	s_mov_b64 s[20:21], exec
	v_readlane_b32 s22, v179, 57
	v_readlane_b32 s23, v179, 58
	s_and_b64 s[22:23], s[20:21], s[22:23]
	s_xor_b64 s[26:27], s[22:23], s[20:21]
	s_mov_b64 exec, s[22:23]
	s_cbranch_execz .LBB14_152
; %bb.151:                              ;   in Loop: Header=BB14_16 Depth=1
	s_barrier
	s_waitcnt lgkmcnt(0)
                                        ; implicit-def: $vgpr21
                                        ; implicit-def: $vgpr19
.LBB14_152:                             ;   in Loop: Header=BB14_16 Depth=1
	s_andn2_saveexec_b64 s[26:27], s[26:27]
	s_cbranch_execz .LBB14_154
; %bb.153:                              ;   in Loop: Header=BB14_16 Depth=1
	v_add_u32_e32 v15, 0, v94
	ds_read_b64 v[4:5], v15 offset:192
	s_waitcnt lgkmcnt(0)
	s_barrier
	ds_bpermute_b32 v16, v21, v4
	v_max_f32_e32 v17, v4, v4
	s_waitcnt lgkmcnt(0)
	v_max_f32_e32 v16, v16, v16
	v_max_f32_e32 v16, v17, v16
	ds_bpermute_b32 v17, v19, v16
	s_waitcnt lgkmcnt(0)
	v_max_f32_e32 v17, v17, v17
	v_max_f32_e32 v16, v16, v17
	v_sub_f32_e32 v4, v4, v16
	v_mul_f32_e32 v16, 0x3fb8aa3b, v4
	v_fma_f32 v17, v4, s62, -v16
	v_rndne_f32_e32 v23, v16
	v_fmac_f32_e32 v17, 0x32a5705f, v4
	v_sub_f32_e32 v16, v16, v23
	v_add_f32_e32 v16, v16, v17
	v_cvt_i32_f32_e32 v23, v23
	v_exp_f32_e32 v16, v16
	v_cmp_ngt_f32_e32 vcc, s98, v4
	v_ldexp_f32 v16, v16, v23
	v_cndmask_b32_e32 v16, 0, v16, vcc
	v_cmp_nlt_f32_e32 vcc, s57, v4
	v_cndmask_b32_e32 v4, v154, v16, vcc
	v_mul_f32_e32 v16, v5, v4
	ds_bpermute_b32 v16, v21, v16
	s_waitcnt lgkmcnt(0)
	v_fmac_f32_e32 v16, v5, v4
	ds_bpermute_b32 v5, v19, v16
	s_waitcnt lgkmcnt(0)
	v_add_f32_e32 v5, v16, v5
	ds_write_b64 v15, v[4:5] offset:192
.LBB14_154:                             ;   in Loop: Header=BB14_16 Depth=1
	s_or_b64 exec, exec, s[26:27]
	ds_write2_b32 v95, v2, v1 offset1:1
	ds_write2_b32 v95, v6, v3 offset0:8 offset1:9
	ds_write2_b32 v95, v8, v7 offset0:16 offset1:17
	;; [unrolled: 1-line block ×5, first 2 shown]
	s_waitcnt lgkmcnt(0)
	s_barrier
	s_mov_b64 s[26:27], exec
	v_readlane_b32 s20, v179, 55
	v_readlane_b32 s21, v179, 56
	s_and_b64 s[20:21], s[26:27], s[20:21]
	s_mov_b64 exec, s[20:21]
	s_cbranch_execz .LBB14_14
; %bb.155:                              ;   in Loop: Header=BB14_16 Depth=1
	v_add_u32_e32 v1, s85, v78
	v_cmp_gt_i32_e32 vcc, s76, v1
	v_mov_b32_e32 v2, 0x47
	s_and_saveexec_b64 s[28:29], vcc
	s_cbranch_execz .LBB14_157
; %bb.156:                              ;   in Loop: Header=BB14_16 Depth=1
	v_add_u32_e32 v10, 0, v97
	ds_read2_b32 v[2:3], v10 offset0:48 offset1:49
	ds_read2st64_b32 v[4:5], v98 offset1:13
	v_add_u32_e32 v6, 0xc0, v10
	ds_read2st64_b32 v[6:7], v6 offset0:13 offset1:26
	ds_read2st64_b32 v[8:9], v98 offset0:26 offset1:39
	ds_read_b32 v10, v10 offset:10176
	v_readlane_b32 s20, v179, 44
	v_mad_u64_u32 v[12:13], s[20:21], v1, s20, v[34:35]
	s_waitcnt lgkmcnt(3)
	v_cvt_f32_f16_sdwa v15, v4 dst_sel:DWORD dst_unused:UNUSED_PAD src0_sel:WORD_1
	v_cvt_f32_f16_e32 v14, v4
	v_cvt_f32_f16_sdwa v17, v5 dst_sel:DWORD dst_unused:UNUSED_PAD src0_sel:WORD_1
	v_cvt_f32_f16_e32 v16, v5
	v_ashrrev_i32_e32 v13, 31, v12
	v_pk_fma_f32 v[14:15], v[2:3], v[14:15], 0 op_sel_hi:[0,1,0]
	s_waitcnt lgkmcnt(2)
	v_mov_b32_e32 v2, v7
	v_pk_fma_f32 v[4:5], v[6:7], v[16:17], v[14:15] op_sel_hi:[0,1,1]
	s_waitcnt lgkmcnt(1)
	v_cvt_f32_f16_sdwa v15, v8 dst_sel:DWORD dst_unused:UNUSED_PAD src0_sel:WORD_1
	v_cvt_f32_f16_e32 v14, v8
	v_cvt_f32_f16_sdwa v7, v9 dst_sel:DWORD dst_unused:UNUSED_PAD src0_sel:WORD_1
	v_cvt_f32_f16_e32 v6, v9
	v_lshlrev_b64 v[12:13], 3, v[12:13]
	v_pk_fma_f32 v[4:5], v[2:3], v[14:15], v[4:5] op_sel_hi:[0,1,1]
	v_add_co_u32_e32 v12, vcc, s73, v12
	v_mov_b32_e32 v1, s74
	s_waitcnt lgkmcnt(0)
	v_pk_fma_f32 v[4:5], v[10:11], v[6:7], v[4:5] op_sel_hi:[0,1,1]
	v_addc_co_u32_e32 v13, vcc, v1, v13, vcc
	v_div_scale_f32 v1, s[20:21], v3, v3, v5
	v_rcp_f32_e32 v2, v1
	v_fma_f32 v6, -v1, v2, 1.0
	v_fmac_f32_e32 v2, v6, v2
	v_div_scale_f32 v6, vcc, v5, v3, v5
	v_mul_f32_e32 v7, v6, v2
	v_fma_f32 v8, -v1, v7, v6
	v_fmac_f32_e32 v7, v8, v2
	v_fma_f32 v1, -v1, v7, v6
	v_div_fmas_f32 v1, v1, v2, v7
	v_div_fixup_f32 v5, v1, v3, v5
	v_div_scale_f32 v1, s[20:21], v3, v3, v4
	v_rcp_f32_e32 v2, v1
	v_fma_f32 v6, -v1, v2, 1.0
	v_fmac_f32_e32 v2, v6, v2
	v_div_scale_f32 v6, vcc, v4, v3, v4
	v_mul_f32_e32 v7, v6, v2
	v_fma_f32 v8, -v1, v7, v6
	v_fmac_f32_e32 v7, v8, v2
	v_fma_f32 v1, -v1, v7, v6
	v_div_fmas_f32 v1, v1, v2, v7
	v_div_fixup_f32 v4, v1, v3, v4
	v_mov_b32_e32 v2, 0
	global_store_dwordx2 v[12:13], v[4:5], off
.LBB14_157:                             ;   in Loop: Header=BB14_16 Depth=1
	s_or_b64 exec, exec, s[28:29]
	s_movk_i32 s20, 0x47
	v_cmp_gt_i32_e32 vcc, s20, v2
	s_mov_b64 s[30:31], -1
	s_and_saveexec_b64 s[28:29], vcc
; %bb.158:                              ;   in Loop: Header=BB14_16 Depth=1
	v_cmp_eq_u32_e32 vcc, 0, v2
	s_orn2_b64 s[30:31], vcc, exec
; %bb.159:                              ;   in Loop: Header=BB14_16 Depth=1
	s_or_b64 exec, exec, s[28:29]
	s_and_saveexec_b64 s[28:29], s[30:31]
	s_cbranch_execz .LBB14_192
; %bb.160:                              ;   in Loop: Header=BB14_16 Depth=1
	v_add_u32_e32 v1, s85, v80
	v_cmp_gt_i32_e32 vcc, s76, v1
	v_mov_b32_e32 v2, 0x47
	s_and_saveexec_b64 s[30:31], vcc
	s_cbranch_execz .LBB14_162
; %bb.161:                              ;   in Loop: Header=BB14_16 Depth=1
	v_add_u32_e32 v10, 0, v99
	ds_read2_b32 v[2:3], v10 offset0:48 offset1:49
	ds_read2st64_b32 v[4:5], v100 offset1:13
	v_add_u32_e32 v6, 0xc0, v10
	ds_read2st64_b32 v[6:7], v6 offset0:13 offset1:26
	ds_read2st64_b32 v[8:9], v100 offset0:26 offset1:39
	ds_read_b32 v10, v10 offset:10176
	v_readlane_b32 s20, v179, 44
	v_mad_u64_u32 v[12:13], s[20:21], v1, s20, v[34:35]
	s_waitcnt lgkmcnt(3)
	v_cvt_f32_f16_sdwa v15, v4 dst_sel:DWORD dst_unused:UNUSED_PAD src0_sel:WORD_1
	v_cvt_f32_f16_e32 v14, v4
	v_cvt_f32_f16_sdwa v17, v5 dst_sel:DWORD dst_unused:UNUSED_PAD src0_sel:WORD_1
	v_cvt_f32_f16_e32 v16, v5
	v_ashrrev_i32_e32 v13, 31, v12
	v_pk_fma_f32 v[14:15], v[2:3], v[14:15], 0 op_sel_hi:[0,1,0]
	s_waitcnt lgkmcnt(2)
	v_mov_b32_e32 v2, v7
	v_pk_fma_f32 v[4:5], v[6:7], v[16:17], v[14:15] op_sel_hi:[0,1,1]
	s_waitcnt lgkmcnt(1)
	v_cvt_f32_f16_sdwa v15, v8 dst_sel:DWORD dst_unused:UNUSED_PAD src0_sel:WORD_1
	v_cvt_f32_f16_e32 v14, v8
	v_cvt_f32_f16_sdwa v7, v9 dst_sel:DWORD dst_unused:UNUSED_PAD src0_sel:WORD_1
	v_cvt_f32_f16_e32 v6, v9
	v_lshlrev_b64 v[12:13], 3, v[12:13]
	v_pk_fma_f32 v[4:5], v[2:3], v[14:15], v[4:5] op_sel_hi:[0,1,1]
	v_add_co_u32_e32 v12, vcc, s73, v12
	v_mov_b32_e32 v1, s74
	s_waitcnt lgkmcnt(0)
	v_pk_fma_f32 v[4:5], v[10:11], v[6:7], v[4:5] op_sel_hi:[0,1,1]
	v_addc_co_u32_e32 v13, vcc, v1, v13, vcc
	v_div_scale_f32 v1, s[20:21], v3, v3, v5
	v_rcp_f32_e32 v2, v1
	v_fma_f32 v6, -v1, v2, 1.0
	v_fmac_f32_e32 v2, v6, v2
	v_div_scale_f32 v6, vcc, v5, v3, v5
	v_mul_f32_e32 v7, v6, v2
	v_fma_f32 v8, -v1, v7, v6
	v_fmac_f32_e32 v7, v8, v2
	v_fma_f32 v1, -v1, v7, v6
	v_div_fmas_f32 v1, v1, v2, v7
	v_div_fixup_f32 v5, v1, v3, v5
	v_div_scale_f32 v1, s[20:21], v3, v3, v4
	v_rcp_f32_e32 v2, v1
	v_fma_f32 v6, -v1, v2, 1.0
	v_fmac_f32_e32 v2, v6, v2
	v_div_scale_f32 v6, vcc, v4, v3, v4
	v_mul_f32_e32 v7, v6, v2
	v_fma_f32 v8, -v1, v7, v6
	v_fmac_f32_e32 v7, v8, v2
	v_fma_f32 v1, -v1, v7, v6
	v_div_fmas_f32 v1, v1, v2, v7
	v_div_fixup_f32 v4, v1, v3, v4
	v_mov_b32_e32 v2, 0
	global_store_dwordx2 v[12:13], v[4:5], off
.LBB14_162:                             ;   in Loop: Header=BB14_16 Depth=1
	s_or_b64 exec, exec, s[30:31]
	s_movk_i32 s20, 0x47
	v_cmp_gt_i32_e32 vcc, s20, v2
	s_mov_b64 s[30:31], -1
	s_and_saveexec_b64 s[34:35], vcc
; %bb.163:                              ;   in Loop: Header=BB14_16 Depth=1
	v_cmp_eq_u32_e32 vcc, 0, v2
	s_orn2_b64 s[30:31], vcc, exec
; %bb.164:                              ;   in Loop: Header=BB14_16 Depth=1
	s_or_b64 exec, exec, s[34:35]
	s_and_b64 exec, exec, s[30:31]
	s_cbranch_execz .LBB14_192
; %bb.165:                              ;   in Loop: Header=BB14_16 Depth=1
	v_add_u32_e32 v1, s85, v81
	v_cmp_gt_i32_e32 vcc, s76, v1
	v_mov_b32_e32 v2, 0x47
	s_and_saveexec_b64 s[30:31], vcc
	s_cbranch_execz .LBB14_167
; %bb.166:                              ;   in Loop: Header=BB14_16 Depth=1
	v_add_u32_e32 v10, 0, v101
	ds_read2_b32 v[2:3], v10 offset0:48 offset1:49
	ds_read2st64_b32 v[4:5], v102 offset1:13
	v_add_u32_e32 v6, 0xc0, v10
	ds_read2st64_b32 v[6:7], v6 offset0:13 offset1:26
	ds_read2st64_b32 v[8:9], v102 offset0:26 offset1:39
	ds_read_b32 v10, v10 offset:10176
	v_readlane_b32 s20, v179, 44
	v_mad_u64_u32 v[12:13], s[20:21], v1, s20, v[34:35]
	s_waitcnt lgkmcnt(3)
	v_cvt_f32_f16_sdwa v15, v4 dst_sel:DWORD dst_unused:UNUSED_PAD src0_sel:WORD_1
	v_cvt_f32_f16_e32 v14, v4
	v_cvt_f32_f16_sdwa v17, v5 dst_sel:DWORD dst_unused:UNUSED_PAD src0_sel:WORD_1
	v_cvt_f32_f16_e32 v16, v5
	v_ashrrev_i32_e32 v13, 31, v12
	v_pk_fma_f32 v[14:15], v[2:3], v[14:15], 0 op_sel_hi:[0,1,0]
	s_waitcnt lgkmcnt(2)
	v_mov_b32_e32 v2, v7
	v_pk_fma_f32 v[4:5], v[6:7], v[16:17], v[14:15] op_sel_hi:[0,1,1]
	s_waitcnt lgkmcnt(1)
	v_cvt_f32_f16_sdwa v15, v8 dst_sel:DWORD dst_unused:UNUSED_PAD src0_sel:WORD_1
	v_cvt_f32_f16_e32 v14, v8
	v_cvt_f32_f16_sdwa v7, v9 dst_sel:DWORD dst_unused:UNUSED_PAD src0_sel:WORD_1
	v_cvt_f32_f16_e32 v6, v9
	v_lshlrev_b64 v[12:13], 3, v[12:13]
	v_pk_fma_f32 v[4:5], v[2:3], v[14:15], v[4:5] op_sel_hi:[0,1,1]
	v_add_co_u32_e32 v12, vcc, s73, v12
	v_mov_b32_e32 v1, s74
	s_waitcnt lgkmcnt(0)
	v_pk_fma_f32 v[4:5], v[10:11], v[6:7], v[4:5] op_sel_hi:[0,1,1]
	v_addc_co_u32_e32 v13, vcc, v1, v13, vcc
	v_div_scale_f32 v1, s[20:21], v3, v3, v5
	v_rcp_f32_e32 v2, v1
	v_fma_f32 v6, -v1, v2, 1.0
	v_fmac_f32_e32 v2, v6, v2
	v_div_scale_f32 v6, vcc, v5, v3, v5
	v_mul_f32_e32 v7, v6, v2
	v_fma_f32 v8, -v1, v7, v6
	v_fmac_f32_e32 v7, v8, v2
	v_fma_f32 v1, -v1, v7, v6
	v_div_fmas_f32 v1, v1, v2, v7
	v_div_fixup_f32 v5, v1, v3, v5
	v_div_scale_f32 v1, s[20:21], v3, v3, v4
	v_rcp_f32_e32 v2, v1
	v_fma_f32 v6, -v1, v2, 1.0
	v_fmac_f32_e32 v2, v6, v2
	v_div_scale_f32 v6, vcc, v4, v3, v4
	v_mul_f32_e32 v7, v6, v2
	v_fma_f32 v8, -v1, v7, v6
	v_fmac_f32_e32 v7, v8, v2
	v_fma_f32 v1, -v1, v7, v6
	v_div_fmas_f32 v1, v1, v2, v7
	v_div_fixup_f32 v4, v1, v3, v4
	v_mov_b32_e32 v2, 0
	global_store_dwordx2 v[12:13], v[4:5], off
.LBB14_167:                             ;   in Loop: Header=BB14_16 Depth=1
	s_or_b64 exec, exec, s[30:31]
	s_movk_i32 s20, 0x47
	v_cmp_gt_i32_e32 vcc, s20, v2
	s_mov_b64 s[30:31], -1
	s_and_saveexec_b64 s[34:35], vcc
; %bb.168:                              ;   in Loop: Header=BB14_16 Depth=1
	v_cmp_eq_u32_e32 vcc, 0, v2
	s_orn2_b64 s[30:31], vcc, exec
; %bb.169:                              ;   in Loop: Header=BB14_16 Depth=1
	s_or_b64 exec, exec, s[34:35]
	s_and_b64 exec, exec, s[30:31]
	s_cbranch_execz .LBB14_192
; %bb.170:                              ;   in Loop: Header=BB14_16 Depth=1
	v_add_u32_e32 v1, s85, v82
	v_cmp_gt_i32_e32 vcc, s76, v1
	v_mov_b32_e32 v2, 0x47
	s_and_saveexec_b64 s[30:31], vcc
	s_cbranch_execz .LBB14_172
; %bb.171:                              ;   in Loop: Header=BB14_16 Depth=1
	v_add_u32_e32 v10, 0, v103
	ds_read2_b32 v[2:3], v10 offset0:48 offset1:49
	ds_read2st64_b32 v[4:5], v104 offset1:13
	v_add_u32_e32 v6, 0xc0, v10
	ds_read2st64_b32 v[6:7], v6 offset0:13 offset1:26
	ds_read2st64_b32 v[8:9], v104 offset0:26 offset1:39
	ds_read_b32 v10, v10 offset:10176
	v_readlane_b32 s20, v179, 44
	v_mad_u64_u32 v[12:13], s[20:21], v1, s20, v[34:35]
	s_waitcnt lgkmcnt(3)
	v_cvt_f32_f16_sdwa v15, v4 dst_sel:DWORD dst_unused:UNUSED_PAD src0_sel:WORD_1
	v_cvt_f32_f16_e32 v14, v4
	v_cvt_f32_f16_sdwa v17, v5 dst_sel:DWORD dst_unused:UNUSED_PAD src0_sel:WORD_1
	v_cvt_f32_f16_e32 v16, v5
	v_ashrrev_i32_e32 v13, 31, v12
	v_pk_fma_f32 v[14:15], v[2:3], v[14:15], 0 op_sel_hi:[0,1,0]
	s_waitcnt lgkmcnt(2)
	v_mov_b32_e32 v2, v7
	v_pk_fma_f32 v[4:5], v[6:7], v[16:17], v[14:15] op_sel_hi:[0,1,1]
	s_waitcnt lgkmcnt(1)
	v_cvt_f32_f16_sdwa v15, v8 dst_sel:DWORD dst_unused:UNUSED_PAD src0_sel:WORD_1
	v_cvt_f32_f16_e32 v14, v8
	v_cvt_f32_f16_sdwa v7, v9 dst_sel:DWORD dst_unused:UNUSED_PAD src0_sel:WORD_1
	v_cvt_f32_f16_e32 v6, v9
	v_lshlrev_b64 v[12:13], 3, v[12:13]
	v_pk_fma_f32 v[4:5], v[2:3], v[14:15], v[4:5] op_sel_hi:[0,1,1]
	v_add_co_u32_e32 v12, vcc, s73, v12
	v_mov_b32_e32 v1, s74
	s_waitcnt lgkmcnt(0)
	v_pk_fma_f32 v[4:5], v[10:11], v[6:7], v[4:5] op_sel_hi:[0,1,1]
	v_addc_co_u32_e32 v13, vcc, v1, v13, vcc
	v_div_scale_f32 v1, s[20:21], v3, v3, v5
	v_rcp_f32_e32 v2, v1
	v_fma_f32 v6, -v1, v2, 1.0
	v_fmac_f32_e32 v2, v6, v2
	v_div_scale_f32 v6, vcc, v5, v3, v5
	v_mul_f32_e32 v7, v6, v2
	v_fma_f32 v8, -v1, v7, v6
	v_fmac_f32_e32 v7, v8, v2
	v_fma_f32 v1, -v1, v7, v6
	v_div_fmas_f32 v1, v1, v2, v7
	v_div_fixup_f32 v5, v1, v3, v5
	v_div_scale_f32 v1, s[20:21], v3, v3, v4
	v_rcp_f32_e32 v2, v1
	v_fma_f32 v6, -v1, v2, 1.0
	v_fmac_f32_e32 v2, v6, v2
	v_div_scale_f32 v6, vcc, v4, v3, v4
	v_mul_f32_e32 v7, v6, v2
	v_fma_f32 v8, -v1, v7, v6
	v_fmac_f32_e32 v7, v8, v2
	v_fma_f32 v1, -v1, v7, v6
	v_div_fmas_f32 v1, v1, v2, v7
	v_div_fixup_f32 v4, v1, v3, v4
	v_mov_b32_e32 v2, 0
	global_store_dwordx2 v[12:13], v[4:5], off
.LBB14_172:                             ;   in Loop: Header=BB14_16 Depth=1
	s_or_b64 exec, exec, s[30:31]
	s_movk_i32 s20, 0x47
	v_cmp_gt_i32_e32 vcc, s20, v2
	s_mov_b64 s[30:31], -1
	s_and_saveexec_b64 s[34:35], vcc
; %bb.173:                              ;   in Loop: Header=BB14_16 Depth=1
	v_cmp_eq_u32_e32 vcc, 0, v2
	s_orn2_b64 s[30:31], vcc, exec
; %bb.174:                              ;   in Loop: Header=BB14_16 Depth=1
	s_or_b64 exec, exec, s[34:35]
	s_and_b64 exec, exec, s[30:31]
	s_cbranch_execz .LBB14_192
; %bb.175:                              ;   in Loop: Header=BB14_16 Depth=1
	v_add_u32_e32 v1, s85, v83
	v_cmp_gt_i32_e32 vcc, s76, v1
	v_mov_b32_e32 v2, 0x47
	s_and_saveexec_b64 s[30:31], vcc
	s_cbranch_execz .LBB14_177
; %bb.176:                              ;   in Loop: Header=BB14_16 Depth=1
	v_add_u32_e32 v10, 0, v105
	ds_read2_b32 v[2:3], v10 offset0:48 offset1:49
	ds_read2st64_b32 v[4:5], v106 offset1:13
	v_add_u32_e32 v6, 0xc0, v10
	ds_read2st64_b32 v[6:7], v6 offset0:13 offset1:26
	ds_read2st64_b32 v[8:9], v106 offset0:26 offset1:39
	ds_read_b32 v10, v10 offset:10176
	v_readlane_b32 s20, v179, 44
	v_mad_u64_u32 v[12:13], s[20:21], v1, s20, v[34:35]
	s_waitcnt lgkmcnt(3)
	v_cvt_f32_f16_sdwa v15, v4 dst_sel:DWORD dst_unused:UNUSED_PAD src0_sel:WORD_1
	v_cvt_f32_f16_e32 v14, v4
	v_cvt_f32_f16_sdwa v17, v5 dst_sel:DWORD dst_unused:UNUSED_PAD src0_sel:WORD_1
	v_cvt_f32_f16_e32 v16, v5
	v_ashrrev_i32_e32 v13, 31, v12
	v_pk_fma_f32 v[14:15], v[2:3], v[14:15], 0 op_sel_hi:[0,1,0]
	s_waitcnt lgkmcnt(2)
	v_mov_b32_e32 v2, v7
	v_pk_fma_f32 v[4:5], v[6:7], v[16:17], v[14:15] op_sel_hi:[0,1,1]
	s_waitcnt lgkmcnt(1)
	v_cvt_f32_f16_sdwa v15, v8 dst_sel:DWORD dst_unused:UNUSED_PAD src0_sel:WORD_1
	v_cvt_f32_f16_e32 v14, v8
	v_cvt_f32_f16_sdwa v7, v9 dst_sel:DWORD dst_unused:UNUSED_PAD src0_sel:WORD_1
	v_cvt_f32_f16_e32 v6, v9
	v_lshlrev_b64 v[12:13], 3, v[12:13]
	v_pk_fma_f32 v[4:5], v[2:3], v[14:15], v[4:5] op_sel_hi:[0,1,1]
	v_add_co_u32_e32 v12, vcc, s73, v12
	v_mov_b32_e32 v1, s74
	s_waitcnt lgkmcnt(0)
	v_pk_fma_f32 v[4:5], v[10:11], v[6:7], v[4:5] op_sel_hi:[0,1,1]
	v_addc_co_u32_e32 v13, vcc, v1, v13, vcc
	v_div_scale_f32 v1, s[20:21], v3, v3, v5
	v_rcp_f32_e32 v2, v1
	v_fma_f32 v6, -v1, v2, 1.0
	v_fmac_f32_e32 v2, v6, v2
	v_div_scale_f32 v6, vcc, v5, v3, v5
	v_mul_f32_e32 v7, v6, v2
	v_fma_f32 v8, -v1, v7, v6
	v_fmac_f32_e32 v7, v8, v2
	v_fma_f32 v1, -v1, v7, v6
	v_div_fmas_f32 v1, v1, v2, v7
	v_div_fixup_f32 v5, v1, v3, v5
	v_div_scale_f32 v1, s[20:21], v3, v3, v4
	v_rcp_f32_e32 v2, v1
	v_fma_f32 v6, -v1, v2, 1.0
	v_fmac_f32_e32 v2, v6, v2
	v_div_scale_f32 v6, vcc, v4, v3, v4
	v_mul_f32_e32 v7, v6, v2
	v_fma_f32 v8, -v1, v7, v6
	v_fmac_f32_e32 v7, v8, v2
	v_fma_f32 v1, -v1, v7, v6
	v_div_fmas_f32 v1, v1, v2, v7
	v_div_fixup_f32 v4, v1, v3, v4
	v_mov_b32_e32 v2, 0
	global_store_dwordx2 v[12:13], v[4:5], off
.LBB14_177:                             ;   in Loop: Header=BB14_16 Depth=1
	s_or_b64 exec, exec, s[30:31]
	s_movk_i32 s20, 0x47
	v_cmp_gt_i32_e32 vcc, s20, v2
	s_mov_b64 s[30:31], -1
	s_and_saveexec_b64 s[34:35], vcc
; %bb.178:                              ;   in Loop: Header=BB14_16 Depth=1
	v_cmp_eq_u32_e32 vcc, 0, v2
	s_orn2_b64 s[30:31], vcc, exec
; %bb.179:                              ;   in Loop: Header=BB14_16 Depth=1
	s_or_b64 exec, exec, s[34:35]
	s_and_b64 exec, exec, s[30:31]
	s_cbranch_execz .LBB14_192
; %bb.180:                              ;   in Loop: Header=BB14_16 Depth=1
	v_add_u32_e32 v1, s85, v84
	v_cmp_gt_i32_e32 vcc, s76, v1
	v_mov_b32_e32 v2, 0x47
	s_and_saveexec_b64 s[30:31], vcc
	s_cbranch_execz .LBB14_182
; %bb.181:                              ;   in Loop: Header=BB14_16 Depth=1
	v_add_u32_e32 v10, 0, v107
	ds_read2_b32 v[2:3], v10 offset0:48 offset1:49
	ds_read2st64_b32 v[4:5], v108 offset1:13
	v_add_u32_e32 v6, 0xc0, v10
	ds_read2st64_b32 v[6:7], v6 offset0:13 offset1:26
	ds_read2st64_b32 v[8:9], v108 offset0:26 offset1:39
	ds_read_b32 v10, v10 offset:10176
	v_readlane_b32 s20, v179, 44
	v_mad_u64_u32 v[12:13], s[20:21], v1, s20, v[34:35]
	s_waitcnt lgkmcnt(3)
	v_cvt_f32_f16_sdwa v15, v4 dst_sel:DWORD dst_unused:UNUSED_PAD src0_sel:WORD_1
	v_cvt_f32_f16_e32 v14, v4
	v_cvt_f32_f16_sdwa v17, v5 dst_sel:DWORD dst_unused:UNUSED_PAD src0_sel:WORD_1
	v_cvt_f32_f16_e32 v16, v5
	v_ashrrev_i32_e32 v13, 31, v12
	v_pk_fma_f32 v[14:15], v[2:3], v[14:15], 0 op_sel_hi:[0,1,0]
	s_waitcnt lgkmcnt(2)
	v_mov_b32_e32 v2, v7
	v_pk_fma_f32 v[4:5], v[6:7], v[16:17], v[14:15] op_sel_hi:[0,1,1]
	s_waitcnt lgkmcnt(1)
	v_cvt_f32_f16_sdwa v15, v8 dst_sel:DWORD dst_unused:UNUSED_PAD src0_sel:WORD_1
	v_cvt_f32_f16_e32 v14, v8
	v_cvt_f32_f16_sdwa v7, v9 dst_sel:DWORD dst_unused:UNUSED_PAD src0_sel:WORD_1
	v_cvt_f32_f16_e32 v6, v9
	v_lshlrev_b64 v[12:13], 3, v[12:13]
	v_pk_fma_f32 v[4:5], v[2:3], v[14:15], v[4:5] op_sel_hi:[0,1,1]
	v_add_co_u32_e32 v12, vcc, s73, v12
	v_mov_b32_e32 v1, s74
	s_waitcnt lgkmcnt(0)
	v_pk_fma_f32 v[4:5], v[10:11], v[6:7], v[4:5] op_sel_hi:[0,1,1]
	v_addc_co_u32_e32 v13, vcc, v1, v13, vcc
	v_div_scale_f32 v1, s[20:21], v3, v3, v5
	v_rcp_f32_e32 v2, v1
	v_fma_f32 v6, -v1, v2, 1.0
	v_fmac_f32_e32 v2, v6, v2
	v_div_scale_f32 v6, vcc, v5, v3, v5
	v_mul_f32_e32 v7, v6, v2
	v_fma_f32 v8, -v1, v7, v6
	v_fmac_f32_e32 v7, v8, v2
	v_fma_f32 v1, -v1, v7, v6
	v_div_fmas_f32 v1, v1, v2, v7
	v_div_fixup_f32 v5, v1, v3, v5
	v_div_scale_f32 v1, s[20:21], v3, v3, v4
	v_rcp_f32_e32 v2, v1
	v_fma_f32 v6, -v1, v2, 1.0
	v_fmac_f32_e32 v2, v6, v2
	v_div_scale_f32 v6, vcc, v4, v3, v4
	v_mul_f32_e32 v7, v6, v2
	v_fma_f32 v8, -v1, v7, v6
	v_fmac_f32_e32 v7, v8, v2
	v_fma_f32 v1, -v1, v7, v6
	v_div_fmas_f32 v1, v1, v2, v7
	v_div_fixup_f32 v4, v1, v3, v4
	v_mov_b32_e32 v2, 0
	global_store_dwordx2 v[12:13], v[4:5], off
.LBB14_182:                             ;   in Loop: Header=BB14_16 Depth=1
	s_or_b64 exec, exec, s[30:31]
	s_movk_i32 s20, 0x47
	v_cmp_gt_i32_e32 vcc, s20, v2
	s_mov_b64 s[30:31], -1
	s_and_saveexec_b64 s[34:35], vcc
; %bb.183:                              ;   in Loop: Header=BB14_16 Depth=1
	v_cmp_eq_u32_e32 vcc, 0, v2
	s_orn2_b64 s[30:31], vcc, exec
; %bb.184:                              ;   in Loop: Header=BB14_16 Depth=1
	s_or_b64 exec, exec, s[34:35]
	s_and_b64 exec, exec, s[30:31]
	s_cbranch_execz .LBB14_192
; %bb.185:                              ;   in Loop: Header=BB14_16 Depth=1
	v_add_u32_e32 v1, s85, v85
	v_cmp_gt_i32_e32 vcc, s76, v1
	v_mov_b32_e32 v2, 0x47
	s_and_saveexec_b64 s[30:31], vcc
	s_cbranch_execz .LBB14_187
; %bb.186:                              ;   in Loop: Header=BB14_16 Depth=1
	v_add_u32_e32 v10, 0, v109
	ds_read2_b32 v[2:3], v10 offset0:48 offset1:49
	ds_read2st64_b32 v[4:5], v110 offset1:13
	v_add_u32_e32 v6, 0xc0, v10
	ds_read2st64_b32 v[6:7], v6 offset0:13 offset1:26
	ds_read2st64_b32 v[8:9], v110 offset0:26 offset1:39
	ds_read_b32 v10, v10 offset:10176
	v_readlane_b32 s20, v179, 44
	v_mad_u64_u32 v[12:13], s[20:21], v1, s20, v[34:35]
	s_waitcnt lgkmcnt(3)
	v_cvt_f32_f16_sdwa v15, v4 dst_sel:DWORD dst_unused:UNUSED_PAD src0_sel:WORD_1
	v_cvt_f32_f16_e32 v14, v4
	v_cvt_f32_f16_sdwa v17, v5 dst_sel:DWORD dst_unused:UNUSED_PAD src0_sel:WORD_1
	v_cvt_f32_f16_e32 v16, v5
	v_ashrrev_i32_e32 v13, 31, v12
	v_pk_fma_f32 v[14:15], v[2:3], v[14:15], 0 op_sel_hi:[0,1,0]
	s_waitcnt lgkmcnt(2)
	v_mov_b32_e32 v2, v7
	v_pk_fma_f32 v[4:5], v[6:7], v[16:17], v[14:15] op_sel_hi:[0,1,1]
	s_waitcnt lgkmcnt(1)
	v_cvt_f32_f16_sdwa v15, v8 dst_sel:DWORD dst_unused:UNUSED_PAD src0_sel:WORD_1
	v_cvt_f32_f16_e32 v14, v8
	v_cvt_f32_f16_sdwa v7, v9 dst_sel:DWORD dst_unused:UNUSED_PAD src0_sel:WORD_1
	v_cvt_f32_f16_e32 v6, v9
	v_lshlrev_b64 v[12:13], 3, v[12:13]
	v_pk_fma_f32 v[4:5], v[2:3], v[14:15], v[4:5] op_sel_hi:[0,1,1]
	v_add_co_u32_e32 v12, vcc, s73, v12
	v_mov_b32_e32 v1, s74
	s_waitcnt lgkmcnt(0)
	v_pk_fma_f32 v[4:5], v[10:11], v[6:7], v[4:5] op_sel_hi:[0,1,1]
	v_addc_co_u32_e32 v13, vcc, v1, v13, vcc
	v_div_scale_f32 v1, s[20:21], v3, v3, v5
	v_rcp_f32_e32 v2, v1
	v_fma_f32 v6, -v1, v2, 1.0
	v_fmac_f32_e32 v2, v6, v2
	v_div_scale_f32 v6, vcc, v5, v3, v5
	v_mul_f32_e32 v7, v6, v2
	v_fma_f32 v8, -v1, v7, v6
	v_fmac_f32_e32 v7, v8, v2
	v_fma_f32 v1, -v1, v7, v6
	v_div_fmas_f32 v1, v1, v2, v7
	v_div_fixup_f32 v5, v1, v3, v5
	v_div_scale_f32 v1, s[20:21], v3, v3, v4
	v_rcp_f32_e32 v2, v1
	v_fma_f32 v6, -v1, v2, 1.0
	v_fmac_f32_e32 v2, v6, v2
	v_div_scale_f32 v6, vcc, v4, v3, v4
	v_mul_f32_e32 v7, v6, v2
	v_fma_f32 v8, -v1, v7, v6
	v_fmac_f32_e32 v7, v8, v2
	v_fma_f32 v1, -v1, v7, v6
	v_div_fmas_f32 v1, v1, v2, v7
	v_div_fixup_f32 v4, v1, v3, v4
	v_mov_b32_e32 v2, 0
	global_store_dwordx2 v[12:13], v[4:5], off
.LBB14_187:                             ;   in Loop: Header=BB14_16 Depth=1
	s_or_b64 exec, exec, s[30:31]
	s_movk_i32 s20, 0x47
	v_cmp_gt_i32_e32 vcc, s20, v2
	s_mov_b64 s[30:31], -1
	s_and_saveexec_b64 s[34:35], vcc
; %bb.188:                              ;   in Loop: Header=BB14_16 Depth=1
	v_cmp_eq_u32_e32 vcc, 0, v2
	s_orn2_b64 s[30:31], vcc, exec
; %bb.189:                              ;   in Loop: Header=BB14_16 Depth=1
	s_or_b64 exec, exec, s[34:35]
	s_and_b64 exec, exec, s[30:31]
	s_cbranch_execz .LBB14_192
; %bb.190:                              ;   in Loop: Header=BB14_16 Depth=1
	v_add_u32_e32 v1, s85, v86
	v_cmp_gt_i32_e32 vcc, s76, v1
	s_and_b64 exec, exec, vcc
	s_cbranch_execz .LBB14_192
; %bb.191:                              ;   in Loop: Header=BB14_16 Depth=1
	v_add_u32_e32 v10, 0, v111
	ds_read2_b32 v[2:3], v10 offset0:48 offset1:49
	ds_read2st64_b32 v[4:5], v112 offset1:13
	v_add_u32_e32 v6, 0xc0, v10
	ds_read2st64_b32 v[6:7], v6 offset0:13 offset1:26
	ds_read2st64_b32 v[8:9], v112 offset0:26 offset1:39
	ds_read_b32 v10, v10 offset:10176
	v_readlane_b32 s20, v179, 44
	v_mad_u64_u32 v[12:13], s[20:21], v1, s20, v[34:35]
	s_waitcnt lgkmcnt(3)
	v_cvt_f32_f16_sdwa v15, v4 dst_sel:DWORD dst_unused:UNUSED_PAD src0_sel:WORD_1
	v_cvt_f32_f16_e32 v14, v4
	v_cvt_f32_f16_sdwa v17, v5 dst_sel:DWORD dst_unused:UNUSED_PAD src0_sel:WORD_1
	v_cvt_f32_f16_e32 v16, v5
	v_ashrrev_i32_e32 v13, 31, v12
	v_pk_fma_f32 v[14:15], v[2:3], v[14:15], 0 op_sel_hi:[0,1,0]
	s_waitcnt lgkmcnt(2)
	v_mov_b32_e32 v2, v7
	v_pk_fma_f32 v[4:5], v[6:7], v[16:17], v[14:15] op_sel_hi:[0,1,1]
	s_waitcnt lgkmcnt(1)
	v_cvt_f32_f16_sdwa v15, v8 dst_sel:DWORD dst_unused:UNUSED_PAD src0_sel:WORD_1
	v_cvt_f32_f16_e32 v14, v8
	v_cvt_f32_f16_sdwa v7, v9 dst_sel:DWORD dst_unused:UNUSED_PAD src0_sel:WORD_1
	v_cvt_f32_f16_e32 v6, v9
	v_lshlrev_b64 v[12:13], 3, v[12:13]
	v_pk_fma_f32 v[4:5], v[2:3], v[14:15], v[4:5] op_sel_hi:[0,1,1]
	v_add_co_u32_e32 v12, vcc, s73, v12
	v_mov_b32_e32 v1, s74
	s_waitcnt lgkmcnt(0)
	v_pk_fma_f32 v[4:5], v[10:11], v[6:7], v[4:5] op_sel_hi:[0,1,1]
	v_addc_co_u32_e32 v13, vcc, v1, v13, vcc
	v_div_scale_f32 v1, s[20:21], v3, v3, v5
	v_rcp_f32_e32 v2, v1
	v_fma_f32 v6, -v1, v2, 1.0
	v_fmac_f32_e32 v2, v6, v2
	v_div_scale_f32 v6, vcc, v5, v3, v5
	v_mul_f32_e32 v7, v6, v2
	v_fma_f32 v8, -v1, v7, v6
	v_fmac_f32_e32 v7, v8, v2
	v_fma_f32 v1, -v1, v7, v6
	v_div_fmas_f32 v1, v1, v2, v7
	v_div_fixup_f32 v5, v1, v3, v5
	v_div_scale_f32 v1, s[20:21], v3, v3, v4
	v_rcp_f32_e32 v2, v1
	v_fma_f32 v6, -v1, v2, 1.0
	v_fmac_f32_e32 v2, v6, v2
	v_div_scale_f32 v6, vcc, v4, v3, v4
	v_mul_f32_e32 v7, v6, v2
	v_fma_f32 v8, -v1, v7, v6
	v_fmac_f32_e32 v7, v8, v2
	v_fma_f32 v1, -v1, v7, v6
	v_div_fmas_f32 v1, v1, v2, v7
	v_div_fixup_f32 v4, v1, v3, v4
	global_store_dwordx2 v[12:13], v[4:5], off
.LBB14_192:                             ;   in Loop: Header=BB14_16 Depth=1
	s_or_b64 exec, exec, s[28:29]
	v_add_u32_e32 v2, s85, v79
	v_cmp_gt_i32_e32 vcc, s76, v2
	v_mov_b32_e32 v1, 0x47
	s_and_saveexec_b64 s[28:29], vcc
	s_cbranch_execz .LBB14_194
; %bb.193:                              ;   in Loop: Header=BB14_16 Depth=1
	v_add_u32_e32 v8, 0x80, v114
	ds_read2st64_b32 v[4:5], v8 offset1:13
	v_readlane_b32 s20, v179, 44
	v_add_u32_e32 v10, 0, v113
	v_mul_lo_u32 v1, v2, s20
	ds_read2_b32 v[2:3], v10 offset0:48 offset1:49
	v_add_u32_e32 v6, 0xc0, v10
	s_waitcnt lgkmcnt(1)
	v_cvt_f32_f16_sdwa v15, v4 dst_sel:DWORD dst_unused:UNUSED_PAD src0_sel:WORD_1
	v_cvt_f32_f16_e32 v14, v4
	ds_read2st64_b32 v[6:7], v6 offset0:13 offset1:26
	ds_read2st64_b32 v[8:9], v8 offset0:26 offset1:39
	ds_read_b32 v10, v10 offset:10176
	v_cvt_f32_f16_sdwa v17, v5 dst_sel:DWORD dst_unused:UNUSED_PAD src0_sel:WORD_1
	v_cvt_f32_f16_e32 v16, v5
	s_waitcnt lgkmcnt(3)
	v_pk_fma_f32 v[14:15], v[2:3], v[14:15], 0 op_sel_hi:[0,1,0]
	s_waitcnt lgkmcnt(2)
	v_mov_b32_e32 v2, v7
	v_ashrrev_i32_e32 v11, 31, v1
	v_pk_fma_f32 v[4:5], v[6:7], v[16:17], v[14:15] op_sel_hi:[0,1,1]
	s_waitcnt lgkmcnt(1)
	v_cvt_f32_f16_sdwa v15, v8 dst_sel:DWORD dst_unused:UNUSED_PAD src0_sel:WORD_1
	v_cvt_f32_f16_e32 v14, v8
	v_cvt_f32_f16_sdwa v7, v9 dst_sel:DWORD dst_unused:UNUSED_PAD src0_sel:WORD_1
	v_cvt_f32_f16_e32 v6, v9
	v_add_co_u32_e32 v12, vcc, v1, v20
	v_addc_co_u32_e32 v13, vcc, 0, v11, vcc
	v_lshlrev_b64 v[12:13], 3, v[12:13]
	v_pk_fma_f32 v[4:5], v[2:3], v[14:15], v[4:5] op_sel_hi:[0,1,1]
	v_add_co_u32_e32 v12, vcc, s73, v12
	v_mov_b32_e32 v1, s74
	s_waitcnt lgkmcnt(0)
	v_pk_fma_f32 v[4:5], v[10:11], v[6:7], v[4:5] op_sel_hi:[0,1,1]
	v_addc_co_u32_e32 v13, vcc, v1, v13, vcc
	v_div_scale_f32 v1, s[20:21], v3, v3, v5
	v_rcp_f32_e32 v2, v1
	v_fma_f32 v6, -v1, v2, 1.0
	v_fmac_f32_e32 v2, v6, v2
	v_div_scale_f32 v6, vcc, v5, v3, v5
	v_mul_f32_e32 v7, v6, v2
	v_fma_f32 v8, -v1, v7, v6
	v_fmac_f32_e32 v7, v8, v2
	v_fma_f32 v1, -v1, v7, v6
	v_div_fmas_f32 v1, v1, v2, v7
	v_div_fixup_f32 v5, v1, v3, v5
	v_div_scale_f32 v1, s[20:21], v3, v3, v4
	v_rcp_f32_e32 v2, v1
	v_fma_f32 v6, -v1, v2, 1.0
	v_fmac_f32_e32 v2, v6, v2
	v_div_scale_f32 v6, vcc, v4, v3, v4
	v_mul_f32_e32 v7, v6, v2
	v_fma_f32 v8, -v1, v7, v6
	v_fmac_f32_e32 v7, v8, v2
	v_fma_f32 v1, -v1, v7, v6
	v_div_fmas_f32 v1, v1, v2, v7
	v_div_fixup_f32 v4, v1, v3, v4
	v_mov_b32_e32 v1, 0
	global_store_dwordx2 v[12:13], v[4:5], off offset:256
.LBB14_194:                             ;   in Loop: Header=BB14_16 Depth=1
	s_or_b64 exec, exec, s[28:29]
	s_movk_i32 s20, 0x47
	v_cmp_gt_i32_e32 vcc, s20, v1
	s_mov_b64 s[28:29], -1
	s_and_saveexec_b64 s[30:31], vcc
; %bb.195:                              ;   in Loop: Header=BB14_16 Depth=1
	v_cmp_eq_u32_e32 vcc, 0, v1
	s_orn2_b64 s[28:29], vcc, exec
; %bb.196:                              ;   in Loop: Header=BB14_16 Depth=1
	s_or_b64 exec, exec, s[30:31]
	s_and_b64 exec, exec, s[28:29]
	s_cbranch_execz .LBB14_14
; %bb.197:                              ;   in Loop: Header=BB14_16 Depth=1
	v_add_u32_e32 v2, s85, v87
	v_cmp_gt_i32_e32 vcc, s76, v2
	v_mov_b32_e32 v1, 0x47
	s_and_saveexec_b64 s[28:29], vcc
	s_cbranch_execz .LBB14_199
; %bb.198:                              ;   in Loop: Header=BB14_16 Depth=1
	v_add_u32_e32 v8, 0x80, v116
	ds_read2st64_b32 v[4:5], v8 offset1:13
	v_readlane_b32 s20, v179, 44
	v_add_u32_e32 v10, 0, v115
	v_mul_lo_u32 v1, v2, s20
	ds_read2_b32 v[2:3], v10 offset0:48 offset1:49
	v_add_u32_e32 v6, 0xc0, v10
	s_waitcnt lgkmcnt(1)
	v_cvt_f32_f16_sdwa v15, v4 dst_sel:DWORD dst_unused:UNUSED_PAD src0_sel:WORD_1
	v_cvt_f32_f16_e32 v14, v4
	ds_read2st64_b32 v[6:7], v6 offset0:13 offset1:26
	ds_read2st64_b32 v[8:9], v8 offset0:26 offset1:39
	ds_read_b32 v10, v10 offset:10176
	v_cvt_f32_f16_sdwa v17, v5 dst_sel:DWORD dst_unused:UNUSED_PAD src0_sel:WORD_1
	v_cvt_f32_f16_e32 v16, v5
	s_waitcnt lgkmcnt(3)
	v_pk_fma_f32 v[14:15], v[2:3], v[14:15], 0 op_sel_hi:[0,1,0]
	s_waitcnt lgkmcnt(2)
	v_mov_b32_e32 v2, v7
	v_ashrrev_i32_e32 v11, 31, v1
	v_pk_fma_f32 v[4:5], v[6:7], v[16:17], v[14:15] op_sel_hi:[0,1,1]
	s_waitcnt lgkmcnt(1)
	v_cvt_f32_f16_sdwa v15, v8 dst_sel:DWORD dst_unused:UNUSED_PAD src0_sel:WORD_1
	v_cvt_f32_f16_e32 v14, v8
	v_cvt_f32_f16_sdwa v7, v9 dst_sel:DWORD dst_unused:UNUSED_PAD src0_sel:WORD_1
	v_cvt_f32_f16_e32 v6, v9
	v_add_co_u32_e32 v12, vcc, v1, v20
	v_addc_co_u32_e32 v13, vcc, 0, v11, vcc
	v_lshlrev_b64 v[12:13], 3, v[12:13]
	v_pk_fma_f32 v[4:5], v[2:3], v[14:15], v[4:5] op_sel_hi:[0,1,1]
	v_add_co_u32_e32 v12, vcc, s73, v12
	v_mov_b32_e32 v1, s74
	s_waitcnt lgkmcnt(0)
	v_pk_fma_f32 v[4:5], v[10:11], v[6:7], v[4:5] op_sel_hi:[0,1,1]
	v_addc_co_u32_e32 v13, vcc, v1, v13, vcc
	v_div_scale_f32 v1, s[20:21], v3, v3, v5
	v_rcp_f32_e32 v2, v1
	v_fma_f32 v6, -v1, v2, 1.0
	v_fmac_f32_e32 v2, v6, v2
	v_div_scale_f32 v6, vcc, v5, v3, v5
	v_mul_f32_e32 v7, v6, v2
	v_fma_f32 v8, -v1, v7, v6
	v_fmac_f32_e32 v7, v8, v2
	v_fma_f32 v1, -v1, v7, v6
	v_div_fmas_f32 v1, v1, v2, v7
	v_div_fixup_f32 v5, v1, v3, v5
	v_div_scale_f32 v1, s[20:21], v3, v3, v4
	v_rcp_f32_e32 v2, v1
	v_fma_f32 v6, -v1, v2, 1.0
	v_fmac_f32_e32 v2, v6, v2
	v_div_scale_f32 v6, vcc, v4, v3, v4
	v_mul_f32_e32 v7, v6, v2
	v_fma_f32 v8, -v1, v7, v6
	v_fmac_f32_e32 v7, v8, v2
	v_fma_f32 v1, -v1, v7, v6
	v_div_fmas_f32 v1, v1, v2, v7
	v_div_fixup_f32 v4, v1, v3, v4
	v_mov_b32_e32 v1, 0
	global_store_dwordx2 v[12:13], v[4:5], off offset:256
.LBB14_199:                             ;   in Loop: Header=BB14_16 Depth=1
	s_or_b64 exec, exec, s[28:29]
	s_movk_i32 s20, 0x47
	v_cmp_gt_i32_e32 vcc, s20, v1
	s_mov_b64 s[28:29], -1
	s_and_saveexec_b64 s[30:31], vcc
; %bb.200:                              ;   in Loop: Header=BB14_16 Depth=1
	v_cmp_eq_u32_e32 vcc, 0, v1
	s_orn2_b64 s[28:29], vcc, exec
; %bb.201:                              ;   in Loop: Header=BB14_16 Depth=1
	s_or_b64 exec, exec, s[30:31]
	s_and_b64 exec, exec, s[28:29]
	s_cbranch_execz .LBB14_14
; %bb.202:                              ;   in Loop: Header=BB14_16 Depth=1
	v_add_u32_e32 v2, s85, v88
	v_cmp_gt_i32_e32 vcc, s76, v2
	v_mov_b32_e32 v1, 0x47
	s_and_saveexec_b64 s[28:29], vcc
	s_cbranch_execz .LBB14_204
; %bb.203:                              ;   in Loop: Header=BB14_16 Depth=1
	v_add_u32_e32 v8, 0x80, v118
	ds_read2st64_b32 v[4:5], v8 offset1:13
	v_readlane_b32 s20, v179, 44
	v_add_u32_e32 v10, 0, v117
	v_mul_lo_u32 v1, v2, s20
	ds_read2_b32 v[2:3], v10 offset0:48 offset1:49
	v_add_u32_e32 v6, 0xc0, v10
	s_waitcnt lgkmcnt(1)
	v_cvt_f32_f16_sdwa v15, v4 dst_sel:DWORD dst_unused:UNUSED_PAD src0_sel:WORD_1
	v_cvt_f32_f16_e32 v14, v4
	ds_read2st64_b32 v[6:7], v6 offset0:13 offset1:26
	ds_read2st64_b32 v[8:9], v8 offset0:26 offset1:39
	ds_read_b32 v10, v10 offset:10176
	v_cvt_f32_f16_sdwa v17, v5 dst_sel:DWORD dst_unused:UNUSED_PAD src0_sel:WORD_1
	v_cvt_f32_f16_e32 v16, v5
	s_waitcnt lgkmcnt(3)
	v_pk_fma_f32 v[14:15], v[2:3], v[14:15], 0 op_sel_hi:[0,1,0]
	s_waitcnt lgkmcnt(2)
	v_mov_b32_e32 v2, v7
	v_ashrrev_i32_e32 v11, 31, v1
	v_pk_fma_f32 v[4:5], v[6:7], v[16:17], v[14:15] op_sel_hi:[0,1,1]
	s_waitcnt lgkmcnt(1)
	v_cvt_f32_f16_sdwa v15, v8 dst_sel:DWORD dst_unused:UNUSED_PAD src0_sel:WORD_1
	v_cvt_f32_f16_e32 v14, v8
	v_cvt_f32_f16_sdwa v7, v9 dst_sel:DWORD dst_unused:UNUSED_PAD src0_sel:WORD_1
	v_cvt_f32_f16_e32 v6, v9
	v_add_co_u32_e32 v12, vcc, v1, v20
	v_addc_co_u32_e32 v13, vcc, 0, v11, vcc
	v_lshlrev_b64 v[12:13], 3, v[12:13]
	v_pk_fma_f32 v[4:5], v[2:3], v[14:15], v[4:5] op_sel_hi:[0,1,1]
	v_add_co_u32_e32 v12, vcc, s73, v12
	v_mov_b32_e32 v1, s74
	s_waitcnt lgkmcnt(0)
	v_pk_fma_f32 v[4:5], v[10:11], v[6:7], v[4:5] op_sel_hi:[0,1,1]
	v_addc_co_u32_e32 v13, vcc, v1, v13, vcc
	v_div_scale_f32 v1, s[20:21], v3, v3, v5
	v_rcp_f32_e32 v2, v1
	v_fma_f32 v6, -v1, v2, 1.0
	v_fmac_f32_e32 v2, v6, v2
	v_div_scale_f32 v6, vcc, v5, v3, v5
	v_mul_f32_e32 v7, v6, v2
	v_fma_f32 v8, -v1, v7, v6
	v_fmac_f32_e32 v7, v8, v2
	v_fma_f32 v1, -v1, v7, v6
	v_div_fmas_f32 v1, v1, v2, v7
	v_div_fixup_f32 v5, v1, v3, v5
	v_div_scale_f32 v1, s[20:21], v3, v3, v4
	v_rcp_f32_e32 v2, v1
	v_fma_f32 v6, -v1, v2, 1.0
	v_fmac_f32_e32 v2, v6, v2
	v_div_scale_f32 v6, vcc, v4, v3, v4
	v_mul_f32_e32 v7, v6, v2
	v_fma_f32 v8, -v1, v7, v6
	v_fmac_f32_e32 v7, v8, v2
	v_fma_f32 v1, -v1, v7, v6
	v_div_fmas_f32 v1, v1, v2, v7
	v_div_fixup_f32 v4, v1, v3, v4
	v_mov_b32_e32 v1, 0
	global_store_dwordx2 v[12:13], v[4:5], off offset:256
.LBB14_204:                             ;   in Loop: Header=BB14_16 Depth=1
	s_or_b64 exec, exec, s[28:29]
	s_movk_i32 s20, 0x47
	v_cmp_gt_i32_e32 vcc, s20, v1
	s_mov_b64 s[28:29], -1
	s_and_saveexec_b64 s[30:31], vcc
; %bb.205:                              ;   in Loop: Header=BB14_16 Depth=1
	v_cmp_eq_u32_e32 vcc, 0, v1
	s_orn2_b64 s[28:29], vcc, exec
; %bb.206:                              ;   in Loop: Header=BB14_16 Depth=1
	s_or_b64 exec, exec, s[30:31]
	s_and_b64 exec, exec, s[28:29]
	s_cbranch_execz .LBB14_14
; %bb.207:                              ;   in Loop: Header=BB14_16 Depth=1
	v_add_u32_e32 v1, s85, v89
	v_cmp_gt_i32_e32 vcc, s76, v1
	s_and_b64 exec, exec, vcc
	s_cbranch_execz .LBB14_14
; %bb.208:                              ;   in Loop: Header=BB14_16 Depth=1
	v_add_u32_e32 v8, 0x80, v120
	ds_read2st64_b32 v[4:5], v8 offset1:13
	v_add_u32_e32 v10, 0, v119
	ds_read2_b32 v[2:3], v10 offset0:48 offset1:49
	v_add_u32_e32 v6, 0xc0, v10
	ds_read2st64_b32 v[6:7], v6 offset0:13 offset1:26
	ds_read2st64_b32 v[8:9], v8 offset0:26 offset1:39
	ds_read_b32 v10, v10 offset:10176
	s_waitcnt lgkmcnt(4)
	v_cvt_f32_f16_sdwa v15, v4 dst_sel:DWORD dst_unused:UNUSED_PAD src0_sel:WORD_1
	v_cvt_f32_f16_e32 v14, v4
	v_cvt_f32_f16_sdwa v17, v5 dst_sel:DWORD dst_unused:UNUSED_PAD src0_sel:WORD_1
	v_cvt_f32_f16_e32 v16, v5
	v_readlane_b32 s20, v179, 44
	s_waitcnt lgkmcnt(3)
	v_pk_fma_f32 v[14:15], v[2:3], v[14:15], 0 op_sel_hi:[0,1,0]
	v_mul_lo_u32 v1, v1, s20
	s_waitcnt lgkmcnt(2)
	v_pk_fma_f32 v[4:5], v[6:7], v[16:17], v[14:15] op_sel_hi:[0,1,1]
	s_waitcnt lgkmcnt(1)
	v_cvt_f32_f16_sdwa v15, v8 dst_sel:DWORD dst_unused:UNUSED_PAD src0_sel:WORD_1
	v_cvt_f32_f16_e32 v14, v8
	v_mov_b32_e32 v2, v7
	v_cvt_f32_f16_sdwa v7, v9 dst_sel:DWORD dst_unused:UNUSED_PAD src0_sel:WORD_1
	v_cvt_f32_f16_e32 v6, v9
	v_ashrrev_i32_e32 v11, 31, v1
	v_add_co_u32_e32 v12, vcc, v1, v20
	v_addc_co_u32_e32 v13, vcc, 0, v11, vcc
	v_lshlrev_b64 v[12:13], 3, v[12:13]
	v_pk_fma_f32 v[4:5], v[2:3], v[14:15], v[4:5] op_sel_hi:[0,1,1]
	v_add_co_u32_e32 v12, vcc, s73, v12
	v_mov_b32_e32 v1, s74
	s_waitcnt lgkmcnt(0)
	v_pk_fma_f32 v[4:5], v[10:11], v[6:7], v[4:5] op_sel_hi:[0,1,1]
	v_addc_co_u32_e32 v13, vcc, v1, v13, vcc
	v_div_scale_f32 v1, s[20:21], v3, v3, v5
	v_rcp_f32_e32 v2, v1
	v_fma_f32 v6, -v1, v2, 1.0
	v_fmac_f32_e32 v2, v6, v2
	v_div_scale_f32 v6, vcc, v5, v3, v5
	v_mul_f32_e32 v7, v6, v2
	v_fma_f32 v8, -v1, v7, v6
	v_fmac_f32_e32 v7, v8, v2
	v_fma_f32 v1, -v1, v7, v6
	v_div_fmas_f32 v1, v1, v2, v7
	v_div_fixup_f32 v5, v1, v3, v5
	v_div_scale_f32 v1, s[20:21], v3, v3, v4
	v_rcp_f32_e32 v2, v1
	v_fma_f32 v6, -v1, v2, 1.0
	v_fmac_f32_e32 v2, v6, v2
	v_div_scale_f32 v6, vcc, v4, v3, v4
	v_mul_f32_e32 v7, v6, v2
	v_fma_f32 v8, -v1, v7, v6
	v_fmac_f32_e32 v7, v8, v2
	v_fma_f32 v1, -v1, v7, v6
	v_div_fmas_f32 v1, v1, v2, v7
	v_div_fixup_f32 v4, v1, v3, v4
	global_store_dwordx2 v[12:13], v[4:5], off offset:256
	s_branch .LBB14_14
.LBB14_209:
	v_readlane_b32 s20, v179, 38
	v_readlane_b32 s60, v179, 27
	;; [unrolled: 1-line block ×10, first 2 shown]
	s_andn2_b64 vcc, exec, s[26:27]
	s_cbranch_vccnz .LBB14_12
.LBB14_210:
	v_readlane_b32 s10, v179, 7
	s_abs_i32 s4, s10
	v_cvt_f32_u32_e32 v1, s4
	s_sub_i32 s7, 0, s4
	s_abs_i32 s6, s94
	s_xor_b32 s5, s94, s10
	v_rcp_iflag_f32_e32 v1, v1
	s_ashr_i32 s5, s5, 31
	v_readlane_b32 s14, v179, 6
	v_readlane_b32 s11, v179, 3
	v_mul_f32_e32 v1, 0x4f7ffffe, v1
	v_cvt_u32_f32_e32 v1, v1
	v_readfirstlane_b32 s8, v1
	s_mul_i32 s7, s7, s8
	s_mul_hi_u32 s7, s8, s7
	s_add_i32 s8, s8, s7
	s_mul_hi_u32 s7, s6, s8
	s_mul_i32 s8, s7, s4
	s_sub_i32 s6, s6, s8
	s_add_i32 s9, s7, 1
	s_sub_i32 s8, s6, s4
	s_cmp_ge_u32 s6, s4
	s_cselect_b32 s7, s9, s7
	s_cselect_b32 s6, s8, s6
	s_add_i32 s8, s7, 1
	s_cmp_ge_u32 s6, s4
	s_cselect_b32 s4, s8, s7
	s_abs_i32 s6, s14
	v_cvt_f32_u32_e32 v1, s6
	s_xor_b32 s4, s4, s5
	s_sub_i32 s7, 0, s6
	s_sub_i32 s12, s4, s5
	v_rcp_iflag_f32_e32 v1, v1
	s_mul_i32 s4, s12, s10
	s_sub_i32 s4, s94, s4
	s_abs_i32 s8, s4
	v_mul_f32_e32 v1, 0x4f7ffffe, v1
	v_cvt_u32_f32_e32 v1, v1
	s_xor_b32 s5, s4, s14
	s_ashr_i32 s5, s5, 31
	v_readfirstlane_b32 s9, v1
	s_mul_i32 s7, s7, s9
	s_mul_hi_u32 s7, s9, s7
	s_add_i32 s9, s9, s7
	s_mul_hi_u32 s7, s8, s9
	s_mul_i32 s9, s7, s6
	s_sub_i32 s8, s8, s9
	s_add_i32 s10, s7, 1
	s_sub_i32 s9, s8, s6
	s_cmp_ge_u32 s8, s6
	s_cselect_b32 s7, s10, s7
	s_cselect_b32 s8, s9, s8
	s_add_i32 s9, s7, 1
	s_cmp_ge_u32 s8, s6
	s_cselect_b32 s6, s9, s7
	s_abs_i32 s7, s11
	v_cvt_f32_u32_e32 v1, s7
	s_xor_b32 s6, s6, s5
	s_sub_i32 s8, 0, s7
	s_sub_i32 s13, s6, s5
	v_rcp_iflag_f32_e32 v1, v1
	s_mul_i32 s5, s13, s14
	s_sub_i32 s5, s4, s5
	s_abs_i32 s6, s5
	v_mul_f32_e32 v1, 0x4f7ffffe, v1
	v_cvt_u32_f32_e32 v1, v1
	s_xor_b32 s4, s5, s11
	s_ashr_i32 s4, s4, 31
	v_readfirstlane_b32 s9, v1
	s_mul_i32 s8, s8, s9
	s_mul_hi_u32 s8, s9, s8
	s_add_i32 s9, s9, s8
	s_mul_hi_u32 s8, s6, s9
	s_mul_i32 s9, s8, s7
	s_sub_i32 s6, s6, s9
	s_add_i32 s10, s8, 1
	s_sub_i32 s9, s6, s7
	s_cmp_ge_u32 s6, s7
	s_cselect_b32 s8, s10, s8
	s_cselect_b32 s6, s9, s6
	s_add_i32 s9, s8, 1
	s_cmp_ge_u32 s6, s7
	s_cselect_b32 s6, s9, s8
	s_xor_b32 s6, s6, s4
	s_sub_i32 s4, s6, s4
	s_mul_i32 s6, s4, s11
	s_sub_i32 s5, s5, s6
	s_abs_i32 s16, s5
	s_ashr_i32 s14, s12, 31
	s_mul_hi_u32 s15, s16, s33
	s_cmp_eq_u64 s[46:47], 0
	s_mov_b64 s[8:9], 0
	s_cbranch_scc1 .LBB14_212
; %bb.211:
	s_abs_i32 s6, s24
	v_cvt_f32_u32_e32 v1, s6
	s_sub_i32 s8, 0, s6
	s_abs_i32 s7, s12
	v_readlane_b32 s10, v179, 17
	v_rcp_iflag_f32_e32 v1, v1
	v_readlane_b32 s11, v179, 18
	v_mul_f32_e32 v1, 0x4f7ffffe, v1
	v_cvt_u32_f32_e32 v1, v1
	v_readfirstlane_b32 s9, v1
	s_mul_i32 s8, s8, s9
	s_mul_hi_u32 s8, s9, s8
	s_add_i32 s9, s9, s8
	s_mul_hi_u32 s8, s7, s9
	s_mul_i32 s8, s8, s6
	s_sub_i32 s7, s7, s8
	s_sub_i32 s8, s7, s6
	s_cmp_ge_u32 s7, s6
	s_cselect_b32 s7, s8, s7
	s_sub_i32 s8, s7, s6
	s_cmp_ge_u32 s7, s6
	s_cselect_b32 s6, s8, s7
	s_xor_b32 s6, s6, s14
	s_sub_i32 s6, s6, s14
	s_ashr_i32 s7, s6, 31
	s_mul_i32 s8, s6, s11
	s_mul_hi_u32 s9, s6, s10
	s_add_i32 s8, s9, s8
	s_mul_i32 s7, s7, s10
	s_add_i32 s7, s8, s7
	s_mul_i32 s6, s6, s10
	s_add_u32 s8, s46, s6
	s_addc_u32 s9, s47, s7
.LBB14_212:
	s_ashr_i32 s18, s5, 31
	v_readlane_b32 s5, v179, 2
	s_mul_i32 s17, s13, s5
	s_add_i32 s17, s17, s4
	v_cmp_le_f32_e64 s[4:5], s21, 0
	s_and_b64 vcc, exec, s[4:5]
	v_mov_b32_e32 v16, 1.0
	s_cbranch_vccnz .LBB14_214
; %bb.213:
	v_readlane_b32 s5, v179, 14
	s_sub_i32 s4, s17, s5
	s_lshl_b32 s4, s4, 1
	s_add_i32 s6, s17, 1
	s_or_b32 s7, s4, 1
	s_cmp_lt_u32 s17, s5
	s_cselect_b64 vcc, -1, 0
	s_and_b64 s[4:5], vcc, exec
	v_mov_b32_e32 v1, s23
	v_mov_b32_e32 v2, s22
	s_cselect_b32 s4, s6, s7
	v_cndmask_b32_e32 v18, v1, v2, vcc
	v_cvt_f32_i32_e32 v1, s4
	v_cmp_neq_f32_e32 vcc, 1.0, v18
	s_mov_b32 s4, 0x3f2aaaab
	s_movk_i32 s6, 0x204
	v_cndmask_b32_e32 v19, 1.0, v1, vcc
	v_cmp_eq_f32_e32 vcc, 0, v19
	v_cndmask_b32_e64 v20, |v18|, 1.0, vcc
	v_frexp_mant_f32_e32 v1, v20
	v_cmp_gt_f32_e64 s[4:5], s4, v1
	v_cndmask_b32_e64 v2, 1.0, 2.0, s[4:5]
	v_mul_f32_e32 v1, v1, v2
	v_add_f32_e32 v2, 1.0, v1
	v_rcp_f32_e32 v10, v2
	v_add_f32_e32 v3, -1.0, v2
	v_sub_f32_e32 v5, v1, v3
	v_add_f32_e32 v3, -1.0, v1
	v_mul_f32_e32 v1, v3, v10
	v_mul_f32_e32 v4, v2, v1
	v_fma_f32 v6, v1, v2, -v4
	v_fmac_f32_e32 v6, v1, v5
	v_add_f32_e32 v2, v4, v6
	v_sub_f32_e32 v5, v3, v2
	v_pk_add_f32 v[8:9], v[2:3], v[4:5] neg_lo:[0,1] neg_hi:[0,1]
	v_mov_b32_e32 v7, v2
	v_pk_add_f32 v[2:3], v[8:9], v[6:7] neg_lo:[0,1] neg_hi:[0,1]
	v_add_f32_e32 v2, v2, v3
	v_add_f32_e32 v2, v5, v2
	v_mul_f32_e32 v3, v10, v2
	v_add_f32_e32 v2, v1, v3
	v_sub_f32_e32 v1, v2, v1
	v_sub_f32_e32 v1, v3, v1
	v_mul_f32_e32 v3, v2, v2
	v_fma_f32 v5, v2, v2, -v3
	v_add_f32_e32 v4, v1, v1
	v_fmac_f32_e32 v5, v2, v4
	v_add_f32_e32 v4, v3, v5
	v_mov_b32_e32 v6, 0x3e91f4c4
	v_fmac_f32_e32 v6, 0x3e76c4e1, v4
	v_mov_b32_e32 v7, 0x3ecccdef
	v_fmac_f32_e32 v7, v4, v6
	v_sub_f32_e32 v3, v4, v3
	v_sub_f32_e32 v12, v5, v3
	v_mul_f32_e32 v3, v4, v7
	v_fma_f32 v5, v4, v7, -v3
	v_fmac_f32_e32 v5, v12, v7
	v_add_f32_e32 v6, v3, v5
	v_add_f32_e32 v7, 0x3f2aaaaa, v6
	v_sub_f32_e32 v3, v6, v3
	v_sub_f32_e32 v3, v5, v3
	v_add_f32_e32 v5, 0xbf2aaaaa, v7
	v_add_f32_e32 v3, 0x31739010, v3
	v_sub_f32_e32 v5, v6, v5
	v_pk_mul_f32 v[8:9], v[2:3], v[4:5]
	v_fma_f32 v6, v4, v2, -v8
	v_pk_add_f32 v[10:11], v[2:3], v[4:5]
	v_fmac_f32_e32 v6, v4, v1
	v_mov_b32_e32 v9, v11
	v_fmac_f32_e32 v6, v12, v2
	v_pk_add_f32 v[4:5], v[8:9], v[6:7]
	v_sub_f32_e32 v3, v4, v8
	v_sub_f32_e32 v3, v6, v3
	;; [unrolled: 1-line block ×3, first 2 shown]
	v_add_f32_e32 v9, v11, v6
	v_mov_b32_e32 v6, v5
	v_pk_mul_f32 v[6:7], v[4:5], v[6:7]
	v_cvt_f64_f32_e32 v[10:11], v20
	v_frexp_exp_i32_f64_e32 v7, v[10:11]
	v_subbrev_co_u32_e64 v7, s[4:5], 0, v7, s[4:5]
	v_cvt_f32_i32_e32 v7, v7
	v_fma_f32 v8, v4, v5, -v6
	v_fmac_f32_e32 v8, v4, v9
	s_mov_b32 s4, 0x3f317218
	v_mul_f32_e32 v4, 0x3f317218, v7
	v_fmac_f32_e32 v8, v3, v5
	v_fma_f32 v10, v7, s4, -v4
	v_fmac_f32_e32 v10, 0xb102e308, v7
	v_ldexp_f32 v11, v2, 1
	v_add_f32_e32 v5, v6, v8
	v_pk_add_f32 v[2:3], v[4:5], v[10:11]
	v_mov_b32_e32 v12, v5
	v_mov_b32_e32 v13, v3
	;; [unrolled: 1-line block ×3, first 2 shown]
	v_pk_add_f32 v[6:7], v[12:13], v[6:7] neg_lo:[0,1] neg_hi:[0,1]
	v_mov_b32_e32 v9, v5
	v_ldexp_f32 v1, v1, 1
	v_pk_add_f32 v[6:7], v[8:9], v[6:7] neg_lo:[0,1] neg_hi:[0,1]
	v_add_f32_e32 v1, v1, v6
	v_add_f32_e32 v5, v1, v7
	v_pk_add_f32 v[6:7], v[2:3], v[4:5] neg_lo:[0,1] neg_hi:[0,1]
	v_pk_add_f32 v[8:9], v[2:3], v[4:5]
	v_mov_b32_e32 v12, v6
	v_mov_b32_e32 v13, v9
	;; [unrolled: 1-line block ×3, first 2 shown]
	v_pk_add_f32 v[12:13], v[10:11], v[12:13]
	v_mov_b32_e32 v4, v13
	v_pk_add_f32 v[14:15], v[4:5], v[2:3] neg_lo:[0,1] neg_hi:[0,1]
	v_mov_b32_e32 v1, v14
	v_mov_b32_e32 v12, v9
	;; [unrolled: 1-line block ×4, first 2 shown]
	v_pk_add_f32 v[6:7], v[10:11], v[6:7] neg_lo:[0,1] neg_hi:[0,1]
	v_pk_add_f32 v[16:17], v[8:9], v[0:1] neg_lo:[0,1] neg_hi:[0,1]
	v_pk_add_f32 v[2:3], v[12:13], v[2:3] neg_lo:[0,1] neg_hi:[0,1]
	v_mov_b32_e32 v10, v5
	v_pk_add_f32 v[2:3], v[10:11], v[2:3] neg_lo:[0,1] neg_hi:[0,1]
	v_mov_b32_e32 v16, v6
	v_pk_add_f32 v[8:9], v[16:17], v[2:3]
	v_mov_b32_e32 v10, v9
	v_pk_add_f32 v[10:11], v[8:9], v[10:11]
	v_pk_add_f32 v[4:5], v[4:5], v[10:11]
	v_mov_b32_e32 v7, v13
	v_mov_b32_e32 v9, v4
	v_pk_add_f32 v[12:13], v[8:9], v[6:7] neg_lo:[0,1] neg_hi:[0,1]
	v_mov_b32_e32 v3, v10
	v_sub_f32_e32 v1, v8, v12
	v_pk_add_f32 v[2:3], v[2:3], v[12:13] neg_lo:[0,1] neg_hi:[0,1]
	v_sub_f32_e32 v1, v6, v1
	v_add_f32_e32 v1, v2, v1
	v_add_f32_e32 v1, v1, v3
	;; [unrolled: 1-line block ×3, first 2 shown]
	v_sub_f32_e32 v3, v2, v4
	v_sub_f32_e32 v1, v1, v3
	v_mul_f32_e32 v3, v19, v2
	v_fma_f32 v2, v19, v2, -v3
	v_fmac_f32_e32 v2, v19, v1
	v_add_f32_e32 v1, v3, v2
	v_cmp_class_f32_e64 s[4:5], v3, s6
	v_sub_f32_e32 v4, v1, v3
	v_cndmask_b32_e64 v1, v1, v3, s[4:5]
	s_mov_b32 s10, 0x42b17218
	v_mov_b32_e32 v3, 0x37000000
	v_cmp_eq_f32_e64 s[4:5], s10, v1
	v_cndmask_b32_e64 v3, 0, v3, s[4:5]
	v_sub_f32_e32 v2, v2, v4
	v_sub_f32_e32 v4, v1, v3
	s_mov_b32 s4, 0x3fb8aa3b
	v_mul_f32_e32 v5, 0x3fb8aa3b, v4
	v_fma_f32 v6, v4, s4, -v5
	v_rndne_f32_e32 v7, v5
	v_fmac_f32_e32 v6, 0x32a5705f, v4
	v_sub_f32_e32 v5, v5, v7
	v_add_f32_e32 v5, v5, v6
	v_exp_f32_e32 v5, v5
	v_cvt_i32_f32_e32 v6, v7
	s_mov_b32 s7, 0x7f800000
	v_cmp_neq_f32_e64 s[4:5], |v1|, s7
	v_cndmask_b32_e64 v1, 0, v2, s[4:5]
	s_mov_b32 s4, 0xc2ce8ed0
	v_ldexp_f32 v2, v5, v6
	v_cmp_ngt_f32_e64 s[4:5], s4, v4
	v_add_f32_e32 v1, v3, v1
	v_cndmask_b32_e64 v2, 0, v2, s[4:5]
	v_mov_b32_e32 v3, 0x7f800000
	v_cmp_nlt_f32_e64 s[4:5], s10, v4
	v_cndmask_b32_e64 v2, v3, v2, s[4:5]
	v_fma_f32 v1, v2, v1, v2
	v_cmp_class_f32_e64 s[4:5], v2, s6
	v_trunc_f32_e32 v4, v19
	v_cndmask_b32_e64 v1, v1, v2, s[4:5]
	v_cndmask_b32_e64 v2, v18, 1.0, vcc
	v_cmp_eq_f32_e32 vcc, v4, v19
	v_mul_f32_e32 v4, 0.5, v19
	v_trunc_f32_e32 v6, v4
	v_cmp_neq_f32_e64 s[4:5], v6, v4
	s_and_b64 s[4:5], vcc, s[4:5]
	v_cndmask_b32_e64 v4, 1.0, v2, s[4:5]
	s_brev_b32 s19, -2
	v_mov_b32_e32 v5, 0x7fc00000
	v_bfi_b32 v1, s19, v1, v4
	v_cndmask_b32_e32 v4, v5, v1, vcc
	v_cmp_gt_f32_e32 vcc, 0, v2
	v_cndmask_b32_e32 v1, v1, v4, vcc
	v_cmp_eq_f32_e32 vcc, s7, v20
	v_cmp_eq_f32_e64 s[6:7], 0, v2
	v_cmp_gt_f32_e64 s[10:11], 0, v19
	s_xor_b64 s[10:11], s[10:11], s[6:7]
	v_cndmask_b32_e64 v3, v3, 0, s[10:11]
	v_cndmask_b32_e64 v4, 0, v2, s[4:5]
	v_bfi_b32 v3, s19, v3, v4
	s_or_b64 vcc, vcc, s[6:7]
	v_cndmask_b32_e32 v1, v1, v3, vcc
	v_cmp_o_f32_e32 vcc, v2, v2
	v_cndmask_b32_e32 v16, v5, v1, vcc
.LBB14_214:
	s_mul_i32 s5, s15, s89
	v_readlane_b32 s4, v179, 26
	s_sub_i32 s5, s16, s5
	s_xor_b32 s4, s18, s4
	s_add_i32 s6, s15, 1
	s_sub_i32 s7, s5, s89
	s_cmp_ge_u32 s5, s89
	s_cselect_b32 s6, s6, s15
	s_cselect_b32 s5, s7, s5
	s_add_i32 s7, s6, 1
	s_cmp_ge_u32 s5, s89
	s_cselect_b32 s5, s7, s6
	s_xor_b32 s5, s5, s4
	s_sub_i32 s4, s5, s4
	s_cmp_eq_u64 s[50:51], 0
	v_mov_b32_e32 v12, s93
	s_cbranch_scc1 .LBB14_216
; %bb.215:
	v_readlane_b32 s5, v179, 0
	s_mul_i32 s5, s12, s5
	s_add_i32 s6, s4, s5
	s_ashr_i32 s7, s6, 31
	s_lshl_b64 s[6:7], s[6:7], 2
	s_add_u32 s6, s50, s6
	s_addc_u32 s7, s51, s7
	v_mov_b32_e32 v1, 0
	global_load_dword v1, v1, s[6:7]
	s_waitcnt vmcnt(0)
	v_ashrrev_i32_e32 v2, 31, v1
	v_lshrrev_b32_e32 v2, 26, v2
	v_add_u32_e32 v1, v1, v2
	v_ashrrev_i32_e32 v1, 6, v1
	v_min_i32_e32 v12, s93, v1
.LBB14_216:
	v_readlane_b32 s10, v179, 8
	v_readlane_b32 s11, v179, 9
	s_mul_i32 s5, s12, s11
	s_ashr_i32 s6, s5, 31
	s_add_u32 s5, s40, s5
	s_mul_i32 s17, s17, s10
	s_addc_u32 s7, s41, s6
	s_ashr_i32 s10, s17, 31
	v_and_b32_e32 v44, 0x3ff, v0
	s_add_u32 s6, s5, s17
	v_lshrrev_b32_e32 v43, 5, v44
	s_addc_u32 s7, s7, s10
	s_lshl_b32 s35, s4, 4
	v_lshl_add_u32 v0, v45, 1, v43
	v_add_u32_e32 v1, s35, v0
	v_and_b32_e32 v24, 31, v44
	v_cmp_le_i32_e32 vcc, s76, v1
	s_and_saveexec_b64 s[4:5], vcc
	s_xor_b64 s[4:5], exec, s[4:5]
	s_cbranch_execz .LBB14_218
; %bb.217:
	v_mad_u32_u24 v1, v0, 52, v24
	v_lshl_add_u32 v1, v1, 2, 0
	v_mov_b32_e32 v2, 0
	ds_write_b32 v1, v2
                                        ; implicit-def: $vgpr1
.LBB14_218:
	s_andn2_saveexec_b64 s[4:5], s[4:5]
	s_cbranch_execz .LBB14_220
; %bb.219:
	v_readlane_b32 s10, v179, 19
	v_mad_u64_u32 v[2:3], s[10:11], v1, s10, v[24:25]
	v_ashrrev_i32_e32 v3, 31, v2
	v_lshlrev_b64 v[2:3], 3, v[2:3]
	v_mov_b32_e32 v1, s7
	v_add_co_u32_e32 v2, vcc, s6, v2
	v_addc_co_u32_e32 v3, vcc, v1, v3, vcc
	global_load_dwordx2 v[2:3], v[2:3], off
	s_waitcnt vmcnt(0)
	v_cvt_f16_f32_e32 v1, v2
	v_cvt_f16_f32_e32 v2, v3
	v_mad_u32_u24 v3, v0, 52, v24
	v_pack_b32_f16 v1, v1, v2
	v_pk_mul_f16 v1, v35, v1
	v_lshl_add_u32 v2, v3, 2, 0
	ds_write_b32 v2, v1
.LBB14_220:
	s_or_b64 exec, exec, s[4:5]
	v_add_u32_e32 v0, 8, v0
	v_add_u32_e32 v1, s35, v0
	v_cmp_le_i32_e32 vcc, s76, v1
	s_and_saveexec_b64 s[4:5], vcc
	s_xor_b64 s[4:5], exec, s[4:5]
	s_cbranch_execz .LBB14_222
; %bb.221:
	v_mad_u32_u24 v0, v0, 52, v24
	v_lshl_add_u32 v0, v0, 2, 0
	v_mov_b32_e32 v1, 0
	ds_write_b32 v0, v1
                                        ; implicit-def: $vgpr1
                                        ; implicit-def: $vgpr0
.LBB14_222:
	s_andn2_saveexec_b64 s[4:5], s[4:5]
	s_cbranch_execz .LBB14_224
; %bb.223:
	v_readlane_b32 s10, v179, 19
	v_mad_u64_u32 v[2:3], s[10:11], v1, s10, v[24:25]
	v_ashrrev_i32_e32 v3, 31, v2
	v_lshlrev_b64 v[2:3], 3, v[2:3]
	v_mov_b32_e32 v1, s7
	v_add_co_u32_e32 v2, vcc, s6, v2
	v_addc_co_u32_e32 v3, vcc, v1, v3, vcc
	global_load_dwordx2 v[2:3], v[2:3], off
	v_mad_u32_u24 v0, v0, 52, v24
	v_lshl_add_u32 v0, v0, 2, 0
	s_waitcnt vmcnt(0)
	v_cvt_f16_f32_e32 v1, v2
	v_cvt_f16_f32_e32 v2, v3
	v_pack_b32_f16 v1, v1, v2
	v_pk_mul_f16 v1, v35, v1
	ds_write_b32 v0, v1
.LBB14_224:
	s_or_b64 exec, exec, s[4:5]
	v_lshrrev_b32_e32 v42, 4, v44
	v_add_u32_e32 v0, v61, v42
	v_add_u32_e32 v1, s35, v0
	v_cmp_le_i32_e32 vcc, s76, v1
                                        ; implicit-def: $vgpr25
	s_and_saveexec_b64 s[4:5], vcc
	s_xor_b64 s[4:5], exec, s[4:5]
	s_cbranch_execz .LBB14_226
; %bb.225:
	v_and_b32_e32 v25, 15, v44
	v_mad_u32_u24 v0, v0, 52, v25
	v_lshl_add_u32 v0, v0, 2, 0
	v_mov_b32_e32 v1, 0
	ds_write_b32 v0, v1 offset:128
                                        ; implicit-def: $vgpr1
                                        ; implicit-def: $vgpr35
                                        ; implicit-def: $vgpr0
.LBB14_226:
	s_andn2_saveexec_b64 s[4:5], s[4:5]
	s_cbranch_execz .LBB14_228
; %bb.227:
	v_readlane_b32 s10, v179, 19
	v_mul_lo_u32 v1, v1, s10
	v_and_b32_e32 v25, 15, v44
	v_ashrrev_i32_e32 v3, 31, v1
	v_add_co_u32_e32 v2, vcc, v1, v25
	v_addc_co_u32_e32 v3, vcc, 0, v3, vcc
	v_lshlrev_b64 v[2:3], 3, v[2:3]
	v_mov_b32_e32 v1, s7
	v_add_co_u32_e32 v2, vcc, s6, v2
	v_addc_co_u32_e32 v3, vcc, v1, v3, vcc
	global_load_dwordx2 v[2:3], v[2:3], off offset:256
	v_mad_u32_u24 v0, v0, 52, v25
	v_lshl_add_u32 v0, v0, 2, 0
	s_waitcnt vmcnt(0)
	v_cvt_f16_f32_e32 v1, v2
	v_cvt_f16_f32_e32 v2, v3
	v_pack_b32_f16 v1, v1, v2
	v_pk_mul_f16 v1, v35, v1
	ds_write_b32 v0, v1 offset:128
.LBB14_228:
	s_or_b64 exec, exec, s[4:5]
	v_readlane_b32 s6, v179, 15
	v_readlane_b32 s7, v179, 16
	s_mul_i32 s4, s12, s7
	s_mul_hi_u32 s5, s12, s6
	s_add_i32 s4, s5, s4
	s_mul_i32 s5, s14, s6
	v_readlane_b32 s16, v179, 22
	s_add_i32 s4, s4, s5
	s_mul_i32 s5, s12, s6
	v_readlane_b32 s19, v179, 25
	s_add_u32 s5, s44, s5
	s_mul_i32 s6, s13, s19
	s_addc_u32 s4, s45, s4
	s_ashr_i32 s7, s6, 31
	v_readlane_b32 s17, v179, 23
	s_add_u32 s33, s5, s6
	s_addc_u32 s34, s4, s7
	s_mul_i32 s4, s12, s17
	s_mul_hi_u32 s5, s12, s16
	s_add_i32 s4, s5, s4
	s_mul_i32 s14, s14, s16
	s_add_i32 s4, s4, s14
	s_mul_i32 s12, s12, s16
	v_lshrrev_b32_e32 v14, 3, v44
	s_add_u32 s5, s42, s12
	v_and_b32_e32 v13, 0xff0, v61
	s_movk_i32 s12, 0xd0
	v_and_b32_e32 v46, 0x7e, v14
	v_mad_u32_u24 v0, v13, s12, 0
	v_mul_u32_u24_e32 v67, 0xd0, v25
	v_lshlrev_b32_e32 v68, 2, v46
	v_add3_u32 v0, v0, v67, v68
	v_readlane_b32 s6, v179, 20
	s_waitcnt lgkmcnt(0)
	s_barrier
	ds_read2_b64 v[8:11], v0 offset1:4
	ds_read2_b64 v[4:7], v0 offset0:8 offset1:12
	ds_read2_b64 v[0:3], v0 offset0:16 offset1:20
	v_readlane_b32 s7, v179, 21
	s_mul_i32 s13, s13, s7
	s_addc_u32 s4, s43, s4
	s_ashr_i32 s6, s13, 31
	v_add_u32_e32 v71, -1, v12
	s_add_u32 s36, s5, s13
	v_cmp_ge_i32_e32 vcc, s38, v71
	s_addc_u32 s37, s4, s6
	s_mov_b32 s39, 0
	s_and_b64 vcc, exec, vcc
	v_mov_b32_e32 v47, 0
	v_or_b32_e32 v66, v13, v25
	v_lshlrev_b32_e32 v70, 1, v44
	v_mbcnt_lo_u32_b32 v50, -1, 0
	v_lshrrev_b32_e32 v49, 2, v44
	v_lshlrev_b32_e32 v69, 2, v44
	v_lshl_add_u32 v51, v45, 3, v14
	v_lshlrev_b32_e32 v48, 1, v25
	v_readlane_b32 s18, v179, 24
	s_waitcnt lgkmcnt(0)
	s_barrier
	s_cbranch_vccnz .LBB14_238
; %bb.229:
	v_add_u32_e32 v17, s35, v45
	v_mov_b32_e32 v12, s9
	v_add_co_u32_e32 v73, vcc, s8, v70
	v_readlane_b32 s10, v179, 10
	v_add_u32_e32 v18, 8, v17
	v_addc_co_u32_e32 v74, vcc, 0, v12, vcc
	v_mul_hi_u32 v12, s10, v17
	v_mul_hi_u32 v19, s10, v18
	v_readlane_b32 s11, v179, 11
	v_add_u32_e32 v12, v17, v12
	v_add_u32_e32 v19, v18, v19
	v_lshrrev_b32_e32 v12, s11, v12
	v_lshrrev_b32_e32 v19, s11, v19
	v_mul_lo_u32 v12, v12, s76
	v_mul_u32_u24_e32 v14, 0x90, v45
	v_mul_lo_u32 v19, v19, s76
	v_sub_u32_e32 v12, v17, v12
	v_add3_u32 v75, 0, v14, v70
	v_add_u32_e32 v14, 4, v17
	v_sub_u32_e32 v18, v18, v19
	v_add_u32_e32 v17, 12, v17
	v_mad_i64_i32 v[26:27], s[6:7], v18, s64, 0
	v_mul_hi_u32 v18, s10, v17
	v_add_u32_e32 v18, v17, v18
	v_lshrrev_b32_e32 v18, s11, v18
	v_mul_lo_u32 v18, v18, s76
	v_sub_u32_e32 v17, v17, v18
	v_mad_i64_i32 v[28:29], s[6:7], v17, s64, 0
	v_mbcnt_hi_u32_b32 v17, -1, v50
	v_and_b32_e32 v18, 64, v17
	v_add_u32_e32 v18, 64, v18
	v_xor_b32_e32 v19, 32, v17
	v_cmp_lt_i32_e32 vcc, v19, v18
	v_cndmask_b32_e32 v19, v17, v19, vcc
	v_lshlrev_b32_e32 v79, 2, v19
	v_xor_b32_e32 v19, 16, v17
	v_cmp_lt_i32_e32 vcc, v19, v18
	v_cndmask_b32_e32 v17, v17, v19, vcc
	v_lshlrev_b32_e32 v80, 2, v17
	v_add_u32_e32 v17, v59, v49
	v_and_b32_e32 v32, 12, v69
	v_mul_hi_u32 v15, s10, v14
	v_mad_u32_u24 v18, v17, s12, 0
	v_lshlrev_b32_e32 v19, 2, v32
	s_movk_i32 s40, 0x80
	v_and_b32_e32 v34, 28, v69
	v_add_u32_e32 v15, v14, v15
	v_add3_u32 v81, v18, v19, s40
	v_mul_u32_u24_e32 v18, 0xd0, v51
	v_lshlrev_b32_e32 v19, 2, v34
	v_lshrrev_b32_e32 v15, s11, v15
	v_add3_u32 v82, 0, v18, v19
	v_and_b32_e32 v18, 48, v59
	v_and_b32_e32 v20, 0xfc, v49
	v_mul_lo_u32 v15, v15, s76
	v_mad_u32_u24 v19, v18, s12, 0
	v_add_u32_e32 v21, v18, v20
	v_add_u16_e32 v18, v18, v20
	v_sub_u32_e32 v14, v14, v15
	v_lshrrev_b16_e32 v18, 1, v18
	v_mad_i64_i32 v[12:13], s[6:7], v12, s64, 0
	v_mad_i64_i32 v[14:15], s[6:7], v14, s64, 0
	v_mul_lo_u32 v36, s70, v51
	v_mul_u32_u24_e32 v22, 0x90, v66
	v_lshlrev_b32_e32 v18, 2, v18
	v_mul_lo_u32 v52, s58, v51
	v_cmp_gt_u32_e64 s[6:7], 64, v17
	v_mul_lo_u32 v30, s70, v17
	v_lshl_add_u32 v38, s70, 5, v36
	v_add3_u32 v47, 0, v22, v18
	v_mul_lo_u32 v40, s58, v17
	v_lshl_add_u32 v54, s58, 5, v52
	v_mul_u32_u24_e32 v17, 0x68, v20
	v_mul_u32_u24_e32 v18, 0xd0, v20
	v_or_b32_e32 v20, 3, v49
	s_cmp_lg_u64 s[8:9], 0
	s_mov_b64 s[26:27], src_private_base
	v_ashrrev_i32_e32 v31, 31, v30
	v_ashrrev_i32_e32 v37, 31, v36
	v_ashrrev_i32_e32 v39, 31, v38
	v_ashrrev_i32_e32 v41, 31, v40
	v_ashrrev_i32_e32 v53, 31, v52
	v_ashrrev_i32_e32 v55, 31, v54
	v_or_b32_e32 v17, v17, v25
	v_mul_u32_u24_e32 v20, 0xd0, v20
	v_add3_u32 v86, v19, v18, v48
	s_cselect_b64 s[24:25], -1, 0
	v_cmp_gt_u32_e64 s[4:5], 64, v44
	v_mov_b32_e32 v72, 0
	v_add_u32_e32 v76, 0x240, v75
	v_add_u32_e32 v77, 0x480, v75
	;; [unrolled: 1-line block ×3, first 2 shown]
	s_mov_b32 s26, 0
	v_cmp_gt_u32_e64 s[22:23], 64, v51
	v_add_u32_e32 v83, 0x1a00, v82
	v_cmp_gt_u32_e64 s[10:11], 32, v51
	v_add3_u32 v84, v19, v67, v68
	v_cmp_gt_u32_e64 s[12:13], 64, v21
	v_cmp_gt_u32_e64 s[14:15], 63, v21
	;; [unrolled: 1-line block ×4, first 2 shown]
	v_lshl_add_u32 v85, v17, 1, v19
	v_add3_u32 v87, v19, v20, v48
	v_add_u32_e32 v88, 32, v86
	v_add_u32_e32 v89, 64, v86
	v_add_u32_e32 v90, 0x60, v86
	v_add_u32_e32 v91, 0x80, v86
	v_add_u32_e32 v92, 0xa0, v86
	v_mov_b32_e32 v18, v16
	v_mov_b32_e32 v19, v16
	s_lshl_b32 s28, s38, 6
	v_mov_b32_e32 v98, 0xfeffffff
	v_lshlrev_b64 v[20:21], 1, v[12:13]
	v_lshlrev_b64 v[22:23], 1, v[14:15]
	;; [unrolled: 1-line block ×5, first 2 shown]
	v_lshlrev_b32_e32 v93, 2, v32
	v_lshlrev_b64 v[32:33], 2, v[36:37]
	v_lshlrev_b32_e32 v94, 2, v34
	v_lshlrev_b64 v[34:35], 2, v[38:39]
	v_add_u32_e32 v95, 0x3400, v47
	s_mov_b32 s41, 0x3fb8aa3b
	s_mov_b32 s42, 0xc2ce8ed0
	;; [unrolled: 1-line block ×4, first 2 shown]
	v_lshlrev_b64 v[36:37], 2, v[40:41]
	v_lshlrev_b64 v[38:39], 2, v[52:53]
	;; [unrolled: 1-line block ×3, first 2 shown]
	s_mov_b32 s45, 0x5040100
	v_mov_b32_e32 v96, 0x7f800000
	v_mov_b32_e32 v97, 0
	v_mov_b32_e32 v54, 0
	v_mov_b32_e32 v53, 0
	v_mov_b32_e32 v58, 0
	v_mov_b32_e32 v57, 0
	v_mov_b32_e32 v62, 0
	v_mov_b32_e32 v60, 0
	v_mov_b32_e32 v65, 0
	v_mov_b32_e32 v64, 0
	v_mov_b32_e32 v56, 0
	v_mov_b32_e32 v55, 0
	v_mov_b32_e32 v52, 0
	v_mov_b32_e32 v47, 0
.LBB14_230:                             ; =>This Inner Loop Header: Depth=1
	v_cndmask_b32_e64 v12, 0, 1, s[24:25]
	v_cmp_ne_u32_e64 s[20:21], 1, v12
	s_andn2_b64 vcc, exec, s[24:25]
	s_ashr_i32 s29, s28, 31
	s_cbranch_vccnz .LBB14_234
; %bb.231:                              ;   in Loop: Header=BB14_230 Depth=1
	v_mov_b32_e32 v12, 0
	v_mov_b32_e32 v13, 0
	;; [unrolled: 1-line block ×4, first 2 shown]
	s_and_saveexec_b64 s[30:31], s[4:5]
	s_cbranch_execz .LBB14_233
; %bb.232:                              ;   in Loop: Header=BB14_230 Depth=1
	s_lshl_b64 s[46:47], s[28:29], 1
	v_mov_b32_e32 v12, s47
	v_add_co_u32_e32 v17, vcc, s46, v73
	v_addc_co_u32_e32 v99, vcc, v74, v12, vcc
	v_add_co_u32_e32 v12, vcc, v17, v20
	v_addc_co_u32_e32 v13, vcc, v99, v21, vcc
	;; [unrolled: 2-line block ×5, first 2 shown]
	flat_load_ushort v12, v[12:13]
	s_nop 0
	flat_load_ushort v13, v[14:15]
	s_nop 0
	flat_load_ushort v14, v[100:101]
	flat_load_ushort v15, v[102:103]
.LBB14_233:                             ;   in Loop: Header=BB14_230 Depth=1
	s_or_b64 exec, exec, s[30:31]
	s_waitcnt vmcnt(0) lgkmcnt(0)
	ds_write_b16 v75, v12 offset:13312
	ds_write_b16 v76, v13 offset:13312
	;; [unrolled: 1-line block ×4, first 2 shown]
.LBB14_234:                             ;   in Loop: Header=BB14_230 Depth=1
	s_mul_hi_i32 s31, s28, s70
	s_mul_i32 s30, s28, s70
	s_lshl_b64 s[30:31], s[30:31], 2
	s_add_u32 s29, s36, s30
	s_addc_u32 s30, s37, s31
	v_mov_b32_e32 v12, s30
	v_add_co_u32_e32 v13, vcc, s29, v30
	v_addc_co_u32_e32 v12, vcc, v12, v31, vcc
	v_add_co_u32_e32 v13, vcc, v13, v93
	v_addc_co_u32_e32 v12, vcc, 0, v12, vcc
	;; [unrolled: 2-line block ×3, first 2 shown]
	v_mov_b32_e32 v17, s27
	v_mov_b32_e32 v99, s26
	buffer_store_dword v72, off, s[0:3], 0
	buffer_store_dword v72, off, s[0:3], 0 offset:4
	buffer_store_dword v72, off, s[0:3], 0 offset:8
	buffer_store_dword v72, off, s[0:3], 0 offset:12
	v_cndmask_b32_e64 v13, v17, v12, s[6:7]
	v_cndmask_b32_e64 v12, v99, v14, s[6:7]
	flat_load_dwordx4 v[12:15], v[12:13]
	v_mov_b32_e32 v100, s30
	v_add_co_u32_e32 v101, vcc, s29, v32
	v_addc_co_u32_e32 v100, vcc, v100, v33, vcc
	v_add_co_u32_e32 v101, vcc, v101, v94
	v_addc_co_u32_e32 v102, vcc, 0, v100, vcc
	v_cndmask_b32_e64 v100, v99, v101, s[22:23]
	v_cndmask_b32_e64 v101, v17, v102, s[22:23]
	s_waitcnt vmcnt(0) lgkmcnt(0)
	ds_write_b128 v81, v[12:15]
	flat_load_dwordx4 v[12:15], v[100:101]
	v_mov_b32_e32 v100, s30
	v_add_co_u32_e32 v101, vcc, s29, v34
	v_addc_co_u32_e32 v100, vcc, v100, v35, vcc
	v_add_co_u32_e32 v101, vcc, v101, v94
	v_addc_co_u32_e32 v102, vcc, 0, v100, vcc
	v_cndmask_b32_e64 v100, v99, v101, s[10:11]
	v_cndmask_b32_e64 v101, v17, v102, s[10:11]
	s_and_b64 vcc, exec, s[20:21]
	s_waitcnt vmcnt(0) lgkmcnt(0)
	ds_write_b128 v82, v[12:15]
	flat_load_dwordx4 v[12:15], v[100:101]
	s_waitcnt vmcnt(0) lgkmcnt(0)
	ds_write_b128 v83, v[12:15]
	s_waitcnt lgkmcnt(0)
	s_barrier
	ds_read2_b64 v[12:15], v84 offset1:4
	s_waitcnt lgkmcnt(0)
	v_mfma_f32_16x16x16f16 v[100:103], v[12:13], v[8:9], 0
	v_mfma_f32_16x16x16f16 v[12:15], v[14:15], v[10:11], v[100:103]
	s_nop 7
	s_nop 1
	ds_read2_b64 v[100:103], v84 offset0:8 offset1:12
	s_waitcnt lgkmcnt(0)
	v_mfma_f32_16x16x16f16 v[12:15], v[100:101], v[4:5], v[12:15]
	v_mfma_f32_16x16x16f16 v[12:15], v[102:103], v[6:7], v[12:15]
	ds_read2_b64 v[100:103], v84 offset0:16 offset1:20
	s_waitcnt lgkmcnt(0)
	s_barrier
	v_mfma_f32_16x16x16f16 v[12:15], v[100:101], v[0:1], v[12:15]
	v_mfma_f32_16x16x16f16 v[12:15], v[102:103], v[2:3], v[12:15]
	s_cbranch_vccnz .LBB14_236
; %bb.235:                              ;   in Loop: Header=BB14_230 Depth=1
	ds_read2_b32 v[100:101], v95 offset1:1
	v_mov_b32_e32 v17, v16
	s_waitcnt lgkmcnt(0)
	v_cvt_f32_f16_e32 v102, v100
	v_cvt_f32_f16_e32 v104, v101
	v_cvt_f32_f16_sdwa v105, v101 dst_sel:DWORD dst_unused:UNUSED_PAD src0_sel:WORD_1
	v_cvt_f32_f16_sdwa v103, v100 dst_sel:DWORD dst_unused:UNUSED_PAD src0_sel:WORD_1
	s_nop 2
	v_pk_fma_f32 v[14:15], v[16:17], v[104:105], v[14:15]
	v_pk_fma_f32 v[12:13], v[18:19], v[102:103], v[12:13]
.LBB14_236:                             ;   in Loop: Header=BB14_230 Depth=1
	s_mul_hi_i32 s21, s28, s58
	s_mul_i32 s20, s28, s58
	s_lshl_b64 s[20:21], s[20:21], 2
	s_add_u32 s20, s33, s20
	s_addc_u32 s21, s34, s21
	v_mov_b32_e32 v17, s21
	v_add_co_u32_e32 v99, vcc, s20, v36
	v_addc_co_u32_e32 v17, vcc, v17, v37, vcc
	v_add_co_u32_e32 v99, vcc, v99, v93
	v_addc_co_u32_e32 v17, vcc, 0, v17, vcc
	;; [unrolled: 2-line block ×3, first 2 shown]
	v_mov_b32_e32 v107, s27
	v_mov_b32_e32 v106, s26
	buffer_store_dword v72, off, s[0:3], 0
	buffer_store_dword v72, off, s[0:3], 0 offset:4
	buffer_store_dword v72, off, s[0:3], 0 offset:8
	;; [unrolled: 1-line block ×3, first 2 shown]
	v_cndmask_b32_e64 v101, v107, v17, s[6:7]
	v_cndmask_b32_e64 v100, v106, v99, s[6:7]
	flat_load_dwordx4 v[100:103], v[100:101]
	v_mov_b32_e32 v17, s21
	v_add_co_u32_e32 v99, vcc, s20, v38
	v_addc_co_u32_e32 v17, vcc, v17, v39, vcc
	v_add_co_u32_e32 v99, vcc, v99, v94
	v_addc_co_u32_e32 v17, vcc, 0, v17, vcc
	v_cndmask_b32_e64 v104, v106, v99, s[22:23]
	v_cndmask_b32_e64 v105, v107, v17, s[22:23]
	v_add_f32_e32 v99, 0x40051340, v12
	v_add_f32_e32 v109, 0x40051340, v14
	v_cndmask_b32_e64 v112, v14, v14, s[14:15]
	v_add_f32_e32 v108, 0x40051340, v13
	v_add_f32_e32 v110, 0x40051340, v15
	v_cndmask_b32_e64 v111, v15, v15, s[14:15]
	v_mov_b32_e32 v17, s39
	v_mov_b32_e32 v15, s39
	s_add_i32 s38, s38, 1
	s_add_i32 s28, s28, 64
	s_waitcnt vmcnt(0) lgkmcnt(0)
	ds_write_b128 v81, v[100:103]
	flat_load_dwordx4 v[100:103], v[104:105]
	v_max_f32_e32 v105, v98, v98
	v_max_f32_e32 v14, v105, v99
	v_cndmask_b32_e64 v14, v98, v14, s[12:13]
	v_max_f32_e32 v99, v14, v14
	v_max_f32_e32 v99, v99, v108
	v_cndmask_b32_e64 v14, v14, v99, s[14:15]
	;; [unrolled: 3-line block ×4, first 2 shown]
	ds_bpermute_b32 v99, v79, v14
	v_max_f32_e32 v14, v14, v14
	v_mov_b32_e32 v105, s21
	v_add_co_u32_e32 v108, vcc, s20, v40
	s_waitcnt lgkmcnt(0)
	v_max_f32_e32 v99, v99, v99
	v_max_f32_e32 v14, v14, v99
	ds_bpermute_b32 v99, v80, v14
	v_addc_co_u32_e32 v105, vcc, v105, v41, vcc
	v_add_co_u32_e32 v108, vcc, v108, v94
	s_waitcnt lgkmcnt(0)
	v_max_f32_e32 v99, v99, v99
	v_max_f32_e32 v14, v14, v99
	v_sub_f32_e32 v12, v12, v14
	v_addc_co_u32_e32 v105, vcc, 0, v105, vcc
	v_sub_f32_e32 v109, v98, v14
	v_mul_f32_e32 v98, 0x3fb8aa3b, v12
	v_cndmask_b32_e64 v106, v106, v108, s[10:11]
	v_cndmask_b32_e64 v107, v107, v105, s[10:11]
	v_rndne_f32_e32 v115, v98
	v_fma_f32 v114, v12, s41, -v98
	v_sub_f32_e32 v124, v98, v115
	v_sub_f32_e32 v13, v13, v14
	;; [unrolled: 1-line block ×3, first 2 shown]
	v_mul_f32_e32 v110, 0x3fb8aa3b, v13
	v_sub_f32_e32 v108, v111, v14
	v_mul_f32_e32 v111, 0x3fb8aa3b, v105
	v_fma_f32 v116, v13, s41, -v110
	v_rndne_f32_e32 v117, v110
	v_fmac_f32_e32 v114, 0x32a5705f, v12
	v_mul_f32_e32 v112, 0x3fb8aa3b, v108
	v_fma_f32 v118, v105, s41, -v111
	v_rndne_f32_e32 v119, v111
	v_fmac_f32_e32 v116, 0x32a5705f, v13
	v_add_f32_e32 v114, v124, v114
	v_mul_f32_e32 v113, 0x3fb8aa3b, v109
	v_fma_f32 v120, v108, s41, -v112
	v_rndne_f32_e32 v121, v112
	v_fmac_f32_e32 v118, 0x32a5705f, v105
	v_exp_f32_e32 v114, v114
	v_fma_f32 v122, v109, s41, -v113
	v_rndne_f32_e32 v123, v113
	v_fmac_f32_e32 v120, 0x32a5705f, v108
	v_fmac_f32_e32 v122, 0x32a5705f, v109
	v_sub_f32_e32 v113, v113, v123
	v_add_f32_e32 v113, v113, v122
	v_exp_f32_e32 v113, v113
	v_cmp_ngt_f32_e32 vcc, s42, v12
	v_mov_b32_e32 v104, s39
	s_waitcnt vmcnt(0)
	ds_write_b128 v82, v[100:103]
	flat_load_dwordx4 v[98:101], v[106:107]
	v_sub_f32_e32 v103, v110, v117
	v_cvt_i32_f32_e32 v102, v115
	v_sub_f32_e32 v107, v111, v119
	v_add_f32_e32 v103, v103, v116
	v_cvt_i32_f32_e32 v106, v117
	v_sub_f32_e32 v111, v112, v121
	v_add_f32_e32 v107, v107, v118
	v_exp_f32_e32 v103, v103
	v_cvt_i32_f32_e32 v110, v119
	v_add_f32_e32 v111, v111, v120
	v_exp_f32_e32 v107, v107
	v_cvt_i32_f32_e32 v112, v121
	v_exp_f32_e32 v111, v111
	v_cvt_i32_f32_e32 v115, v123
	v_ldexp_f32 v102, v114, v102
	v_ldexp_f32 v103, v103, v106
	v_cndmask_b32_e32 v102, 0, v102, vcc
	v_cmp_ngt_f32_e32 vcc, s42, v13
	v_ldexp_f32 v106, v107, v110
	v_cndmask_b32_e32 v103, 0, v103, vcc
	v_cmp_ngt_f32_e32 vcc, s42, v105
	;; [unrolled: 3-line block ×4, first 2 shown]
	v_cndmask_b32_e32 v110, 0, v110, vcc
	v_cmp_nlt_f32_e32 vcc, s43, v12
	v_cndmask_b32_e32 v12, v96, v102, vcc
	v_cmp_nlt_f32_e32 vcc, s43, v13
	;; [unrolled: 2-line block ×5, first 2 shown]
	v_cndmask_b32_e32 v105, v96, v110, vcc
	v_cmp_le_f32_e32 vcc, s44, v109
	v_cndmask_b32_e32 v116, 0, v105, vcc
	v_cndmask_b32_e64 v12, 0, v12, s[12:13]
	v_cndmask_b32_e64 v17, v17, v13, s[14:15]
	v_cvt_f16_f32_e32 v106, v116
	v_add_f32_e32 v13, v13, v12
	v_cvt_f16_f32_e32 v105, v12
	v_cvt_f16_f32_e32 v17, v17
	v_cndmask_b32_e64 v12, v12, v13, s[14:15]
	v_add_f32_e32 v13, v12, v102
	v_cndmask_b32_e64 v110, v12, v13, s[16:17]
	v_pk_mul_f16 v13, v106, v65 op_sel_hi:[0,1]
	v_cndmask_b32_e64 v104, v104, v102, s[16:17]
	v_cndmask_b32_e64 v15, v15, v103, s[18:19]
	v_add_f32_e32 v111, v110, v103
	v_pk_mul_f16 v109, v106, v53 op_sel_hi:[0,1]
	v_pk_mul_f16 v112, v106, v56 op_sel_hi:[0,1]
	;; [unrolled: 1-line block ×4, first 2 shown]
	v_pack_b32_f16 v12, v105, v17
	v_cvt_f32_f16_e32 v52, v13
	v_cvt_f32_f16_sdwa v53, v13 dst_sel:DWORD dst_unused:UNUSED_PAD src0_sel:WORD_1
	v_cvt_f16_f32_e32 v104, v104
	v_cvt_f16_f32_e32 v15, v15
	v_pk_mul_f16 v64, v106, v64 op_sel_hi:[0,1]
	v_pk_mul_f16 v65, v106, v57 op_sel_hi:[0,1]
	;; [unrolled: 1-line block ×3, first 2 shown]
	v_cvt_f32_f16_e32 v54, v64
	v_pk_mul_f16 v62, v106, v62 op_sel_hi:[0,1]
	v_pk_mul_f16 v60, v106, v60 op_sel_hi:[0,1]
	;; [unrolled: 1-line block ×3, first 2 shown]
	v_cmp_lt_i32_e32 vcc, s38, v71
	s_and_b64 vcc, exec, vcc
	s_waitcnt vmcnt(0) lgkmcnt(0)
	ds_write_b128 v83, v[98:101]
	s_waitcnt lgkmcnt(0)
	s_barrier
	ds_read_u16 v13, v86 offset:416
	ds_read_u16 v17, v88 offset:416
	ds_read_u16 v55, v85
	ds_read_u16 v101, v85 offset:32
	ds_read_u16 v105, v85 offset:64
	;; [unrolled: 1-line block ×4, first 2 shown]
	ds_read_u16 v56, v87
	ds_read_u16 v102, v87 offset:32
	ds_read_u16 v108, v87 offset:64
	;; [unrolled: 1-line block ×8, first 2 shown]
	s_waitcnt lgkmcnt(8)
	v_perm_b32 v57, v56, v13, s45
	s_waitcnt lgkmcnt(3)
	v_perm_b32 v56, v98, v55, s45
	v_cvt_f32_f16_sdwa v55, v64 dst_sel:DWORD dst_unused:UNUSED_PAD src0_sel:WORD_1
	v_pack_b32_f16 v13, v104, v15
	v_cvt_f32_f16_e32 v98, v62
	v_cvt_f32_f16_sdwa v99, v62 dst_sel:DWORD dst_unused:UNUSED_PAD src0_sel:WORD_1
	v_mfma_f32_16x16x16f16 v[52:55], v[56:57], v[12:13], v[52:55]
	v_perm_b32 v57, v102, v17, s45
	s_waitcnt lgkmcnt(1)
	v_perm_b32 v56, v103, v101, s45
	v_cvt_f32_f16_e32 v100, v60
	v_cvt_f32_f16_sdwa v101, v60 dst_sel:DWORD dst_unused:UNUSED_PAD src0_sel:WORD_1
	v_cvt_f32_f16_e32 v102, v58
	v_cvt_f32_f16_sdwa v103, v58 dst_sel:DWORD dst_unused:UNUSED_PAD src0_sel:WORD_1
	ds_read_u16 v15, v89 offset:208
	ds_read_u16 v17, v89 offset:416
	;; [unrolled: 1-line block ×8, first 2 shown]
	v_mfma_f32_16x16x16f16 v[98:101], v[56:57], v[12:13], v[98:101]
	s_waitcnt lgkmcnt(6)
	v_perm_b32 v57, v108, v17, s45
	v_perm_b32 v56, v15, v105, s45
	v_cvt_f32_f16_e32 v104, v65
	v_cvt_f32_f16_sdwa v105, v65 dst_sel:DWORD dst_unused:UNUSED_PAD src0_sel:WORD_1
	v_pk_mul_f16 v15, v106, v47 op_sel_hi:[0,1]
	v_cvt_f32_f16_e32 v106, v107
	v_cvt_f32_f16_sdwa v107, v107 dst_sel:DWORD dst_unused:UNUSED_PAD src0_sel:WORD_1
	v_mfma_f32_16x16x16f16 v[102:105], v[56:57], v[12:13], v[102:105]
	s_waitcnt lgkmcnt(4)
	v_perm_b32 v57, v118, v60, s45
	v_perm_b32 v56, v58, v114, s45
	v_cvt_f32_f16_e32 v108, v109
	v_cvt_f32_f16_sdwa v109, v109 dst_sel:DWORD dst_unused:UNUSED_PAD src0_sel:WORD_1
	v_cndmask_b32_e64 v17, v110, v111, s[18:19]
	v_cvt_f32_f16_e32 v110, v112
	v_cvt_f32_f16_sdwa v111, v112 dst_sel:DWORD dst_unused:UNUSED_PAD src0_sel:WORD_1
	v_mfma_f32_16x16x16f16 v[106:109], v[56:57], v[12:13], v[106:109]
	s_waitcnt lgkmcnt(2)
	v_perm_b32 v57, v119, v64, s45
	v_perm_b32 v56, v62, v117, s45
	v_cvt_f32_f16_e32 v112, v113
	v_cvt_f32_f16_sdwa v113, v113 dst_sel:DWORD dst_unused:UNUSED_PAD src0_sel:WORD_1
	v_fmac_f32_e32 v17, v97, v116
	v_cvt_f16_f32_e32 v47, v52
	v_cvt_f16_f32_e32 v52, v53
	v_mfma_f32_16x16x16f16 v[110:113], v[56:57], v[12:13], v[110:113]
	v_cvt_f16_f32_e32 v53, v54
	v_cvt_f16_f32_e32 v54, v55
	;; [unrolled: 1-line block ×10, first 2 shown]
	v_pack_b32_f16 v60, v57, v58
	v_pack_b32_f16 v58, v97, v98
	s_waitcnt lgkmcnt(1)
	v_perm_b32 v98, v122, v120, s45
	v_pack_b32_f16 v57, v99, v100
	s_waitcnt lgkmcnt(0)
	v_perm_b32 v99, v121, v123, s45
	v_cvt_f32_f16_e32 v114, v115
	v_cvt_f32_f16_sdwa v115, v115 dst_sel:DWORD dst_unused:UNUSED_PAD src0_sel:WORD_1
	v_cvt_f16_f32_e32 v101, v106
	v_cvt_f16_f32_e32 v102, v107
	v_cvt_f32_f16_e32 v116, v15
	v_cvt_f32_f16_sdwa v117, v15 dst_sel:DWORD dst_unused:UNUSED_PAD src0_sel:WORD_1
	v_pack_b32_f16 v64, v53, v54
	v_pack_b32_f16 v54, v101, v102
	v_mfma_f32_16x16x16f16 v[98:101], v[98:99], v[12:13], v[114:117]
	v_cvt_f16_f32_e32 v103, v108
	v_cvt_f16_f32_e32 v104, v109
	;; [unrolled: 1-line block ×3, first 2 shown]
	v_pack_b32_f16 v65, v47, v52
	v_cvt_f16_f32_e32 v15, v111
	v_cvt_f16_f32_e32 v47, v112
	;; [unrolled: 1-line block ×3, first 2 shown]
	s_nop 3
	v_cvt_f16_f32_e32 v12, v98
	v_cvt_f16_f32_e32 v13, v99
	v_cvt_f16_f32_e32 v97, v100
	v_cvt_f16_f32_e32 v98, v101
	v_pack_b32_f16 v62, v55, v56
	v_pack_b32_f16 v53, v103, v104
	;; [unrolled: 1-line block ×6, first 2 shown]
	s_barrier
	s_cbranch_vccz .LBB14_239
; %bb.237:                              ;   in Loop: Header=BB14_230 Depth=1
	v_mov_b32_e32 v97, v17
	v_mov_b32_e32 v98, v14
	s_branch .LBB14_230
.LBB14_238:
	v_mov_b32_e32 v17, 0
	v_mov_b32_e32 v14, 0xfeffffff
	;; [unrolled: 1-line block ×13, first 2 shown]
.LBB14_239:
	s_lshl_b32 s12, s38, 6
	v_readlane_b32 s4, v179, 4
	s_sub_i32 s16, s4, s12
	s_cmp_lg_u64 s[8:9], 0
	s_cselect_b64 s[14:15], -1, 0
	s_ashr_i32 s13, s12, 31
	s_cmp_eq_u64 s[8:9], 0
	v_readlane_b32 s5, v179, 5
	s_cbranch_scc1 .LBB14_249
; %bb.240:
	s_lshl_b64 s[4:5], s[12:13], 1
	s_add_u32 s4, s8, s4
	s_addc_u32 s5, s9, s5
	v_mov_b32_e32 v13, s5
	v_add_co_u32_e64 v12, s[4:5], s4, v70
	v_cmp_gt_i32_e32 vcc, s16, v44
	v_mov_b32_e32 v15, 0
	v_addc_co_u32_e64 v13, s[4:5], 0, v13, s[4:5]
	v_mov_b32_e32 v19, 0
	s_and_saveexec_b64 s[6:7], vcc
	s_cbranch_execz .LBB14_242
; %bb.241:
	v_add_u32_e32 v18, s35, v45
	v_readlane_b32 s4, v179, 10
	v_mul_hi_u32 v19, s4, v18
	v_readlane_b32 s5, v179, 11
	v_add_u32_e32 v19, v18, v19
	v_lshrrev_b32_e32 v19, s5, v19
	v_mul_lo_u32 v19, v19, s76
	v_sub_u32_e32 v18, v18, v19
	v_mad_i64_i32 v[18:19], s[4:5], v18, s64, 0
	v_lshlrev_b64 v[18:19], 1, v[18:19]
	v_add_co_u32_e64 v18, s[4:5], v12, v18
	v_addc_co_u32_e64 v19, s[4:5], v13, v19, s[4:5]
	flat_load_ushort v19, v[18:19]
.LBB14_242:
	s_or_b64 exec, exec, s[6:7]
	s_movk_i32 s4, 0x90
	v_mad_u32_u24 v18, v45, s4, 0
	v_lshl_add_u32 v20, v44, 1, v18
	s_waitcnt vmcnt(0) lgkmcnt(0)
	ds_write_b16 v20, v19 offset:13312
	s_and_saveexec_b64 s[6:7], vcc
	s_cbranch_execz .LBB14_244
; %bb.243:
	v_add3_u32 v15, v45, s35, 4
	v_readlane_b32 s4, v179, 10
	v_mul_hi_u32 v19, s4, v15
	v_readlane_b32 s5, v179, 11
	v_add_u32_e32 v19, v15, v19
	v_lshrrev_b32_e32 v19, s5, v19
	v_mul_lo_u32 v19, v19, s76
	v_sub_u32_e32 v15, v15, v19
	v_mad_i64_i32 v[20:21], s[4:5], v15, s64, 0
	v_lshlrev_b64 v[20:21], 1, v[20:21]
	v_add_co_u32_e64 v20, s[4:5], v12, v20
	v_addc_co_u32_e64 v21, s[4:5], v13, v21, s[4:5]
	flat_load_ushort v15, v[20:21]
.LBB14_244:
	s_or_b64 exec, exec, s[6:7]
	v_add_u32_e32 v18, 0x240, v18
	v_lshl_add_u32 v19, v44, 1, v18
	s_waitcnt vmcnt(0) lgkmcnt(0)
	ds_write_b16 v19, v15 offset:13312
	v_mov_b32_e32 v15, 0
	v_mov_b32_e32 v19, 0
	s_and_saveexec_b64 s[6:7], vcc
	s_cbranch_execz .LBB14_246
; %bb.245:
	v_add3_u32 v19, v45, s35, 8
	v_readlane_b32 s4, v179, 10
	v_mul_hi_u32 v20, s4, v19
	v_readlane_b32 s5, v179, 11
	v_add_u32_e32 v20, v19, v20
	v_lshrrev_b32_e32 v20, s5, v20
	v_mul_lo_u32 v20, v20, s76
	v_sub_u32_e32 v19, v19, v20
	v_mad_i64_i32 v[20:21], s[4:5], v19, s64, 0
	v_lshlrev_b64 v[20:21], 1, v[20:21]
	v_add_co_u32_e64 v20, s[4:5], v12, v20
	v_addc_co_u32_e64 v21, s[4:5], v13, v21, s[4:5]
	flat_load_ushort v19, v[20:21]
.LBB14_246:
	s_or_b64 exec, exec, s[6:7]
	v_add_u32_e32 v18, 0x240, v18
	v_lshl_add_u32 v18, v44, 1, v18
	s_waitcnt vmcnt(0) lgkmcnt(0)
	ds_write_b16 v18, v19 offset:13312
	s_and_saveexec_b64 s[4:5], vcc
	s_cbranch_execz .LBB14_248
; %bb.247:
	v_add3_u32 v15, v45, s35, 12
	v_readlane_b32 s6, v179, 10
	v_mul_hi_u32 v19, s6, v15
	v_readlane_b32 s7, v179, 11
	v_add_u32_e32 v19, v15, v19
	v_lshrrev_b32_e32 v19, s7, v19
	v_mul_lo_u32 v19, v19, s76
	v_sub_u32_e32 v15, v15, v19
	v_mad_i64_i32 v[20:21], s[6:7], v15, s64, 0
	v_lshlrev_b64 v[20:21], 1, v[20:21]
	v_add_co_u32_e32 v12, vcc, v12, v20
	v_addc_co_u32_e32 v13, vcc, v13, v21, vcc
	flat_load_ushort v15, v[12:13]
.LBB14_248:
	s_or_b64 exec, exec, s[4:5]
	s_waitcnt vmcnt(0) lgkmcnt(0)
	ds_write_b16 v18, v15 offset:13888
.LBB14_249:
	s_mul_hi_i32 s5, s12, s70
	s_mul_i32 s4, s12, s70
	v_add_u32_e32 v21, v59, v49
	s_lshl_b64 s[4:5], s[4:5], 2
	v_mul_lo_u32 v12, s70, v21
	s_add_u32 s9, s36, s4
	v_ashrrev_i32_e32 v13, 31, v12
	s_addc_u32 s13, s37, s5
	v_lshlrev_b64 v[12:13], 2, v[12:13]
	v_mov_b32_e32 v15, s13
	v_add_co_u32_e32 v12, vcc, s9, v12
	v_addc_co_u32_e32 v13, vcc, v15, v13, vcc
	v_and_b32_e32 v15, 12, v69
	v_lshlrev_b32_e32 v20, 2, v15
	v_add_co_u32_e32 v12, vcc, v12, v20
	s_movk_i32 s8, 0x80
	v_addc_co_u32_e32 v13, vcc, 0, v13, vcc
	s_mov_b64 s[4:5], src_private_base
	v_add_co_u32_e32 v15, vcc, s8, v12
	v_addc_co_u32_e32 v12, vcc, 0, v13, vcc
	v_mov_b32_e32 v18, s5
	v_cmp_gt_i32_e64 s[6:7], s16, v21
	v_mov_b32_e32 v19, 0
	v_cndmask_b32_e64 v23, v18, v12, s[6:7]
	v_mov_b32_e32 v12, 0
	buffer_store_dword v19, off, s[0:3], 0
	buffer_store_dword v19, off, s[0:3], 0 offset:4
	buffer_store_dword v19, off, s[0:3], 0 offset:8
	;; [unrolled: 1-line block ×3, first 2 shown]
	v_cndmask_b32_e64 v22, v12, v15, s[6:7]
	flat_load_dwordx4 v[26:29], v[22:23]
	v_mul_lo_u32 v22, s70, v51
	v_ashrrev_i32_e32 v23, 31, v22
	v_mul_u32_u24_e32 v15, 0xd0, v21
	v_lshlrev_b64 v[30:31], 2, v[22:23]
	v_and_b32_e32 v13, 28, v69
	v_add3_u32 v34, 0, v15, v20
	v_mov_b32_e32 v15, s13
	v_add_co_u32_e32 v23, vcc, s9, v30
	v_lshlrev_b32_e32 v13, 2, v13
	v_addc_co_u32_e32 v15, vcc, v15, v31, vcc
	v_add_co_u32_e32 v23, vcc, v23, v13
	v_addc_co_u32_e32 v15, vcc, 0, v15, vcc
	v_cmp_gt_i32_e64 s[10:11], s16, v51
	v_cndmask_b32_e64 v31, v18, v15, s[10:11]
	v_cndmask_b32_e64 v30, v12, v23, s[10:11]
	v_lshl_add_u32 v22, s70, 5, v22
	v_ashrrev_i32_e32 v23, 31, v22
	v_lshlrev_b64 v[22:23], 2, v[22:23]
	v_add_co_u32_e32 v22, vcc, s9, v22
	v_mul_u32_u24_e32 v15, 0xd0, v51
	v_add3_u32 v15, 0, v15, v13
	s_movk_i32 s9, 0xd0
	s_waitcnt vmcnt(0) lgkmcnt(0)
	ds_write_b128 v34, v[26:29] offset:128
	flat_load_dwordx4 v[26:29], v[30:31]
	v_mov_b32_e32 v31, s13
	v_addc_co_u32_e32 v23, vcc, v31, v23, vcc
	v_add_u32_e32 v30, 32, v51
	v_add_co_u32_e32 v22, vcc, v22, v13
	v_addc_co_u32_e32 v23, vcc, 0, v23, vcc
	v_cmp_gt_i32_e64 s[4:5], s16, v30
	v_cndmask_b32_e64 v23, v18, v23, s[4:5]
	v_cndmask_b32_e64 v22, v12, v22, s[4:5]
	s_andn2_b64 vcc, exec, s[14:15]
	s_waitcnt vmcnt(0) lgkmcnt(0)
	ds_write_b128 v15, v[26:29]
	flat_load_dwordx4 v[26:29], v[22:23]
	v_and_b32_e32 v22, 48, v59
	v_mad_u32_u24 v18, v22, s9, 0
	v_add3_u32 v23, v18, v67, v68
	s_waitcnt vmcnt(0) lgkmcnt(0)
	ds_write_b128 v15, v[26:29] offset:6656
	s_waitcnt lgkmcnt(0)
	s_barrier
	ds_read2_b64 v[26:29], v23 offset1:4
	s_waitcnt lgkmcnt(0)
	v_mfma_f32_16x16x16f16 v[30:33], v[26:27], v[8:9], 0
	v_mfma_f32_16x16x16f16 v[8:11], v[28:29], v[10:11], v[30:33]
	ds_read2_b64 v[26:29], v23 offset0:8 offset1:12
	s_waitcnt lgkmcnt(0)
	v_mfma_f32_16x16x16f16 v[8:11], v[26:27], v[4:5], v[8:11]
	v_mfma_f32_16x16x16f16 v[4:7], v[28:29], v[6:7], v[8:11]
	s_nop 7
	s_nop 1
	ds_read2_b64 v[8:11], v23 offset0:16 offset1:20
	s_waitcnt lgkmcnt(0)
	v_mfma_f32_16x16x16f16 v[26:29], v[8:9], v[0:1], v[4:7]
	s_nop 6
	v_and_b32_e32 v6, 0xfc, v49
	v_add_u32_e32 v7, 0x80, v34
	v_add_u32_e32 v4, 0x1a00, v15
	;; [unrolled: 1-line block ×3, first 2 shown]
	s_barrier
	v_mfma_f32_16x16x16f16 v[0:3], v[10:11], v[2:3], v[26:29]
	s_cbranch_vccnz .LBB14_251
; %bb.250:
	s_movk_i32 s9, 0x90
	v_mad_u32_u24 v8, v66, s9, 0
	v_lshlrev_b32_e32 v9, 1, v5
	s_movk_i32 s9, 0x3400
	v_add3_u32 v8, v8, v9, s9
	ds_read2_b32 v[8:9], v8 offset1:1
	s_waitcnt lgkmcnt(0)
	v_cvt_f32_f16_e32 v10, v8
	v_cvt_f32_f16_e32 v22, v9
	v_cvt_f32_f16_sdwa v23, v9 dst_sel:DWORD dst_unused:UNUSED_PAD src0_sel:WORD_1
	v_cvt_f32_f16_sdwa v11, v8 dst_sel:DWORD dst_unused:UNUSED_PAD src0_sel:WORD_1
	v_pk_fma_f32 v[2:3], v[16:17], v[22:23], v[2:3] op_sel_hi:[0,1,1]
	v_pk_fma_f32 v[0:1], v[16:17], v[10:11], v[0:1] op_sel_hi:[0,1,1]
.LBB14_251:
	s_mul_hi_i32 s13, s12, s58
	s_mul_i32 s12, s12, s58
	s_lshl_b64 s[12:13], s[12:13], 2
	v_mul_lo_u32 v8, s58, v21
	s_add_u32 s9, s33, s12
	v_ashrrev_i32_e32 v9, 31, v8
	s_addc_u32 s14, s34, s13
	v_lshlrev_b64 v[8:9], 2, v[8:9]
	v_mov_b32_e32 v10, s14
	v_add_co_u32_e32 v8, vcc, s9, v8
	v_addc_co_u32_e32 v9, vcc, v10, v9, vcc
	v_add_co_u32_e32 v8, vcc, v8, v20
	v_addc_co_u32_e32 v9, vcc, 0, v9, vcc
	s_mov_b64 s[12:13], src_private_base
	v_add_co_u32_e32 v8, vcc, s8, v8
	v_addc_co_u32_e32 v9, vcc, 0, v9, vcc
	v_mov_b32_e32 v16, s13
	buffer_store_dword v19, off, s[0:3], 0
	buffer_store_dword v19, off, s[0:3], 0 offset:4
	buffer_store_dword v19, off, s[0:3], 0 offset:8
	;; [unrolled: 1-line block ×3, first 2 shown]
	v_cndmask_b32_e64 v9, v16, v9, s[6:7]
	v_cndmask_b32_e64 v8, v12, v8, s[6:7]
	flat_load_dwordx4 v[8:11], v[8:9]
	v_mul_lo_u32 v20, s58, v51
	v_ashrrev_i32_e32 v21, 31, v20
	v_lshlrev_b64 v[22:23], 2, v[20:21]
	v_mov_b32_e32 v21, s14
	v_add_co_u32_e32 v22, vcc, s9, v22
	v_addc_co_u32_e32 v21, vcc, v21, v23, vcc
	v_add_co_u32_e32 v22, vcc, v22, v13
	v_addc_co_u32_e32 v21, vcc, 0, v21, vcc
	v_cndmask_b32_e64 v22, v12, v22, s[10:11]
	v_cndmask_b32_e64 v23, v16, v21, s[10:11]
	v_add_f32_e32 v19, 0x40051340, v0
	v_max_f32_e32 v26, v14, v14
	s_mov_b32 s6, 0
	v_mbcnt_hi_u32_b32 v29, -1, v50
	v_mul_u32_u24_e32 v21, 0x68, v6
	v_or_b32_e32 v34, 3, v49
	v_max_f32_e32 v26, v26, v19
	v_mov_b32_e32 v19, s6
	v_or_b32_e32 v28, 1, v5
	v_or_b32_e32 v30, 2, v5
	;; [unrolled: 1-line block ×3, first 2 shown]
	v_and_b32_e32 v35, 64, v29
	v_or_b32_e32 v38, v21, v25
	v_mul_u32_u24_e32 v34, 0xd0, v34
	v_add_f32_e32 v27, 0x40051340, v1
	v_cmp_gt_u32_e64 s[12:13], s16, v28
	v_add_f32_e32 v31, 0x40051340, v2
	v_xor_b32_e32 v36, 32, v29
	v_cmp_gt_u32_e64 s[10:11], s16, v30
	v_xor_b32_e32 v37, 16, v29
	v_add_f32_e32 v33, 0x40051340, v3
	v_cndmask_b32_e64 v28, v3, v3, s[12:13]
	v_lshl_add_u32 v20, s58, 5, v20
	v_ashrrev_i32_e32 v21, 31, v20
	v_lshlrev_b64 v[20:21], 2, v[20:21]
	s_mov_b32 s17, 0x3fb8aa3b
	s_mov_b32 s18, 0xc2ce8ed0
	;; [unrolled: 1-line block ×5, first 2 shown]
	s_waitcnt vmcnt(0) lgkmcnt(0)
	ds_write_b128 v7, v[8:11]
	flat_load_dwordx4 v[8:11], v[22:23]
	v_mul_u32_u24_e32 v23, 0xd0, v6
	v_mov_b32_e32 v7, s6
	v_mov_b32_e32 v6, s6
	v_cmp_gt_u32_e64 s[6:7], s16, v5
	v_cndmask_b32_e64 v5, v14, v26, s[6:7]
	v_add3_u32 v23, v18, v23, v48
	v_add_u32_e32 v26, 64, v35
	v_lshl_add_u32 v35, v38, 1, v18
	v_add3_u32 v18, v18, v34, v48
	v_max_f32_e32 v34, v5, v5
	v_max_f32_e32 v34, v34, v27
	v_cndmask_b32_e64 v5, v5, v34, s[12:13]
	v_cndmask_b32_e64 v34, v2, v2, s[12:13]
	v_max_f32_e32 v2, v5, v5
	v_max_f32_e32 v2, v2, v31
	v_cmp_lt_i32_e32 vcc, v36, v26
	v_cndmask_b32_e64 v2, v5, v2, s[10:11]
	v_cndmask_b32_e32 v36, v29, v36, vcc
	v_cmp_lt_i32_e32 vcc, v37, v26
	v_max_f32_e32 v3, v2, v2
	v_cndmask_b32_e32 v26, v29, v37, vcc
	v_max_f32_e32 v3, v3, v33
	v_cmp_gt_u32_e32 vcc, s16, v32
	v_lshlrev_b32_e32 v29, 2, v36
	v_cndmask_b32_e32 v2, v2, v3, vcc
	ds_bpermute_b32 v3, v29, v2
	v_lshlrev_b32_e32 v27, 2, v26
	v_mov_b32_e32 v26, s14
	v_add_co_u32_e64 v5, s[14:15], s9, v20
	v_max_f32_e32 v2, v2, v2
	s_waitcnt lgkmcnt(0)
	v_max_f32_e32 v3, v3, v3
	v_addc_co_u32_e64 v20, s[14:15], v26, v21, s[14:15]
	v_max_f32_e32 v21, v2, v3
	ds_bpermute_b32 v26, v27, v21
	v_add_co_u32_e64 v2, s[14:15], v5, v13
	v_addc_co_u32_e64 v3, s[14:15], 0, v20, s[14:15]
	s_waitcnt lgkmcnt(0)
	v_max_f32_e32 v5, v26, v26
	v_cndmask_b32_e64 v2, v12, v2, s[4:5]
	v_cndmask_b32_e64 v3, v16, v3, s[4:5]
	v_max_f32_e32 v26, v21, v5
	v_sub_f32_e32 v5, v0, v26
	v_sub_f32_e32 v12, v1, v26
	;; [unrolled: 1-line block ×4, first 2 shown]
	v_mul_f32_e32 v20, 0x3fb8aa3b, v5
	v_sub_f32_e32 v13, v34, v26
	v_mul_f32_e32 v21, 0x3fb8aa3b, v12
	v_mul_f32_e32 v30, 0x3fb8aa3b, v16
	;; [unrolled: 1-line block ×3, first 2 shown]
	v_fma_f32 v32, v5, s17, -v20
	v_rndne_f32_e32 v33, v20
	v_mul_f32_e32 v28, 0x3fb8aa3b, v13
	v_fma_f32 v34, v12, s17, -v21
	v_rndne_f32_e32 v36, v21
	v_fmac_f32_e32 v32, 0x32a5705f, v5
	v_sub_f32_e32 v20, v20, v33
	v_fma_f32 v37, v13, s17, -v28
	v_fmac_f32_e32 v34, 0x32a5705f, v12
	v_sub_f32_e32 v21, v21, v36
	v_add_f32_e32 v20, v20, v32
	v_cvt_i32_f32_e32 v33, v33
	v_fmac_f32_e32 v37, 0x32a5705f, v13
	v_add_f32_e32 v21, v21, v34
	v_exp_f32_e32 v20, v20
	v_cvt_i32_f32_e32 v36, v36
	v_exp_f32_e32 v21, v21
	v_cmp_ngt_f32_e64 s[4:5], s18, v5
	v_ldexp_f32 v20, v20, v33
	v_mov_b32_e32 v22, 0x7f800000
	v_ldexp_f32 v21, v21, v36
	s_waitcnt vmcnt(0)
	ds_write_b128 v15, v[8:11]
	flat_load_dwordx4 v[0:3], v[2:3]
	v_fma_f32 v9, v16, s17, -v30
	v_rndne_f32_e32 v10, v30
	v_fma_f32 v11, v14, s17, -v31
	v_rndne_f32_e32 v15, v31
	v_rndne_f32_e32 v8, v28
	v_fmac_f32_e32 v9, 0x32a5705f, v16
	v_sub_f32_e32 v30, v30, v10
	v_fmac_f32_e32 v11, 0x32a5705f, v14
	v_sub_f32_e32 v31, v31, v15
	v_sub_f32_e32 v28, v28, v8
	v_add_f32_e32 v9, v30, v9
	v_add_f32_e32 v11, v31, v11
	v_cvt_i32_f32_e32 v10, v10
	v_cvt_i32_f32_e32 v15, v15
	v_add_f32_e32 v28, v28, v37
	v_exp_f32_e32 v9, v9
	v_exp_f32_e32 v11, v11
	v_cvt_i32_f32_e32 v8, v8
	v_exp_f32_e32 v28, v28
	v_ldexp_f32 v9, v9, v10
	v_ldexp_f32 v10, v11, v15
	v_cndmask_b32_e64 v11, 0, v20, s[4:5]
	v_cmp_ngt_f32_e64 s[4:5], s18, v12
	v_ldexp_f32 v8, v28, v8
	v_cndmask_b32_e64 v15, 0, v21, s[4:5]
	v_cmp_ngt_f32_e64 s[4:5], s18, v13
	v_cndmask_b32_e64 v8, 0, v8, s[4:5]
	v_cmp_ngt_f32_e64 s[4:5], s18, v16
	;; [unrolled: 2-line block ×3, first 2 shown]
	v_cndmask_b32_e64 v10, 0, v10, s[4:5]
	v_cmp_nlt_f32_e64 s[4:5], s19, v5
	v_cndmask_b32_e64 v5, v22, v11, s[4:5]
	v_cmp_nlt_f32_e64 s[4:5], s19, v12
	;; [unrolled: 2-line block ×5, first 2 shown]
	v_cndmask_b32_e64 v9, v22, v10, s[4:5]
	v_cmp_le_f32_e64 s[4:5], s20, v14
	v_cndmask_b32_e64 v8, 0, v5, s[6:7]
	v_cndmask_b32_e64 v5, v7, v11, s[12:13]
	v_cndmask_b32_e64 v16, 0, v9, s[4:5]
	v_cvt_f16_f32_e32 v28, v16
	v_cvt_f16_f32_e32 v10, v8
	;; [unrolled: 1-line block ×3, first 2 shown]
	v_cndmask_b32_e64 v6, v6, v12, s[10:11]
	v_add_f32_e32 v9, v11, v8
	v_cndmask_b32_e32 v7, v19, v15, vcc
	v_cvt_f16_f32_e32 v11, v6
	v_cndmask_b32_e64 v6, v8, v9, s[12:13]
	v_cvt_f16_f32_e32 v13, v7
	v_add_f32_e32 v7, v6, v12
	v_pk_mul_f16 v12, v28, v62 op_sel_hi:[0,1]
	v_pk_mul_f16 v14, v28, v60 op_sel_hi:[0,1]
	v_pk_mul_f16 v19, v28, v58 op_sel_hi:[0,1]
	v_pack_b32_f16 v32, v10, v5
	v_cndmask_b32_e64 v20, v6, v7, s[10:11]
	v_pk_mul_f16 v7, v28, v65 op_sel_hi:[0,1]
	v_pk_mul_f16 v9, v28, v64 op_sel_hi:[0,1]
	v_cvt_f32_f16_e32 v6, v7
	v_cvt_f32_f16_sdwa v7, v7 dst_sel:DWORD dst_unused:UNUSED_PAD src0_sel:WORD_1
	v_cvt_f32_f16_e32 v8, v9
	v_cvt_f32_f16_sdwa v9, v9 dst_sel:DWORD dst_unused:UNUSED_PAD src0_sel:WORD_1
	v_pack_b32_f16 v33, v11, v13
	v_cvt_f32_f16_sdwa v5, v12 dst_sel:DWORD dst_unused:UNUSED_PAD src0_sel:WORD_1
	v_cmp_gt_u32_e64 s[4:5], 16, v44
	s_waitcnt vmcnt(0) lgkmcnt(0)
	ds_write_b128 v4, v[0:3]
	s_waitcnt lgkmcnt(0)
	s_barrier
	ds_read_u16 v10, v23 offset:240
	ds_read_u16 v21, v23 offset:448
	;; [unrolled: 1-line block ×4, first 2 shown]
	ds_read_u16 v0, v35
	ds_read_u16 v31, v35 offset:32
	ds_read_u16 v34, v35 offset:64
	;; [unrolled: 1-line block ×12, first 2 shown]
	ds_read_u16 v3, v18
	ds_read_u16 v35, v18 offset:32
	ds_read_u16 v50, v18 offset:64
	;; [unrolled: 1-line block ×6, first 2 shown]
	s_waitcnt lgkmcnt(6)
	v_perm_b32 v1, v3, v1, s8
	v_perm_b32 v0, v2, v0, s8
	s_waitcnt lgkmcnt(5)
	v_perm_b32 v11, v35, v21, s8
	v_perm_b32 v10, v10, v31, s8
	v_cvt_f32_f16_e32 v4, v12
	v_mfma_f32_16x16x16f16 v[0:3], v[0:1], v[32:33], v[6:9]
	s_waitcnt lgkmcnt(4)
	v_perm_b32 v13, v50, v22, s8
	v_perm_b32 v12, v38, v34, s8
	v_add_f32_e32 v21, v20, v15
	v_pk_mul_f16 v15, v28, v53 op_sel_hi:[0,1]
	s_nop 1
	v_cvt_f32_f16_e32 v6, v14
	v_cvt_f32_f16_sdwa v7, v14 dst_sel:DWORD dst_unused:UNUSED_PAD src0_sel:WORD_1
	v_pk_mul_f16 v14, v28, v57 op_sel_hi:[0,1]
	v_cvt_f32_f16_e32 v8, v19
	v_cvt_f32_f16_sdwa v9, v19 dst_sel:DWORD dst_unused:UNUSED_PAD src0_sel:WORD_1
	v_mfma_f32_16x16x16f16 v[4:7], v[10:11], v[32:33], v[4:7]
	v_cvt_f32_f16_e32 v10, v14
	v_cvt_f32_f16_sdwa v11, v14 dst_sel:DWORD dst_unused:UNUSED_PAD src0_sel:WORD_1
	v_pk_mul_f16 v14, v28, v54 op_sel_hi:[0,1]
	s_waitcnt lgkmcnt(3)
	v_perm_b32 v19, v51, v30, s8
	v_perm_b32 v18, v39, v36, s8
	v_cndmask_b32_e32 v30, v20, v21, vcc
	v_pk_mul_f16 v20, v28, v56 op_sel_hi:[0,1]
	v_mfma_f32_16x16x16f16 v[8:11], v[12:13], v[32:33], v[8:11]
	v_cvt_f32_f16_e32 v12, v14
	v_cvt_f32_f16_sdwa v13, v14 dst_sel:DWORD dst_unused:UNUSED_PAD src0_sel:WORD_1
	v_cvt_f32_f16_e32 v14, v15
	v_cvt_f32_f16_sdwa v15, v15 dst_sel:DWORD dst_unused:UNUSED_PAD src0_sel:WORD_1
	v_pk_mul_f16 v21, v28, v55 op_sel_hi:[0,1]
	s_waitcnt lgkmcnt(2)
	v_perm_b32 v23, v58, v41, s8
	v_perm_b32 v22, v40, v37, s8
	v_mfma_f32_16x16x16f16 v[12:15], v[18:19], v[32:33], v[12:15]
	v_cvt_f32_f16_e32 v18, v20
	v_cvt_f32_f16_sdwa v19, v20 dst_sel:DWORD dst_unused:UNUSED_PAD src0_sel:WORD_1
	v_cvt_f32_f16_e32 v20, v21
	v_cvt_f32_f16_sdwa v21, v21 dst_sel:DWORD dst_unused:UNUSED_PAD src0_sel:WORD_1
	v_pk_mul_f16 v31, v28, v52 op_sel_hi:[0,1]
	v_pk_mul_f16 v28, v28, v47 op_sel_hi:[0,1]
	s_waitcnt lgkmcnt(0)
	v_perm_b32 v35, v60, v62, s8
	v_perm_b32 v34, v49, v48, s8
	v_fmac_f32_e32 v30, v17, v16
	v_mfma_f32_16x16x16f16 v[16:19], v[22:23], v[32:33], v[18:21]
	v_cvt_f32_f16_e32 v22, v28
	v_cvt_f32_f16_sdwa v23, v28 dst_sel:DWORD dst_unused:UNUSED_PAD src0_sel:WORD_1
	ds_bpermute_b32 v28, v29, v30
	s_waitcnt lgkmcnt(0)
	s_barrier
	s_nop 1
	v_cvt_f32_f16_e32 v20, v31
	v_cvt_f32_f16_sdwa v21, v31 dst_sel:DWORD dst_unused:UNUSED_PAD src0_sel:WORD_1
	v_add_f32_e32 v28, v30, v28
	ds_bpermute_b32 v30, v27, v28
	v_mfma_f32_16x16x16f16 v[20:23], v[34:35], v[32:33], v[20:23]
	s_waitcnt lgkmcnt(0)
	s_and_saveexec_b64 s[6:7], s[4:5]
	s_cbranch_execz .LBB14_253
; %bb.252:
	v_add_f32_e32 v28, v28, v30
	v_or_b32_e32 v30, v59, v44
	s_movk_i32 s8, 0xd0
	v_mad_u32_u24 v30, v30, s8, 0
	ds_write2_b32 v30, v26, v28 offset0:48 offset1:49
.LBB14_253:
	s_or_b64 exec, exec, s[6:7]
	v_cmp_eq_u32_e32 vcc, 0, v63
	v_cmp_ne_u32_e64 s[6:7], 0, v63
	s_waitcnt lgkmcnt(0)
	s_barrier
	s_and_saveexec_b64 s[8:9], s[6:7]
	s_xor_b64 s[6:7], exec, s[8:9]
	s_cbranch_execz .LBB14_255
; %bb.254:
	s_barrier
	s_waitcnt lgkmcnt(0)
                                        ; implicit-def: $vgpr44
                                        ; implicit-def: $vgpr29
                                        ; implicit-def: $vgpr27
                                        ; implicit-def: $vgpr61
.LBB14_255:
	s_andn2_saveexec_b64 s[8:9], s[6:7]
	s_cbranch_execz .LBB14_259
; %bb.256:
	v_add_u32_e32 v26, v59, v44
	s_movk_i32 s6, 0xd0
	v_mad_u32_u24 v32, v26, s6, 0
	ds_read_b64 v[30:31], v32 offset:192
	s_mov_b32 s6, 0x3fb8aa3b
	s_mov_b32 s10, 0x42b17218
	;; [unrolled: 1-line block ×3, first 2 shown]
	s_waitcnt lgkmcnt(0)
	ds_bpermute_b32 v26, v29, v30
	v_max_f32_e32 v28, v30, v30
	s_barrier
	s_waitcnt lgkmcnt(0)
	v_max_f32_e32 v26, v26, v26
	v_max_f32_e32 v26, v28, v26
	ds_bpermute_b32 v28, v27, v26
	s_waitcnt lgkmcnt(0)
	v_max_f32_e32 v28, v28, v28
	v_max_f32_e32 v26, v26, v28
	v_sub_f32_e32 v28, v30, v26
	v_mul_f32_e32 v30, 0x3fb8aa3b, v28
	v_fma_f32 v33, v28, s6, -v30
	v_rndne_f32_e32 v34, v30
	v_fmac_f32_e32 v33, 0x32a5705f, v28
	v_sub_f32_e32 v30, v30, v34
	v_add_f32_e32 v30, v30, v33
	v_cvt_i32_f32_e32 v34, v34
	v_exp_f32_e32 v30, v30
	s_mov_b32 s6, 0xc2ce8ed0
	v_cmp_ngt_f32_e64 s[6:7], s6, v28
	v_mov_b32_e32 v33, 0x7f800000
	v_ldexp_f32 v30, v30, v34
	v_cndmask_b32_e64 v30, 0, v30, s[6:7]
	v_cmp_nlt_f32_e64 s[6:7], s10, v28
	v_cndmask_b32_e64 v28, v33, v30, s[6:7]
	v_mul_f32_e32 v30, v31, v28
	ds_bpermute_b32 v29, v29, v30
	s_waitcnt lgkmcnt(0)
	v_fmac_f32_e32 v29, v31, v28
	ds_bpermute_b32 v27, v27, v29
	s_waitcnt lgkmcnt(0)
	v_add_f32_e32 v29, v29, v27
	ds_write_b64 v32, v[28:29] offset:192
	s_and_saveexec_b64 s[6:7], s[4:5]
	s_cbranch_execz .LBB14_258
; %bb.257:
	s_add_i32 s4, s60, s61
	s_lshl_b32 s10, s4, 4
	s_lshl_b64 s[4:5], s[10:11], 3
	s_add_u32 s4, s54, s4
	v_or_b32_e32 v27, v61, v44
	s_addc_u32 s5, s55, s5
	v_lshlrev_b32_e32 v28, 3, v27
	v_mov_b32_e32 v27, v29
	global_store_dwordx2 v28, v[26:27], s[4:5]
.LBB14_258:
	s_or_b64 exec, exec, s[6:7]
.LBB14_259:
	s_or_b64 exec, exec, s[8:9]
	v_cvt_f16_f32_e32 v0, v0
	v_cvt_f16_f32_e32 v1, v1
	;; [unrolled: 1-line block ×8, first 2 shown]
	v_pack_b32_f16 v2, v2, v3
	v_pack_b32_f16 v0, v0, v1
	;; [unrolled: 1-line block ×4, first 2 shown]
	v_cvt_f16_f32_e32 v4, v8
	v_cvt_f16_f32_e32 v5, v9
	;; [unrolled: 1-line block ×8, first 2 shown]
	v_pack_b32_f16 v6, v6, v7
	v_pack_b32_f16 v4, v4, v5
	;; [unrolled: 1-line block ×4, first 2 shown]
	v_cvt_f16_f32_e32 v10, v18
	v_cvt_f16_f32_e32 v11, v19
	;; [unrolled: 1-line block ×8, first 2 shown]
	v_pack_b32_f16 v10, v10, v11
	v_pack_b32_f16 v11, v12, v15
	v_or_b32_e32 v12, v59, v25
	v_mad_u32_u24 v12, v12, 52, v46
	s_mov_b32 s7, 0
	v_lshl_add_u32 v12, v12, 2, 0
	v_pack_b32_f16 v8, v8, v9
	v_pack_b32_f16 v9, v13, v14
	ds_write2_b32 v12, v0, v2 offset1:1
	ds_write2_b32 v12, v3, v1 offset0:8 offset1:9
	ds_write2_b32 v12, v4, v6 offset0:16 offset1:17
	;; [unrolled: 1-line block ×5, first 2 shown]
	s_waitcnt lgkmcnt(0)
	s_barrier
	s_and_saveexec_b64 s[4:5], vcc
	s_cbranch_execz .LBB14_261
; %bb.260:
	s_mul_i32 s6, s61, 0x300
	s_lshl_b64 s[8:9], s[6:7], 3
	s_add_u32 s8, s54, s8
	s_addc_u32 s9, s55, s9
	s_lshl_b32 s6, s60, 5
	v_lshrrev_b32_e32 v0, 1, v45
	s_lshl_b64 s[6:7], s[6:7], 3
	v_add_u32_e32 v12, v43, v0
	s_add_u32 s6, s8, s6
	v_lshlrev_b32_e32 v0, 2, v12
	v_and_b32_e32 v1, 15, v12
	s_movk_i32 s8, 0xfc0
	v_and_or_b32 v0, v0, s8, v1
	s_movk_i32 s8, 0xd0
	v_mad_u32_u24 v2, v0, s8, 0
	v_lshlrev_b32_e32 v14, 2, v24
	v_add_u32_e32 v6, v2, v14
	ds_read2st64_b32 v[0:1], v6 offset1:13
	v_add_u32_e32 v4, 0xc0, v2
	ds_read2st64_b32 v[2:3], v4 offset1:13
	ds_read2st64_b32 v[4:5], v4 offset0:26 offset1:39
	ds_read2st64_b32 v[6:7], v6 offset0:26 offset1:39
	s_addc_u32 s7, s9, s7
	s_movk_i32 s9, 0x1fc0
	s_waitcnt lgkmcnt(3)
	v_cvt_f32_f16_e32 v8, v0
	v_cvt_f32_f16_sdwa v9, v0 dst_sel:DWORD dst_unused:UNUSED_PAD src0_sel:WORD_1
	v_cvt_f32_f16_e32 v0, v1
	v_cvt_f32_f16_sdwa v1, v1 dst_sel:DWORD dst_unused:UNUSED_PAD src0_sel:WORD_1
	s_waitcnt lgkmcnt(0)
	v_cvt_f32_f16_e32 v10, v6
	v_cvt_f32_f16_sdwa v11, v6 dst_sel:DWORD dst_unused:UNUSED_PAD src0_sel:WORD_1
	v_pk_fma_f32 v[8:9], v[2:3], v[8:9], 0 op_sel_hi:[0,1,0]
	v_mov_b32_e32 v2, v3
	v_pk_fma_f32 v[0:1], v[2:3], v[0:1], v[8:9] op_sel_hi:[0,1,1]
	v_pk_fma_f32 v[0:1], v[4:5], v[10:11], v[0:1] op_sel_hi:[0,1,1]
	v_mov_b32_e32 v4, v5
	v_add_u32_e32 v5, 2, v12
	v_cvt_f32_f16_e32 v2, v7
	v_cvt_f32_f16_sdwa v3, v7 dst_sel:DWORD dst_unused:UNUSED_PAD src0_sel:WORD_1
	v_lshlrev_b32_e32 v6, 2, v5
	v_and_b32_e32 v5, 15, v5
	v_and_or_b32 v5, v6, s9, v5
	v_mad_u32_u24 v5, v5, s8, 0
	v_mul_u32_u24_e32 v13, 48, v12
	v_add_u32_e32 v8, v5, v14
	ds_read2st64_b32 v[6:7], v8 offset1:13
	v_pk_fma_f32 v[0:1], v[4:5], v[2:3], v[0:1] op_sel_hi:[0,1,1]
	v_add_lshl_u32 v13, v13, v24, 3
	v_add_u32_e32 v9, 0xc0, v5
	global_store_dwordx2 v13, v[0:1], s[6:7]
	ds_read2st64_b32 v[2:3], v9 offset1:13
	ds_read2st64_b32 v[0:1], v9 offset0:26 offset1:39
	ds_read2st64_b32 v[8:9], v8 offset0:26 offset1:39
	s_waitcnt lgkmcnt(3)
	v_cvt_f32_f16_e32 v4, v6
	v_cvt_f32_f16_sdwa v5, v6 dst_sel:DWORD dst_unused:UNUSED_PAD src0_sel:WORD_1
	v_cvt_f32_f16_e32 v6, v7
	v_cvt_f32_f16_sdwa v7, v7 dst_sel:DWORD dst_unused:UNUSED_PAD src0_sel:WORD_1
	s_waitcnt lgkmcnt(0)
	v_cvt_f32_f16_e32 v10, v8
	v_cvt_f32_f16_sdwa v11, v8 dst_sel:DWORD dst_unused:UNUSED_PAD src0_sel:WORD_1
	v_cvt_f32_f16_e32 v8, v9
	v_cvt_f32_f16_sdwa v9, v9 dst_sel:DWORD dst_unused:UNUSED_PAD src0_sel:WORD_1
	v_pk_fma_f32 v[4:5], v[2:3], v[4:5], 0 op_sel_hi:[0,1,0]
	v_mov_b32_e32 v2, v3
	v_pk_fma_f32 v[2:3], v[2:3], v[6:7], v[4:5] op_sel_hi:[0,1,1]
	v_pk_fma_f32 v[2:3], v[0:1], v[10:11], v[2:3] op_sel_hi:[0,1,1]
	v_mov_b32_e32 v0, v1
	v_pk_fma_f32 v[0:1], v[0:1], v[8:9], v[2:3] op_sel_hi:[0,1,1]
	global_store_dwordx2 v13, v[0:1], s[6:7] offset:768
	v_add_u32_e32 v0, 4, v12
	v_lshlrev_b32_e32 v1, 2, v0
	v_and_b32_e32 v0, 15, v0
	v_and_or_b32 v0, v1, s9, v0
	v_mad_u32_u24 v0, v0, s8, 0
	v_add_u32_e32 v4, 0xc0, v0
	v_add_u32_e32 v6, v0, v14
	ds_read2st64_b32 v[0:1], v6 offset1:13
	ds_read2st64_b32 v[2:3], v4 offset1:13
	ds_read2st64_b32 v[4:5], v4 offset0:26 offset1:39
	ds_read2st64_b32 v[6:7], v6 offset0:26 offset1:39
	v_add_u32_e32 v15, 0x600, v13
	s_waitcnt lgkmcnt(3)
	v_cvt_f32_f16_e32 v8, v0
	v_cvt_f32_f16_sdwa v9, v0 dst_sel:DWORD dst_unused:UNUSED_PAD src0_sel:WORD_1
	v_cvt_f32_f16_e32 v0, v1
	v_cvt_f32_f16_sdwa v1, v1 dst_sel:DWORD dst_unused:UNUSED_PAD src0_sel:WORD_1
	s_waitcnt lgkmcnt(0)
	v_cvt_f32_f16_e32 v10, v6
	v_cvt_f32_f16_sdwa v11, v6 dst_sel:DWORD dst_unused:UNUSED_PAD src0_sel:WORD_1
	v_pk_fma_f32 v[8:9], v[2:3], v[8:9], 0 op_sel_hi:[0,1,0]
	v_mov_b32_e32 v2, v3
	v_pk_fma_f32 v[0:1], v[2:3], v[0:1], v[8:9] op_sel_hi:[0,1,1]
	v_pk_fma_f32 v[0:1], v[4:5], v[10:11], v[0:1] op_sel_hi:[0,1,1]
	v_mov_b32_e32 v4, v5
	v_add_u32_e32 v5, 6, v12
	v_cvt_f32_f16_e32 v2, v7
	v_cvt_f32_f16_sdwa v3, v7 dst_sel:DWORD dst_unused:UNUSED_PAD src0_sel:WORD_1
	v_lshlrev_b32_e32 v6, 2, v5
	v_and_b32_e32 v5, 15, v5
	v_and_or_b32 v5, v6, s9, v5
	v_mad_u32_u24 v5, v5, s8, 0
	v_add_u32_e32 v8, v5, v14
	ds_read2st64_b32 v[6:7], v8 offset1:13
	v_pk_fma_f32 v[0:1], v[4:5], v[2:3], v[0:1] op_sel_hi:[0,1,1]
	global_store_dwordx2 v15, v[0:1], s[6:7]
	v_add_u32_e32 v4, 0xc0, v5
	ds_read2st64_b32 v[0:1], v4 offset1:13
	ds_read2st64_b32 v[4:5], v4 offset0:26 offset1:39
	ds_read2st64_b32 v[8:9], v8 offset0:26 offset1:39
	s_waitcnt lgkmcnt(3)
	v_cvt_f32_f16_e32 v2, v6
	v_cvt_f32_f16_sdwa v3, v6 dst_sel:DWORD dst_unused:UNUSED_PAD src0_sel:WORD_1
	v_cvt_f32_f16_e32 v6, v7
	v_cvt_f32_f16_sdwa v7, v7 dst_sel:DWORD dst_unused:UNUSED_PAD src0_sel:WORD_1
	s_waitcnt lgkmcnt(0)
	v_cvt_f32_f16_e32 v10, v8
	v_cvt_f32_f16_sdwa v11, v8 dst_sel:DWORD dst_unused:UNUSED_PAD src0_sel:WORD_1
	v_cvt_f32_f16_e32 v8, v9
	v_cvt_f32_f16_sdwa v9, v9 dst_sel:DWORD dst_unused:UNUSED_PAD src0_sel:WORD_1
	v_pk_fma_f32 v[2:3], v[0:1], v[2:3], 0 op_sel_hi:[0,1,0]
	v_mov_b32_e32 v0, v1
	v_pk_fma_f32 v[0:1], v[0:1], v[6:7], v[2:3] op_sel_hi:[0,1,1]
	v_pk_fma_f32 v[0:1], v[4:5], v[10:11], v[0:1] op_sel_hi:[0,1,1]
	v_mov_b32_e32 v2, v5
	v_add_u32_e32 v15, 0x900, v13
	v_pk_fma_f32 v[0:1], v[2:3], v[8:9], v[0:1] op_sel_hi:[0,1,1]
	global_store_dwordx2 v15, v[0:1], s[6:7]
	v_add_u32_e32 v0, 8, v12
	v_lshlrev_b32_e32 v1, 2, v0
	v_and_b32_e32 v0, 15, v0
	v_and_or_b32 v0, v1, s9, v0
	v_mad_u32_u24 v0, v0, s8, 0
	v_add_u32_e32 v4, 0xc0, v0
	v_add_u32_e32 v6, v0, v14
	ds_read2st64_b32 v[0:1], v6 offset1:13
	ds_read2st64_b32 v[2:3], v4 offset1:13
	ds_read2st64_b32 v[4:5], v4 offset0:26 offset1:39
	ds_read2st64_b32 v[6:7], v6 offset0:26 offset1:39
	v_add_u32_e32 v15, 0xc00, v13
	s_waitcnt lgkmcnt(3)
	v_cvt_f32_f16_e32 v8, v0
	v_cvt_f32_f16_sdwa v9, v0 dst_sel:DWORD dst_unused:UNUSED_PAD src0_sel:WORD_1
	v_cvt_f32_f16_e32 v0, v1
	v_cvt_f32_f16_sdwa v1, v1 dst_sel:DWORD dst_unused:UNUSED_PAD src0_sel:WORD_1
	s_waitcnt lgkmcnt(0)
	v_cvt_f32_f16_e32 v10, v6
	v_cvt_f32_f16_sdwa v11, v6 dst_sel:DWORD dst_unused:UNUSED_PAD src0_sel:WORD_1
	v_pk_fma_f32 v[8:9], v[2:3], v[8:9], 0 op_sel_hi:[0,1,0]
	v_mov_b32_e32 v2, v3
	v_pk_fma_f32 v[0:1], v[2:3], v[0:1], v[8:9] op_sel_hi:[0,1,1]
	v_pk_fma_f32 v[0:1], v[4:5], v[10:11], v[0:1] op_sel_hi:[0,1,1]
	v_mov_b32_e32 v4, v5
	v_add_u32_e32 v5, 10, v12
	v_cvt_f32_f16_e32 v2, v7
	v_cvt_f32_f16_sdwa v3, v7 dst_sel:DWORD dst_unused:UNUSED_PAD src0_sel:WORD_1
	v_lshlrev_b32_e32 v6, 2, v5
	v_and_b32_e32 v5, 15, v5
	v_and_or_b32 v5, v6, s9, v5
	v_mad_u32_u24 v5, v5, s8, 0
	v_add_u32_e32 v8, v5, v14
	ds_read2st64_b32 v[6:7], v8 offset1:13
	v_pk_fma_f32 v[0:1], v[4:5], v[2:3], v[0:1] op_sel_hi:[0,1,1]
	global_store_dwordx2 v15, v[0:1], s[6:7]
	v_add_u32_e32 v4, 0xc0, v5
	ds_read2st64_b32 v[0:1], v4 offset1:13
	ds_read2st64_b32 v[4:5], v4 offset0:26 offset1:39
	ds_read2st64_b32 v[8:9], v8 offset0:26 offset1:39
	s_waitcnt lgkmcnt(3)
	v_cvt_f32_f16_e32 v2, v6
	v_cvt_f32_f16_sdwa v3, v6 dst_sel:DWORD dst_unused:UNUSED_PAD src0_sel:WORD_1
	v_cvt_f32_f16_e32 v6, v7
	v_cvt_f32_f16_sdwa v7, v7 dst_sel:DWORD dst_unused:UNUSED_PAD src0_sel:WORD_1
	s_waitcnt lgkmcnt(0)
	v_cvt_f32_f16_e32 v10, v8
	v_cvt_f32_f16_sdwa v11, v8 dst_sel:DWORD dst_unused:UNUSED_PAD src0_sel:WORD_1
	v_cvt_f32_f16_e32 v8, v9
	v_cvt_f32_f16_sdwa v9, v9 dst_sel:DWORD dst_unused:UNUSED_PAD src0_sel:WORD_1
	v_pk_fma_f32 v[2:3], v[0:1], v[2:3], 0 op_sel_hi:[0,1,0]
	v_mov_b32_e32 v0, v1
	v_pk_fma_f32 v[0:1], v[0:1], v[6:7], v[2:3] op_sel_hi:[0,1,1]
	v_pk_fma_f32 v[0:1], v[4:5], v[10:11], v[0:1] op_sel_hi:[0,1,1]
	v_mov_b32_e32 v2, v5
	v_add_u32_e32 v15, 0xf00, v13
	v_pk_fma_f32 v[0:1], v[2:3], v[8:9], v[0:1] op_sel_hi:[0,1,1]
	global_store_dwordx2 v15, v[0:1], s[6:7]
	v_add_u32_e32 v0, 12, v12
	v_lshlrev_b32_e32 v1, 2, v0
	v_and_b32_e32 v0, 15, v0
	v_and_or_b32 v0, v1, s9, v0
	v_mad_u32_u24 v0, v0, s8, 0
	v_add_u32_e32 v4, 0xc0, v0
	v_add_u32_e32 v6, v0, v14
	ds_read2st64_b32 v[0:1], v6 offset1:13
	ds_read2st64_b32 v[2:3], v4 offset1:13
	ds_read2st64_b32 v[4:5], v4 offset0:26 offset1:39
	ds_read2st64_b32 v[6:7], v6 offset0:26 offset1:39
	v_add_u32_e32 v15, 0x1200, v13
	s_waitcnt lgkmcnt(3)
	v_cvt_f32_f16_e32 v8, v0
	v_cvt_f32_f16_sdwa v9, v0 dst_sel:DWORD dst_unused:UNUSED_PAD src0_sel:WORD_1
	v_cvt_f32_f16_e32 v0, v1
	v_cvt_f32_f16_sdwa v1, v1 dst_sel:DWORD dst_unused:UNUSED_PAD src0_sel:WORD_1
	s_waitcnt lgkmcnt(0)
	v_cvt_f32_f16_e32 v10, v6
	v_cvt_f32_f16_sdwa v11, v6 dst_sel:DWORD dst_unused:UNUSED_PAD src0_sel:WORD_1
	v_pk_fma_f32 v[8:9], v[2:3], v[8:9], 0 op_sel_hi:[0,1,0]
	v_mov_b32_e32 v2, v3
	v_pk_fma_f32 v[0:1], v[2:3], v[0:1], v[8:9] op_sel_hi:[0,1,1]
	v_pk_fma_f32 v[0:1], v[4:5], v[10:11], v[0:1] op_sel_hi:[0,1,1]
	v_mov_b32_e32 v4, v5
	v_add_u32_e32 v5, 14, v12
	v_cvt_f32_f16_e32 v2, v7
	v_cvt_f32_f16_sdwa v3, v7 dst_sel:DWORD dst_unused:UNUSED_PAD src0_sel:WORD_1
	v_lshlrev_b32_e32 v6, 2, v5
	v_and_b32_e32 v5, 15, v5
	v_and_or_b32 v5, v6, s9, v5
	v_mad_u32_u24 v5, v5, s8, 0
	v_add_u32_e32 v8, v5, v14
	ds_read2st64_b32 v[6:7], v8 offset1:13
	v_pk_fma_f32 v[0:1], v[4:5], v[2:3], v[0:1] op_sel_hi:[0,1,1]
	global_store_dwordx2 v15, v[0:1], s[6:7]
	v_add_u32_e32 v4, 0xc0, v5
	ds_read2st64_b32 v[0:1], v4 offset1:13
	ds_read2st64_b32 v[4:5], v4 offset0:26 offset1:39
	ds_read2st64_b32 v[8:9], v8 offset0:26 offset1:39
	s_waitcnt lgkmcnt(3)
	v_cvt_f32_f16_e32 v2, v6
	v_cvt_f32_f16_sdwa v3, v6 dst_sel:DWORD dst_unused:UNUSED_PAD src0_sel:WORD_1
	v_cvt_f32_f16_e32 v6, v7
	v_cvt_f32_f16_sdwa v7, v7 dst_sel:DWORD dst_unused:UNUSED_PAD src0_sel:WORD_1
	s_waitcnt lgkmcnt(0)
	v_cvt_f32_f16_e32 v10, v8
	v_cvt_f32_f16_sdwa v11, v8 dst_sel:DWORD dst_unused:UNUSED_PAD src0_sel:WORD_1
	v_cvt_f32_f16_e32 v8, v9
	v_cvt_f32_f16_sdwa v9, v9 dst_sel:DWORD dst_unused:UNUSED_PAD src0_sel:WORD_1
	v_pk_fma_f32 v[2:3], v[0:1], v[2:3], 0 op_sel_hi:[0,1,0]
	v_mov_b32_e32 v0, v1
	v_pk_fma_f32 v[0:1], v[0:1], v[6:7], v[2:3] op_sel_hi:[0,1,1]
	v_pk_fma_f32 v[0:1], v[4:5], v[10:11], v[0:1] op_sel_hi:[0,1,1]
	v_mov_b32_e32 v2, v5
	v_add_u32_e32 v12, 0x1500, v13
	v_pk_fma_f32 v[0:1], v[2:3], v[8:9], v[0:1] op_sel_hi:[0,1,1]
	v_add_u32_e32 v14, v42, v45
	global_store_dwordx2 v12, v[0:1], s[6:7]
	v_lshlrev_b32_e32 v0, 2, v14
	v_and_b32_e32 v1, 15, v14
	v_and_or_b32 v0, v0, s9, v1
	v_mad_u32_u24 v2, v0, s8, 0
	v_lshlrev_b32_e32 v15, 2, v25
	v_add_u32_e32 v4, 0xc0, v2
	v_add_u32_e32 v2, v2, v15
	;; [unrolled: 1-line block ×3, first 2 shown]
	v_mul_u32_u24_e32 v8, 48, v14
	ds_read2st64_b32 v[0:1], v4 offset1:13
	ds_read2st64_b32 v[2:3], v6 offset1:13
	ds_read2st64_b32 v[4:5], v4 offset0:26 offset1:39
	ds_read2st64_b32 v[6:7], v6 offset0:26 offset1:39
	v_add_co_u32_e32 v8, vcc, v8, v25
	v_addc_co_u32_e64 v9, s[10:11], 0, 0, vcc
	v_lshlrev_b64 v[8:9], 3, v[8:9]
	s_waitcnt lgkmcnt(2)
	v_cvt_f32_f16_e32 v10, v2
	v_cvt_f32_f16_sdwa v11, v2 dst_sel:DWORD dst_unused:UNUSED_PAD src0_sel:WORD_1
	v_mov_b32_e32 v12, s7
	v_add_co_u32_e32 v8, vcc, s6, v8
	v_cvt_f32_f16_e32 v2, v3
	v_cvt_f32_f16_sdwa v3, v3 dst_sel:DWORD dst_unused:UNUSED_PAD src0_sel:WORD_1
	v_addc_co_u32_e32 v9, vcc, v12, v9, vcc
	s_waitcnt lgkmcnt(0)
	v_cvt_f32_f16_e32 v12, v6
	v_cvt_f32_f16_sdwa v13, v6 dst_sel:DWORD dst_unused:UNUSED_PAD src0_sel:WORD_1
	v_cvt_f32_f16_e32 v6, v7
	v_cvt_f32_f16_sdwa v7, v7 dst_sel:DWORD dst_unused:UNUSED_PAD src0_sel:WORD_1
	v_pk_fma_f32 v[10:11], v[0:1], v[10:11], 0 op_sel_hi:[0,1,0]
	v_mov_b32_e32 v0, v1
	v_pk_fma_f32 v[0:1], v[0:1], v[2:3], v[10:11] op_sel_hi:[0,1,1]
	v_pk_fma_f32 v[0:1], v[4:5], v[12:13], v[0:1] op_sel_hi:[0,1,1]
	v_mov_b32_e32 v2, v5
	v_pk_fma_f32 v[0:1], v[2:3], v[6:7], v[0:1] op_sel_hi:[0,1,1]
	global_store_dwordx2 v[8:9], v[0:1], off offset:256
	v_add_u32_e32 v0, 4, v14
	v_lshlrev_b32_e32 v1, 2, v0
	v_and_b32_e32 v0, 15, v0
	s_movk_i32 s9, 0x3fc0
	v_and_or_b32 v0, v1, s9, v0
	v_mad_u32_u24 v2, v0, s8, 0
	v_add_u32_e32 v4, 0xc0, v2
	v_add_u32_e32 v2, v2, v15
	v_mov_b32_e32 v0, 0xc0
	v_add_u32_e32 v6, 0x80, v2
	v_mad_u32_u24 v8, v14, 48, v0
	ds_read2st64_b32 v[0:1], v4 offset1:13
	ds_read2st64_b32 v[2:3], v6 offset1:13
	ds_read2st64_b32 v[4:5], v4 offset0:26 offset1:39
	ds_read2st64_b32 v[6:7], v6 offset0:26 offset1:39
	v_add_co_u32_e32 v8, vcc, v8, v25
	v_addc_co_u32_e64 v9, s[10:11], 0, 0, vcc
	v_lshlrev_b64 v[8:9], 3, v[8:9]
	s_waitcnt lgkmcnt(2)
	v_cvt_f32_f16_e32 v10, v2
	v_cvt_f32_f16_sdwa v11, v2 dst_sel:DWORD dst_unused:UNUSED_PAD src0_sel:WORD_1
	v_mov_b32_e32 v12, s7
	v_add_co_u32_e32 v8, vcc, s6, v8
	v_cvt_f32_f16_e32 v2, v3
	v_cvt_f32_f16_sdwa v3, v3 dst_sel:DWORD dst_unused:UNUSED_PAD src0_sel:WORD_1
	v_addc_co_u32_e32 v9, vcc, v12, v9, vcc
	s_waitcnt lgkmcnt(0)
	v_cvt_f32_f16_e32 v12, v6
	v_cvt_f32_f16_sdwa v13, v6 dst_sel:DWORD dst_unused:UNUSED_PAD src0_sel:WORD_1
	v_cvt_f32_f16_e32 v6, v7
	v_cvt_f32_f16_sdwa v7, v7 dst_sel:DWORD dst_unused:UNUSED_PAD src0_sel:WORD_1
	v_pk_fma_f32 v[10:11], v[0:1], v[10:11], 0 op_sel_hi:[0,1,0]
	v_mov_b32_e32 v0, v1
	v_pk_fma_f32 v[0:1], v[0:1], v[2:3], v[10:11] op_sel_hi:[0,1,1]
	v_pk_fma_f32 v[0:1], v[4:5], v[12:13], v[0:1] op_sel_hi:[0,1,1]
	v_mov_b32_e32 v2, v5
	v_pk_fma_f32 v[0:1], v[2:3], v[6:7], v[0:1] op_sel_hi:[0,1,1]
	global_store_dwordx2 v[8:9], v[0:1], off offset:256
	v_add_u32_e32 v0, 8, v14
	v_lshlrev_b32_e32 v1, 2, v0
	v_and_b32_e32 v0, 15, v0
	v_and_or_b32 v0, v1, s9, v0
	v_mad_u32_u24 v2, v0, s8, 0
	v_add_u32_e32 v4, 0xc0, v2
	v_add_u32_e32 v2, v2, v15
	v_mov_b32_e32 v0, 0x180
	v_add_u32_e32 v6, 0x80, v2
	v_mad_u32_u24 v8, v14, 48, v0
	ds_read2st64_b32 v[0:1], v4 offset1:13
	ds_read2st64_b32 v[2:3], v6 offset1:13
	ds_read2st64_b32 v[4:5], v4 offset0:26 offset1:39
	ds_read2st64_b32 v[6:7], v6 offset0:26 offset1:39
	v_add_co_u32_e32 v8, vcc, v8, v25
	v_addc_co_u32_e64 v9, s[10:11], 0, 0, vcc
	v_lshlrev_b64 v[8:9], 3, v[8:9]
	s_waitcnt lgkmcnt(2)
	v_cvt_f32_f16_e32 v10, v2
	v_cvt_f32_f16_sdwa v11, v2 dst_sel:DWORD dst_unused:UNUSED_PAD src0_sel:WORD_1
	v_mov_b32_e32 v12, s7
	v_add_co_u32_e32 v8, vcc, s6, v8
	v_cvt_f32_f16_e32 v2, v3
	v_cvt_f32_f16_sdwa v3, v3 dst_sel:DWORD dst_unused:UNUSED_PAD src0_sel:WORD_1
	v_addc_co_u32_e32 v9, vcc, v12, v9, vcc
	s_waitcnt lgkmcnt(0)
	v_cvt_f32_f16_e32 v12, v6
	v_cvt_f32_f16_sdwa v13, v6 dst_sel:DWORD dst_unused:UNUSED_PAD src0_sel:WORD_1
	v_cvt_f32_f16_e32 v6, v7
	v_cvt_f32_f16_sdwa v7, v7 dst_sel:DWORD dst_unused:UNUSED_PAD src0_sel:WORD_1
	v_pk_fma_f32 v[10:11], v[0:1], v[10:11], 0 op_sel_hi:[0,1,0]
	v_mov_b32_e32 v0, v1
	v_pk_fma_f32 v[0:1], v[0:1], v[2:3], v[10:11] op_sel_hi:[0,1,1]
	v_pk_fma_f32 v[0:1], v[4:5], v[12:13], v[0:1] op_sel_hi:[0,1,1]
	v_mov_b32_e32 v2, v5
	v_pk_fma_f32 v[0:1], v[2:3], v[6:7], v[0:1] op_sel_hi:[0,1,1]
	global_store_dwordx2 v[8:9], v[0:1], off offset:256
	v_add_u32_e32 v0, 12, v14
	v_lshlrev_b32_e32 v1, 2, v0
	v_and_b32_e32 v0, 15, v0
	v_and_or_b32 v0, v1, s9, v0
	v_mad_u32_u24 v2, v0, s8, 0
	v_add_u32_e32 v4, 0xc0, v2
	v_add_u32_e32 v2, v2, v15
	v_mov_b32_e32 v0, 0x240
	v_add_u32_e32 v6, 0x80, v2
	v_mad_u32_u24 v8, v14, 48, v0
	ds_read2st64_b32 v[0:1], v4 offset1:13
	ds_read2st64_b32 v[2:3], v6 offset1:13
	ds_read2st64_b32 v[4:5], v4 offset0:26 offset1:39
	ds_read2st64_b32 v[6:7], v6 offset0:26 offset1:39
	v_add_co_u32_e32 v8, vcc, v8, v25
	v_addc_co_u32_e64 v9, s[8:9], 0, 0, vcc
	v_lshlrev_b64 v[8:9], 3, v[8:9]
	s_waitcnt lgkmcnt(2)
	v_cvt_f32_f16_e32 v10, v2
	v_cvt_f32_f16_sdwa v11, v2 dst_sel:DWORD dst_unused:UNUSED_PAD src0_sel:WORD_1
	v_mov_b32_e32 v12, s7
	v_add_co_u32_e32 v8, vcc, s6, v8
	v_cvt_f32_f16_e32 v2, v3
	v_cvt_f32_f16_sdwa v3, v3 dst_sel:DWORD dst_unused:UNUSED_PAD src0_sel:WORD_1
	v_addc_co_u32_e32 v9, vcc, v12, v9, vcc
	s_waitcnt lgkmcnt(0)
	v_cvt_f32_f16_e32 v12, v6
	v_cvt_f32_f16_sdwa v13, v6 dst_sel:DWORD dst_unused:UNUSED_PAD src0_sel:WORD_1
	v_cvt_f32_f16_e32 v6, v7
	v_cvt_f32_f16_sdwa v7, v7 dst_sel:DWORD dst_unused:UNUSED_PAD src0_sel:WORD_1
	v_pk_fma_f32 v[10:11], v[0:1], v[10:11], 0 op_sel_hi:[0,1,0]
	v_mov_b32_e32 v0, v1
	v_pk_fma_f32 v[0:1], v[0:1], v[2:3], v[10:11] op_sel_hi:[0,1,1]
	v_pk_fma_f32 v[0:1], v[4:5], v[12:13], v[0:1] op_sel_hi:[0,1,1]
	v_mov_b32_e32 v2, v5
	v_pk_fma_f32 v[0:1], v[2:3], v[6:7], v[0:1] op_sel_hi:[0,1,1]
	global_store_dwordx2 v[8:9], v[0:1], off offset:256
.LBB14_261:
	s_or_b64 exec, exec, s[4:5]
	s_barrier
	s_endpgm
	.section	.rodata,"a",@progbits
	.p2align	6, 0x0
	.amdhsa_kernel _ZL18flash_attn_ext_f16ILi96ELi96ELi16ELi1ELb0ELb0EEvPKcS1_S1_S1_S1_PKiPfP15HIP_vector_typeIfLj2EEffffjfiS5_IjLj3EEiiiiiiiiiiiliiliiiiil
		.amdhsa_group_segment_fixed_size 0
		.amdhsa_private_segment_fixed_size 32
		.amdhsa_kernarg_size 464
		.amdhsa_user_sgpr_count 8
		.amdhsa_user_sgpr_private_segment_buffer 1
		.amdhsa_user_sgpr_dispatch_ptr 0
		.amdhsa_user_sgpr_queue_ptr 0
		.amdhsa_user_sgpr_kernarg_segment_ptr 1
		.amdhsa_user_sgpr_dispatch_id 0
		.amdhsa_user_sgpr_flat_scratch_init 1
		.amdhsa_user_sgpr_kernarg_preload_length 0
		.amdhsa_user_sgpr_kernarg_preload_offset 0
		.amdhsa_user_sgpr_private_segment_size 0
		.amdhsa_uses_dynamic_stack 0
		.amdhsa_system_sgpr_private_segment_wavefront_offset 1
		.amdhsa_system_sgpr_workgroup_id_x 1
		.amdhsa_system_sgpr_workgroup_id_y 0
		.amdhsa_system_sgpr_workgroup_id_z 0
		.amdhsa_system_sgpr_workgroup_info 0
		.amdhsa_system_vgpr_workitem_id 1
		.amdhsa_next_free_vgpr 180
		.amdhsa_next_free_sgpr 100
		.amdhsa_accum_offset 180
		.amdhsa_reserve_vcc 1
		.amdhsa_reserve_flat_scratch 1
		.amdhsa_float_round_mode_32 0
		.amdhsa_float_round_mode_16_64 0
		.amdhsa_float_denorm_mode_32 3
		.amdhsa_float_denorm_mode_16_64 3
		.amdhsa_dx10_clamp 1
		.amdhsa_ieee_mode 1
		.amdhsa_fp16_overflow 0
		.amdhsa_tg_split 0
		.amdhsa_exception_fp_ieee_invalid_op 0
		.amdhsa_exception_fp_denorm_src 0
		.amdhsa_exception_fp_ieee_div_zero 0
		.amdhsa_exception_fp_ieee_overflow 0
		.amdhsa_exception_fp_ieee_underflow 0
		.amdhsa_exception_fp_ieee_inexact 0
		.amdhsa_exception_int_div_zero 0
	.end_amdhsa_kernel
	.section	.text._ZL18flash_attn_ext_f16ILi96ELi96ELi16ELi1ELb0ELb0EEvPKcS1_S1_S1_S1_PKiPfP15HIP_vector_typeIfLj2EEffffjfiS5_IjLj3EEiiiiiiiiiiiliiliiiiil,"axG",@progbits,_ZL18flash_attn_ext_f16ILi96ELi96ELi16ELi1ELb0ELb0EEvPKcS1_S1_S1_S1_PKiPfP15HIP_vector_typeIfLj2EEffffjfiS5_IjLj3EEiiiiiiiiiiiliiliiiiil,comdat
.Lfunc_end14:
	.size	_ZL18flash_attn_ext_f16ILi96ELi96ELi16ELi1ELb0ELb0EEvPKcS1_S1_S1_S1_PKiPfP15HIP_vector_typeIfLj2EEffffjfiS5_IjLj3EEiiiiiiiiiiiliiliiiiil, .Lfunc_end14-_ZL18flash_attn_ext_f16ILi96ELi96ELi16ELi1ELb0ELb0EEvPKcS1_S1_S1_S1_PKiPfP15HIP_vector_typeIfLj2EEffffjfiS5_IjLj3EEiiiiiiiiiiiliiliiiiil
                                        ; -- End function
	.section	.AMDGPU.csdata,"",@progbits
; Kernel info:
; codeLenInByte = 40352
; NumSgprs: 106
; NumVgprs: 180
; NumAgprs: 0
; TotalNumVgprs: 180
; ScratchSize: 32
; MemoryBound: 0
; FloatMode: 240
; IeeeMode: 1
; LDSByteSize: 0 bytes/workgroup (compile time only)
; SGPRBlocks: 13
; VGPRBlocks: 22
; NumSGPRsForWavesPerEU: 106
; NumVGPRsForWavesPerEU: 180
; AccumOffset: 180
; Occupancy: 2
; WaveLimiterHint : 1
; COMPUTE_PGM_RSRC2:SCRATCH_EN: 1
; COMPUTE_PGM_RSRC2:USER_SGPR: 8
; COMPUTE_PGM_RSRC2:TRAP_HANDLER: 0
; COMPUTE_PGM_RSRC2:TGID_X_EN: 1
; COMPUTE_PGM_RSRC2:TGID_Y_EN: 0
; COMPUTE_PGM_RSRC2:TGID_Z_EN: 0
; COMPUTE_PGM_RSRC2:TIDIG_COMP_CNT: 1
; COMPUTE_PGM_RSRC3_GFX90A:ACCUM_OFFSET: 44
; COMPUTE_PGM_RSRC3_GFX90A:TG_SPLIT: 0
	.section	.text._ZL18flash_attn_ext_f16ILi96ELi96ELi16ELi1ELb1ELb0EEvPKcS1_S1_S1_S1_PKiPfP15HIP_vector_typeIfLj2EEffffjfiS5_IjLj3EEiiiiiiiiiiiliiliiiiil,"axG",@progbits,_ZL18flash_attn_ext_f16ILi96ELi96ELi16ELi1ELb1ELb0EEvPKcS1_S1_S1_S1_PKiPfP15HIP_vector_typeIfLj2EEffffjfiS5_IjLj3EEiiiiiiiiiiiliiliiiiil,comdat
	.globl	_ZL18flash_attn_ext_f16ILi96ELi96ELi16ELi1ELb1ELb0EEvPKcS1_S1_S1_S1_PKiPfP15HIP_vector_typeIfLj2EEffffjfiS5_IjLj3EEiiiiiiiiiiiliiliiiiil ; -- Begin function _ZL18flash_attn_ext_f16ILi96ELi96ELi16ELi1ELb1ELb0EEvPKcS1_S1_S1_S1_PKiPfP15HIP_vector_typeIfLj2EEffffjfiS5_IjLj3EEiiiiiiiiiiiliiliiiiil
	.p2align	8
	.type	_ZL18flash_attn_ext_f16ILi96ELi96ELi16ELi1ELb1ELb0EEvPKcS1_S1_S1_S1_PKiPfP15HIP_vector_typeIfLj2EEffffjfiS5_IjLj3EEiiiiiiiiiiiliiliiiiil,@function
_ZL18flash_attn_ext_f16ILi96ELi96ELi16ELi1ELb1ELb0EEvPKcS1_S1_S1_S1_PKiPfP15HIP_vector_typeIfLj2EEffffjfiS5_IjLj3EEiiiiiiiiiiiliiliiiiil: ; @_ZL18flash_attn_ext_f16ILi96ELi96ELi16ELi1ELb1ELb0EEvPKcS1_S1_S1_S1_PKiPfP15HIP_vector_typeIfLj2EEffffjfiS5_IjLj3EEiiiiiiiiiiiliiliiiiil
; %bb.0:
	s_add_u32 flat_scratch_lo, s6, s9
	s_addc_u32 flat_scratch_hi, s7, 0
	s_add_u32 s0, s0, s9
	s_addc_u32 s1, s1, 0
	s_add_u32 s8, s4, 0xd0
	s_addc_u32 s9, s5, 0
	s_mov_b32 s32, 0
	s_getpc_b64 s[4:5]
	s_add_u32 s4, s4, _ZL14no_device_codePKciS0_iS0_@rel32@lo+4
	s_addc_u32 s5, s5, _ZL14no_device_codePKciS0_iS0_@rel32@hi+12
	s_swappc_b64 s[30:31], s[4:5]
	.section	.rodata,"a",@progbits
	.p2align	6, 0x0
	.amdhsa_kernel _ZL18flash_attn_ext_f16ILi96ELi96ELi16ELi1ELb1ELb0EEvPKcS1_S1_S1_S1_PKiPfP15HIP_vector_typeIfLj2EEffffjfiS5_IjLj3EEiiiiiiiiiiiliiliiiiil
		.amdhsa_group_segment_fixed_size 0
		.amdhsa_private_segment_fixed_size 16
		.amdhsa_kernarg_size 464
		.amdhsa_user_sgpr_count 8
		.amdhsa_user_sgpr_private_segment_buffer 1
		.amdhsa_user_sgpr_dispatch_ptr 0
		.amdhsa_user_sgpr_queue_ptr 0
		.amdhsa_user_sgpr_kernarg_segment_ptr 1
		.amdhsa_user_sgpr_dispatch_id 0
		.amdhsa_user_sgpr_flat_scratch_init 1
		.amdhsa_user_sgpr_kernarg_preload_length 0
		.amdhsa_user_sgpr_kernarg_preload_offset 0
		.amdhsa_user_sgpr_private_segment_size 0
		.amdhsa_uses_dynamic_stack 0
		.amdhsa_system_sgpr_private_segment_wavefront_offset 1
		.amdhsa_system_sgpr_workgroup_id_x 1
		.amdhsa_system_sgpr_workgroup_id_y 0
		.amdhsa_system_sgpr_workgroup_id_z 0
		.amdhsa_system_sgpr_workgroup_info 0
		.amdhsa_system_vgpr_workitem_id 0
		.amdhsa_next_free_vgpr 39
		.amdhsa_next_free_sgpr 34
		.amdhsa_accum_offset 40
		.amdhsa_reserve_vcc 1
		.amdhsa_reserve_flat_scratch 1
		.amdhsa_float_round_mode_32 0
		.amdhsa_float_round_mode_16_64 0
		.amdhsa_float_denorm_mode_32 3
		.amdhsa_float_denorm_mode_16_64 3
		.amdhsa_dx10_clamp 1
		.amdhsa_ieee_mode 1
		.amdhsa_fp16_overflow 0
		.amdhsa_tg_split 0
		.amdhsa_exception_fp_ieee_invalid_op 0
		.amdhsa_exception_fp_denorm_src 0
		.amdhsa_exception_fp_ieee_div_zero 0
		.amdhsa_exception_fp_ieee_overflow 0
		.amdhsa_exception_fp_ieee_underflow 0
		.amdhsa_exception_fp_ieee_inexact 0
		.amdhsa_exception_int_div_zero 0
	.end_amdhsa_kernel
	.section	.text._ZL18flash_attn_ext_f16ILi96ELi96ELi16ELi1ELb1ELb0EEvPKcS1_S1_S1_S1_PKiPfP15HIP_vector_typeIfLj2EEffffjfiS5_IjLj3EEiiiiiiiiiiiliiliiiiil,"axG",@progbits,_ZL18flash_attn_ext_f16ILi96ELi96ELi16ELi1ELb1ELb0EEvPKcS1_S1_S1_S1_PKiPfP15HIP_vector_typeIfLj2EEffffjfiS5_IjLj3EEiiiiiiiiiiiliiliiiiil,comdat
.Lfunc_end15:
	.size	_ZL18flash_attn_ext_f16ILi96ELi96ELi16ELi1ELb1ELb0EEvPKcS1_S1_S1_S1_PKiPfP15HIP_vector_typeIfLj2EEffffjfiS5_IjLj3EEiiiiiiiiiiiliiliiiiil, .Lfunc_end15-_ZL18flash_attn_ext_f16ILi96ELi96ELi16ELi1ELb1ELb0EEvPKcS1_S1_S1_S1_PKiPfP15HIP_vector_typeIfLj2EEffffjfiS5_IjLj3EEiiiiiiiiiiiliiliiiiil
                                        ; -- End function
	.section	.AMDGPU.csdata,"",@progbits
; Kernel info:
; codeLenInByte = 56
; NumSgprs: 40
; NumVgprs: 39
; NumAgprs: 0
; TotalNumVgprs: 39
; ScratchSize: 16
; MemoryBound: 0
; FloatMode: 240
; IeeeMode: 1
; LDSByteSize: 0 bytes/workgroup (compile time only)
; SGPRBlocks: 4
; VGPRBlocks: 4
; NumSGPRsForWavesPerEU: 40
; NumVGPRsForWavesPerEU: 39
; AccumOffset: 40
; Occupancy: 8
; WaveLimiterHint : 1
; COMPUTE_PGM_RSRC2:SCRATCH_EN: 1
; COMPUTE_PGM_RSRC2:USER_SGPR: 8
; COMPUTE_PGM_RSRC2:TRAP_HANDLER: 0
; COMPUTE_PGM_RSRC2:TGID_X_EN: 1
; COMPUTE_PGM_RSRC2:TGID_Y_EN: 0
; COMPUTE_PGM_RSRC2:TGID_Z_EN: 0
; COMPUTE_PGM_RSRC2:TIDIG_COMP_CNT: 0
; COMPUTE_PGM_RSRC3_GFX90A:ACCUM_OFFSET: 9
; COMPUTE_PGM_RSRC3_GFX90A:TG_SPLIT: 0
	.section	.text._ZL33flash_attn_stream_k_fixup_uniformILi96ELi16ELi1EEvPfPK15HIP_vector_typeIfLj2EEiiiiiiS1_IjLj3EES5_S5_,"axG",@progbits,_ZL33flash_attn_stream_k_fixup_uniformILi96ELi16ELi1EEvPfPK15HIP_vector_typeIfLj2EEiiiiiiS1_IjLj3EES5_S5_,comdat
	.globl	_ZL33flash_attn_stream_k_fixup_uniformILi96ELi16ELi1EEvPfPK15HIP_vector_typeIfLj2EEiiiiiiS1_IjLj3EES5_S5_ ; -- Begin function _ZL33flash_attn_stream_k_fixup_uniformILi96ELi16ELi1EEvPfPK15HIP_vector_typeIfLj2EEiiiiiiS1_IjLj3EES5_S5_
	.p2align	8
	.type	_ZL33flash_attn_stream_k_fixup_uniformILi96ELi16ELi1EEvPfPK15HIP_vector_typeIfLj2EEiiiiiiS1_IjLj3EES5_S5_,@function
_ZL33flash_attn_stream_k_fixup_uniformILi96ELi16ELi1EEvPfPK15HIP_vector_typeIfLj2EEiiiiiiS1_IjLj3EES5_S5_: ; @_ZL33flash_attn_stream_k_fixup_uniformILi96ELi16ELi1EEvPfPK15HIP_vector_typeIfLj2EEiiiiiiS1_IjLj3EES5_S5_
; %bb.0:
	s_load_dwordx8 s[12:19], s[4:5], 0x1c
	s_load_dwordx2 s[10:11], s[4:5], 0x10
	s_load_dwordx4 s[0:3], s[4:5], 0x3c
	s_waitcnt lgkmcnt(0)
	s_mul_hi_u32 s9, s15, s6
	s_add_i32 s9, s6, s9
	s_lshr_b32 s9, s9, s16
	s_mul_i32 s15, s9, s17
	s_sub_i32 s16, s6, s15
	s_mul_hi_u32 s15, s16, s18
	s_add_i32 s15, s16, s15
	s_lshr_b32 s15, s15, s19
	s_mul_i32 s0, s15, s0
	s_sub_i32 s0, s16, s0
	;; [unrolled: 5-line block ×3, first 2 shown]
	s_lshl_b32 s0, s16, 4
	s_add_i32 s0, s0, s7
	s_cmp_lt_i32 s0, s10
	s_cselect_b64 s[0:1], -1, 0
	s_add_i32 s17, s17, s8
	s_cmp_lt_i32 s17, s13
	s_cselect_b64 s[2:3], -1, 0
	s_and_b64 s[0:1], s[0:1], s[2:3]
	s_andn2_b64 vcc, exec, s[0:1]
	s_cbranch_vccnz .LBB16_6
; %bb.1:
	s_load_dwordx4 s[0:3], s[4:5], 0x0
	s_mul_i32 s4, s9, s10
	s_mul_i32 s15, s15, s13
	s_add_i32 s4, s4, s7
	s_mul_i32 s4, s4, s11
	s_add_i32 s9, s17, s15
	;; [unrolled: 2-line block ×3, first 2 shown]
	s_mulk_i32 s5, 0x600
	s_mulk_i32 s4, 0x60
	s_add_i32 s4, s4, s5
	v_add_u32_e32 v2, s4, v0
	v_ashrrev_i32_e32 v3, 31, v2
	v_lshlrev_b64 v[2:3], 2, v[2:3]
	s_waitcnt lgkmcnt(0)
	v_mov_b32_e32 v1, s1
	v_add_co_u32_e32 v2, vcc, s0, v2
	v_addc_co_u32_e32 v3, vcc, v1, v3, vcc
	global_load_dword v8, v[2:3], off
	s_add_i32 s4, s7, s8
	s_mul_i32 s7, s6, s14
	s_add_i32 s5, s7, s14
	s_lshl_b32 s0, s5, 4
	s_add_i32 s0, s4, s0
	s_add_i32 s0, s0, -16
	s_ashr_i32 s1, s0, 31
	s_lshl_b64 s[0:1], s[0:1], 3
	s_add_u32 s0, s2, s0
	s_addc_u32 s1, s3, s1
	s_load_dword s10, s[0:1], 0x4
	s_add_i32 s8, s5, -2
	s_cmp_lt_i32 s8, s7
	s_cbranch_scc1 .LBB16_4
; %bb.2:
	s_lshl_b32 s8, s12, 6
	s_ashr_i32 s9, s8, 31
	s_lshl_b64 s[8:9], s[8:9], 2
	s_add_u32 s8, s2, s8
	s_addc_u32 s11, s3, s9
	s_load_dword s0, s[0:1], 0x0
	s_add_i32 s6, s6, 1
	s_add_i32 s9, s5, -1
	s_mul_i32 s5, s14, s6
	s_mul_i32 s1, s4, 0x60
	s_lshl_b32 s6, s5, 4
	s_mulk_i32 s5, 0x600
	s_add_i32 s4, s4, s6
	s_lshl_b32 s6, s12, 4
	s_add_i32 s1, s1, s5
	s_add_i32 s4, s4, s6
	v_add_u32_e32 v0, s1, v0
	s_sub_i32 s4, s4, 32
	v_add_u32_e32 v0, 0xfffff400, v0
	s_waitcnt lgkmcnt(0)
	v_mov_b32_e32 v7, s10
	v_mov_b32_e32 v6, s0
	;; [unrolled: 1-line block ×3, first 2 shown]
	s_mov_b32 s6, 0x3fb8aa3b
	s_mov_b32 s10, 0xc2ce8ed0
	;; [unrolled: 1-line block ×3, first 2 shown]
	v_mov_b32_e32 v5, 0x7f800000
	s_mov_b32 s12, 0xc1a00000
.LBB16_3:                               ; =>This Inner Loop Header: Depth=1
	v_ashrrev_i32_e32 v1, 31, v0
	v_lshlrev_b64 v[10:11], 2, v[0:1]
	v_add_co_u32_e32 v10, vcc, s8, v10
	v_addc_co_u32_e32 v11, vcc, v4, v11, vcc
	global_load_dword v1, v[10:11], off
	s_ashr_i32 s5, s4, 31
	s_lshl_b64 s[0:1], s[4:5], 3
	s_add_u32 s0, s2, s0
	s_addc_u32 s1, s3, s1
	s_load_dwordx2 s[14:15], s[0:1], 0x0
	s_waitcnt vmcnt(1)
	v_mov_b32_e32 v9, v8
	v_max_f32_e32 v8, v6, v6
	v_mov_b32_e32 v10, v7
	s_add_i32 s9, s9, -1
	s_waitcnt lgkmcnt(0)
	v_max_f32_e64 v7, s14, s14
	v_max_f32_e32 v7, v8, v7
	v_sub_f32_e32 v11, s14, v7
	v_sub_f32_e32 v8, v6, v7
	v_mul_f32_e32 v12, 0x3fb8aa3b, v11
	v_mov_b32_e32 v6, v7
	v_mul_f32_e32 v7, 0x3fb8aa3b, v8
	v_fma_f32 v15, v11, s6, -v12
	v_rndne_f32_e32 v16, v12
	v_fma_f32 v13, v8, s6, -v7
	v_rndne_f32_e32 v14, v7
	v_fmac_f32_e32 v15, 0x32a5705f, v11
	v_sub_f32_e32 v12, v12, v16
	v_fmac_f32_e32 v13, 0x32a5705f, v8
	v_sub_f32_e32 v7, v7, v14
	v_add_f32_e32 v12, v12, v15
	v_cvt_i32_f32_e32 v16, v16
	v_add_f32_e32 v7, v7, v13
	v_exp_f32_e32 v12, v12
	v_cvt_i32_f32_e32 v14, v14
	v_exp_f32_e32 v7, v7
	v_cmp_ngt_f32_e32 vcc, s10, v11
	v_ldexp_f32 v12, v12, v16
	v_cmp_ngt_f32_e64 s[0:1], s10, v8
	v_ldexp_f32 v7, v7, v14
	v_cndmask_b32_e32 v12, 0, v12, vcc
	v_cmp_nlt_f32_e32 vcc, s11, v11
	v_cndmask_b32_e64 v7, 0, v7, s[0:1]
	v_cmp_nlt_f32_e64 s[0:1], s11, v8
	v_cndmask_b32_e32 v12, v5, v12, vcc
	v_cmp_le_f32_e32 vcc, s12, v11
	v_cndmask_b32_e64 v7, v5, v7, s[0:1]
	v_cmp_le_f32_e64 s[0:1], s12, v8
	v_cndmask_b32_e32 v8, 0, v12, vcc
	s_add_i32 s4, s4, -16
	v_cndmask_b32_e64 v11, 0, v7, s[0:1]
	v_mul_f32_e32 v7, s15, v8
	v_add_u32_e32 v0, 0xfffffa00, v0
	s_cmp_le_i32 s9, s7
	v_fmac_f32_e32 v7, v10, v11
	s_waitcnt vmcnt(0)
	v_mul_f32_e32 v8, v1, v8
	v_fmac_f32_e32 v8, v9, v11
	s_cbranch_scc0 .LBB16_3
	s_branch .LBB16_5
.LBB16_4:
	s_waitcnt lgkmcnt(0)
	v_mov_b32_e32 v7, s10
.LBB16_5:
	s_waitcnt vmcnt(0)
	v_div_scale_f32 v0, s[0:1], v7, v7, v8
	v_rcp_f32_e32 v1, v0
	v_div_scale_f32 v4, vcc, v8, v7, v8
	v_fma_f32 v5, -v0, v1, 1.0
	v_fmac_f32_e32 v1, v5, v1
	v_mul_f32_e32 v5, v4, v1
	v_fma_f32 v6, -v0, v5, v4
	v_fmac_f32_e32 v5, v6, v1
	v_fma_f32 v0, -v0, v5, v4
	v_div_fmas_f32 v0, v0, v1, v5
	v_div_fixup_f32 v0, v0, v7, v8
	global_store_dword v[2:3], v0, off
.LBB16_6:
	s_endpgm
	.section	.rodata,"a",@progbits
	.p2align	6, 0x0
	.amdhsa_kernel _ZL33flash_attn_stream_k_fixup_uniformILi96ELi16ELi1EEvPfPK15HIP_vector_typeIfLj2EEiiiiiiS1_IjLj3EES5_S5_
		.amdhsa_group_segment_fixed_size 0
		.amdhsa_private_segment_fixed_size 0
		.amdhsa_kernarg_size 76
		.amdhsa_user_sgpr_count 6
		.amdhsa_user_sgpr_private_segment_buffer 1
		.amdhsa_user_sgpr_dispatch_ptr 0
		.amdhsa_user_sgpr_queue_ptr 0
		.amdhsa_user_sgpr_kernarg_segment_ptr 1
		.amdhsa_user_sgpr_dispatch_id 0
		.amdhsa_user_sgpr_flat_scratch_init 0
		.amdhsa_user_sgpr_kernarg_preload_length 0
		.amdhsa_user_sgpr_kernarg_preload_offset 0
		.amdhsa_user_sgpr_private_segment_size 0
		.amdhsa_uses_dynamic_stack 0
		.amdhsa_system_sgpr_private_segment_wavefront_offset 0
		.amdhsa_system_sgpr_workgroup_id_x 1
		.amdhsa_system_sgpr_workgroup_id_y 1
		.amdhsa_system_sgpr_workgroup_id_z 1
		.amdhsa_system_sgpr_workgroup_info 0
		.amdhsa_system_vgpr_workitem_id 0
		.amdhsa_next_free_vgpr 17
		.amdhsa_next_free_sgpr 20
		.amdhsa_accum_offset 20
		.amdhsa_reserve_vcc 1
		.amdhsa_reserve_flat_scratch 0
		.amdhsa_float_round_mode_32 0
		.amdhsa_float_round_mode_16_64 0
		.amdhsa_float_denorm_mode_32 3
		.amdhsa_float_denorm_mode_16_64 3
		.amdhsa_dx10_clamp 1
		.amdhsa_ieee_mode 1
		.amdhsa_fp16_overflow 0
		.amdhsa_tg_split 0
		.amdhsa_exception_fp_ieee_invalid_op 0
		.amdhsa_exception_fp_denorm_src 0
		.amdhsa_exception_fp_ieee_div_zero 0
		.amdhsa_exception_fp_ieee_overflow 0
		.amdhsa_exception_fp_ieee_underflow 0
		.amdhsa_exception_fp_ieee_inexact 0
		.amdhsa_exception_int_div_zero 0
	.end_amdhsa_kernel
	.section	.text._ZL33flash_attn_stream_k_fixup_uniformILi96ELi16ELi1EEvPfPK15HIP_vector_typeIfLj2EEiiiiiiS1_IjLj3EES5_S5_,"axG",@progbits,_ZL33flash_attn_stream_k_fixup_uniformILi96ELi16ELi1EEvPfPK15HIP_vector_typeIfLj2EEiiiiiiS1_IjLj3EES5_S5_,comdat
.Lfunc_end16:
	.size	_ZL33flash_attn_stream_k_fixup_uniformILi96ELi16ELi1EEvPfPK15HIP_vector_typeIfLj2EEiiiiiiS1_IjLj3EES5_S5_, .Lfunc_end16-_ZL33flash_attn_stream_k_fixup_uniformILi96ELi16ELi1EEvPfPK15HIP_vector_typeIfLj2EEiiiiiiS1_IjLj3EES5_S5_
                                        ; -- End function
	.section	.AMDGPU.csdata,"",@progbits
; Kernel info:
; codeLenInByte = 836
; NumSgprs: 24
; NumVgprs: 17
; NumAgprs: 0
; TotalNumVgprs: 17
; ScratchSize: 0
; MemoryBound: 0
; FloatMode: 240
; IeeeMode: 1
; LDSByteSize: 0 bytes/workgroup (compile time only)
; SGPRBlocks: 2
; VGPRBlocks: 2
; NumSGPRsForWavesPerEU: 24
; NumVGPRsForWavesPerEU: 17
; AccumOffset: 20
; Occupancy: 8
; WaveLimiterHint : 0
; COMPUTE_PGM_RSRC2:SCRATCH_EN: 0
; COMPUTE_PGM_RSRC2:USER_SGPR: 6
; COMPUTE_PGM_RSRC2:TRAP_HANDLER: 0
; COMPUTE_PGM_RSRC2:TGID_X_EN: 1
; COMPUTE_PGM_RSRC2:TGID_Y_EN: 1
; COMPUTE_PGM_RSRC2:TGID_Z_EN: 1
; COMPUTE_PGM_RSRC2:TIDIG_COMP_CNT: 0
; COMPUTE_PGM_RSRC3_GFX90A:ACCUM_OFFSET: 4
; COMPUTE_PGM_RSRC3_GFX90A:TG_SPLIT: 0
	.section	.text._ZL33flash_attn_stream_k_fixup_generalILi96ELi16ELi1EEvPfPK15HIP_vector_typeIfLj2EEiiiiS1_IjLj3EES5_S5_S5_,"axG",@progbits,_ZL33flash_attn_stream_k_fixup_generalILi96ELi16ELi1EEvPfPK15HIP_vector_typeIfLj2EEiiiiS1_IjLj3EES5_S5_S5_,comdat
	.globl	_ZL33flash_attn_stream_k_fixup_generalILi96ELi16ELi1EEvPfPK15HIP_vector_typeIfLj2EEiiiiS1_IjLj3EES5_S5_S5_ ; -- Begin function _ZL33flash_attn_stream_k_fixup_generalILi96ELi16ELi1EEvPfPK15HIP_vector_typeIfLj2EEiiiiS1_IjLj3EES5_S5_S5_
	.p2align	8
	.type	_ZL33flash_attn_stream_k_fixup_generalILi96ELi16ELi1EEvPfPK15HIP_vector_typeIfLj2EEiiiiS1_IjLj3EES5_S5_S5_,@function
_ZL33flash_attn_stream_k_fixup_generalILi96ELi16ELi1EEvPfPK15HIP_vector_typeIfLj2EEiiiiS1_IjLj3EES5_S5_S5_: ; @_ZL33flash_attn_stream_k_fixup_generalILi96ELi16ELi1EEvPfPK15HIP_vector_typeIfLj2EEiiiiS1_IjLj3EES5_S5_S5_
; %bb.0:
	s_load_dwordx4 s[12:15], s[4:5], 0x10
	s_load_dword s9, s[4:5], 0x50
	s_mov_b32 s2, 0
	s_waitcnt lgkmcnt(0)
	s_mul_hi_i32 s3, s15, s6
	s_cmp_lg_u64 s[2:3], 0
	s_mul_i32 s2, s15, s6
	s_cbranch_scc0 .LBB17_21
; %bb.1:
	v_cvt_f32_u32_e32 v1, s9
	v_cvt_f32_ubyte0_e32 v2, 0
	s_sub_u32 s10, 0, s9
	s_subb_u32 s11, 0, 0
	v_madmk_f32 v1, v2, 0x4f800000, v1
	v_rcp_f32_e32 v1, v1
	v_mul_f32_e32 v1, 0x5f7ffffc, v1
	v_mul_f32_e32 v2, 0x2f800000, v1
	v_trunc_f32_e32 v2, v2
	v_madmk_f32 v1, v2, 0xcf800000, v1
	v_cvt_u32_f32_e32 v2, v2
	v_cvt_u32_f32_e32 v1, v1
	v_readfirstlane_b32 s16, v2
	v_readfirstlane_b32 s17, v1
	s_mul_i32 s18, s10, s16
	s_mul_hi_u32 s20, s10, s17
	s_mul_i32 s19, s11, s17
	s_add_i32 s18, s20, s18
	s_add_i32 s18, s18, s19
	s_mul_i32 s21, s10, s17
	s_mul_hi_u32 s19, s17, s18
	s_mul_i32 s20, s17, s18
	s_mul_hi_u32 s17, s17, s21
	s_add_u32 s17, s17, s20
	s_addc_u32 s19, 0, s19
	s_mul_hi_u32 s22, s16, s21
	s_mul_i32 s21, s16, s21
	s_add_u32 s17, s17, s21
	s_mul_hi_u32 s20, s16, s18
	s_addc_u32 s17, s19, s22
	s_addc_u32 s19, s20, 0
	s_mul_i32 s18, s16, s18
	s_add_u32 s17, s17, s18
	s_addc_u32 s18, 0, s19
	v_add_co_u32_e32 v1, vcc, s17, v1
	s_cmp_lg_u64 vcc, 0
	s_addc_u32 s16, s16, s18
	v_readfirstlane_b32 s18, v1
	s_mul_i32 s17, s10, s16
	s_mul_hi_u32 s19, s10, s18
	s_add_i32 s17, s19, s17
	s_mul_i32 s11, s11, s18
	s_add_i32 s17, s17, s11
	s_mul_i32 s10, s10, s18
	s_mul_hi_u32 s19, s16, s10
	s_mul_i32 s20, s16, s10
	s_mul_i32 s22, s18, s17
	s_mul_hi_u32 s10, s18, s10
	s_mul_hi_u32 s21, s18, s17
	s_add_u32 s10, s10, s22
	s_addc_u32 s18, 0, s21
	s_add_u32 s10, s10, s20
	s_mul_hi_u32 s11, s16, s17
	s_addc_u32 s10, s18, s19
	s_addc_u32 s11, s11, 0
	s_mul_i32 s17, s16, s17
	s_add_u32 s10, s10, s17
	s_addc_u32 s11, 0, s11
	v_add_co_u32_e32 v1, vcc, s10, v1
	s_cmp_lg_u64 vcc, 0
	s_addc_u32 s18, s16, s11
	s_ashr_i32 s10, s3, 31
	s_add_u32 s16, s2, s10
	s_mov_b32 s11, s10
	s_addc_u32 s17, s3, s10
	s_xor_b64 s[16:17], s[16:17], s[10:11]
	v_readfirstlane_b32 s20, v1
	s_mul_i32 s19, s16, s18
	s_mul_hi_u32 s21, s16, s20
	s_mul_hi_u32 s3, s16, s18
	s_add_u32 s19, s21, s19
	s_addc_u32 s3, 0, s3
	s_mul_hi_u32 s22, s17, s20
	s_mul_i32 s20, s17, s20
	s_add_u32 s19, s19, s20
	s_mul_hi_u32 s21, s17, s18
	s_addc_u32 s3, s3, s22
	s_addc_u32 s19, s21, 0
	s_mul_i32 s18, s17, s18
	s_add_u32 s3, s3, s18
	s_addc_u32 s18, 0, s19
	s_add_u32 s19, s3, 1
	s_addc_u32 s20, s18, 0
	s_add_u32 s21, s3, 2
	s_mul_i32 s23, s9, s18
	s_mul_hi_u32 s24, s9, s3
	s_addc_u32 s22, s18, 0
	s_add_i32 s24, s24, s23
	s_mul_i32 s23, s9, s3
	v_mov_b32_e32 v1, s23
	v_sub_co_u32_e32 v1, vcc, s16, v1
	s_cmp_lg_u64 vcc, 0
	s_subb_u32 s16, s17, s24
	v_subrev_co_u32_e32 v2, vcc, s9, v1
	s_cmp_lg_u64 vcc, 0
	s_subb_u32 s17, s16, 0
	v_readfirstlane_b32 s23, v2
	s_cmp_ge_u32 s23, s9
	s_cselect_b32 s23, -1, 0
	s_cmp_eq_u32 s17, 0
	s_cselect_b32 s17, s23, -1
	s_cmp_lg_u32 s17, 0
	s_cselect_b32 s17, s22, s20
	v_readfirstlane_b32 s20, v1
	s_cselect_b32 s19, s21, s19
	s_cmp_ge_u32 s20, s9
	s_cselect_b32 s20, -1, 0
	s_cmp_eq_u32 s16, 0
	s_cselect_b32 s16, s20, -1
	s_cmp_lg_u32 s16, 0
	s_cselect_b32 s17, s17, s18
	s_cselect_b32 s16, s19, s3
	s_xor_b64 s[16:17], s[16:17], s[10:11]
	s_sub_u32 s20, s16, s10
	s_load_dwordx4 s[16:19], s[4:5], 0x44
	s_cbranch_execnz .LBB17_3
.LBB17_2:
	v_cvt_f32_u32_e32 v1, s9
	s_sub_i32 s0, 0, s9
	v_rcp_iflag_f32_e32 v1, v1
	v_mul_f32_e32 v1, 0x4f7ffffe, v1
	v_cvt_u32_f32_e32 v1, v1
	v_readfirstlane_b32 s1, v1
	s_mul_i32 s0, s0, s1
	s_mul_hi_u32 s0, s1, s0
	s_add_i32 s1, s1, s0
	s_mul_hi_u32 s0, s2, s1
	s_mul_i32 s3, s0, s9
	s_sub_i32 s2, s2, s3
	s_add_i32 s1, s0, 1
	s_sub_i32 s3, s2, s9
	s_cmp_ge_u32 s2, s9
	s_cselect_b32 s0, s1, s0
	s_cselect_b32 s2, s3, s2
	s_add_i32 s1, s0, 1
	s_cmp_ge_u32 s2, s9
	s_cselect_b32 s20, s1, s0
.LBB17_3:
	s_add_i32 s0, s6, 1
	s_mul_hi_i32 s3, s15, s0
	s_mov_b32 s2, 0
	s_cmp_lg_u64 s[2:3], 0
	s_mul_i32 s2, s15, s0
	s_cbranch_scc0 .LBB17_22
; %bb.4:
	v_cvt_f32_u32_e32 v1, s9
	v_cvt_f32_ubyte0_e32 v2, 0
	s_sub_u32 s10, 0, s9
	s_subb_u32 s11, 0, 0
	v_madmk_f32 v1, v2, 0x4f800000, v1
	v_rcp_f32_e32 v1, v1
	v_mul_f32_e32 v1, 0x5f7ffffc, v1
	v_mul_f32_e32 v2, 0x2f800000, v1
	v_trunc_f32_e32 v2, v2
	v_madmk_f32 v1, v2, 0xcf800000, v1
	v_cvt_u32_f32_e32 v2, v2
	v_cvt_u32_f32_e32 v1, v1
	s_waitcnt lgkmcnt(0)
	v_readfirstlane_b32 s19, v2
	v_readfirstlane_b32 s21, v1
	s_mul_i32 s22, s10, s19
	s_mul_hi_u32 s24, s10, s21
	s_mul_i32 s23, s11, s21
	s_add_i32 s22, s24, s22
	s_add_i32 s22, s22, s23
	s_mul_i32 s25, s10, s21
	s_mul_hi_u32 s23, s21, s22
	s_mul_i32 s24, s21, s22
	s_mul_hi_u32 s21, s21, s25
	s_add_u32 s21, s21, s24
	s_addc_u32 s23, 0, s23
	s_mul_hi_u32 s26, s19, s25
	s_mul_i32 s25, s19, s25
	s_add_u32 s21, s21, s25
	s_mul_hi_u32 s24, s19, s22
	s_addc_u32 s21, s23, s26
	s_addc_u32 s23, s24, 0
	s_mul_i32 s22, s19, s22
	s_add_u32 s21, s21, s22
	s_addc_u32 s22, 0, s23
	v_add_co_u32_e32 v1, vcc, s21, v1
	s_cmp_lg_u64 vcc, 0
	s_addc_u32 s19, s19, s22
	v_readfirstlane_b32 s22, v1
	s_mul_i32 s21, s10, s19
	s_mul_hi_u32 s23, s10, s22
	s_add_i32 s21, s23, s21
	s_mul_i32 s11, s11, s22
	s_add_i32 s21, s21, s11
	s_mul_i32 s10, s10, s22
	s_mul_hi_u32 s23, s19, s10
	s_mul_i32 s24, s19, s10
	s_mul_i32 s26, s22, s21
	s_mul_hi_u32 s10, s22, s10
	s_mul_hi_u32 s25, s22, s21
	s_add_u32 s10, s10, s26
	s_addc_u32 s22, 0, s25
	s_add_u32 s10, s10, s24
	s_mul_hi_u32 s11, s19, s21
	s_addc_u32 s10, s22, s23
	s_addc_u32 s11, s11, 0
	s_mul_i32 s21, s19, s21
	s_add_u32 s10, s10, s21
	s_addc_u32 s11, 0, s11
	v_add_co_u32_e32 v1, vcc, s10, v1
	s_cmp_lg_u64 vcc, 0
	s_addc_u32 s19, s19, s11
	s_ashr_i32 s10, s3, 31
	s_add_u32 s22, s2, s10
	s_mov_b32 s11, s10
	s_addc_u32 s23, s3, s10
	s_xor_b64 s[22:23], s[22:23], s[10:11]
	v_readfirstlane_b32 s21, v1
	s_mul_i32 s11, s22, s19
	s_mul_hi_u32 s24, s22, s21
	s_mul_hi_u32 s3, s22, s19
	s_add_u32 s11, s24, s11
	s_addc_u32 s3, 0, s3
	s_mul_hi_u32 s25, s23, s21
	s_mul_i32 s21, s23, s21
	s_add_u32 s11, s11, s21
	s_mul_hi_u32 s24, s23, s19
	s_addc_u32 s3, s3, s25
	s_addc_u32 s11, s24, 0
	s_mul_i32 s19, s23, s19
	s_add_u32 s3, s3, s19
	s_addc_u32 s11, 0, s11
	s_mul_i32 s11, s9, s11
	s_mul_hi_u32 s24, s9, s3
	s_add_i32 s24, s24, s11
	s_mul_i32 s11, s9, s3
	v_mov_b32_e32 v1, s11
	s_add_u32 s19, s3, 1
	s_add_u32 s21, s3, 2
	v_sub_co_u32_e32 v1, vcc, s22, v1
	s_cmp_lg_u64 vcc, 0
	s_subb_u32 s11, s23, s24
	v_subrev_co_u32_e32 v2, vcc, s9, v1
	s_cmp_lg_u64 vcc, 0
	s_subb_u32 s22, s11, 0
	v_cmp_le_u32_e32 vcc, s9, v2
	s_cmp_eq_u32 s22, 0
	v_cndmask_b32_e64 v2, 0, -1, vcc
	s_cselect_b64 vcc, -1, 0
	v_cndmask_b32_e32 v2, -1, v2, vcc
	v_mov_b32_e32 v3, s19
	v_mov_b32_e32 v4, s21
	v_cmp_ne_u32_e32 vcc, 0, v2
	v_cndmask_b32_e32 v2, v3, v4, vcc
	v_cmp_le_u32_e32 vcc, s9, v1
	s_cmp_eq_u32 s11, 0
	v_cndmask_b32_e64 v1, 0, -1, vcc
	s_cselect_b64 vcc, -1, 0
	v_cndmask_b32_e32 v1, -1, v1, vcc
	v_mov_b32_e32 v3, s3
	v_cmp_ne_u32_e32 vcc, 0, v1
	v_cndmask_b32_e32 v1, v3, v2, vcc
	v_xor_b32_e32 v1, s10, v1
	v_subrev_co_u32_e32 v2, vcc, s10, v1
	s_cbranch_execnz .LBB17_6
.LBB17_5:
	v_cvt_f32_u32_e32 v1, s9
	s_sub_i32 s0, 0, s9
	s_mov_b32 s1, 0
	v_rcp_iflag_f32_e32 v1, v1
	v_mul_f32_e32 v1, 0x4f7ffffe, v1
	v_cvt_u32_f32_e32 v1, v1
	v_readfirstlane_b32 s3, v1
	s_mul_i32 s0, s0, s3
	s_mul_hi_u32 s0, s3, s0
	s_add_i32 s3, s3, s0
	s_mul_hi_u32 s0, s2, s3
	s_mul_i32 s10, s0, s9
	s_sub_i32 s2, s2, s10
	s_add_i32 s3, s0, 1
	s_sub_i32 s10, s2, s9
	s_cmp_ge_u32 s2, s9
	s_cselect_b32 s0, s3, s0
	s_cselect_b32 s2, s10, s2
	s_add_i32 s3, s0, 1
	s_cmp_ge_u32 s2, s9
	s_cselect_b32 s0, s3, s0
	v_pk_mov_b32 v[2:3], s[0:1], s[0:1] op_sel:[0,1]
.LBB17_6:
	s_waitcnt lgkmcnt(0)
	s_mul_hi_u32 s0, s20, s16
	s_add_i32 s0, s0, s20
	v_mul_hi_u32 v1, v2, s16
	s_lshr_b32 s19, s0, s17
	v_add_u32_e32 v1, v1, v2
	s_mul_i32 s0, s19, s18
	v_lshrrev_b32_e32 v1, s17, v1
	s_cmp_eq_u32 s0, s20
	v_cmp_eq_u32_e64 s[0:1], s19, v1
	v_mul_lo_u32 v1, v1, s18
	v_cmp_eq_u32_e32 vcc, s20, v2
	s_cselect_b64 s[10:11], -1, 0
	v_cmp_ne_u32_e64 s[2:3], v1, v2
	s_and_b64 s[0:1], s[0:1], s[2:3]
	s_or_b64 s[2:3], vcc, s[10:11]
	s_or_b64 s[0:1], s[2:3], s[0:1]
	s_and_b64 vcc, exec, s[0:1]
	s_cbranch_vccnz .LBB17_24
; %bb.7:
	s_load_dwordx8 s[24:31], s[4:5], 0x20
	s_load_dword s0, s[4:5], 0x40
	s_mov_b32 s10, 0
	s_waitcnt lgkmcnt(0)
	s_mul_hi_u32 s1, s20, s24
	s_add_i32 s1, s1, s20
	s_lshr_b32 s11, s1, s25
	s_mul_i32 s1, s11, s26
	s_sub_i32 s1, s20, s1
	s_mul_hi_u32 s2, s1, s27
	s_add_i32 s2, s1, s2
	s_lshr_b32 s23, s2, s28
	s_mul_i32 s2, s23, s29
	s_sub_i32 s1, s1, s2
	;; [unrolled: 5-line block ×3, first 2 shown]
	s_mul_hi_u32 s1, s0, s16
	s_add_i32 s0, s0, s1
	s_lshr_b32 s24, s0, s17
	s_lshl_b32 s0, s24, 4
	s_add_i32 s0, s0, s7
	s_cmp_lt_i32 s0, s12
	s_cselect_b64 s[0:1], -1, 0
	s_add_i32 s25, s25, s8
	s_cmp_lt_i32 s25, s14
	s_cselect_b64 s[2:3], -1, 0
	s_and_b64 s[0:1], s[0:1], s[2:3]
	s_andn2_b64 vcc, exec, s[0:1]
	s_cbranch_vccnz .LBB17_24
; %bb.8:
	s_load_dwordx4 s[0:3], s[4:5], 0x0
	s_lshl_b32 s4, s9, 6
	s_mov_b32 s5, s10
	s_add_i32 s8, s7, s8
	s_lshl_b64 s[4:5], s[4:5], 2
	s_waitcnt lgkmcnt(0)
	s_add_u32 s21, s2, s4
	s_mul_i32 s4, s11, s12
	s_addc_u32 s22, s3, s5
	s_mul_i32 s23, s23, s14
	s_add_i32 s4, s4, s7
	s_mul_i32 s4, s4, s13
	s_add_i32 s7, s25, s23
	;; [unrolled: 2-line block ×3, first 2 shown]
	s_mulk_i32 s5, 0x600
	s_mulk_i32 s4, 0x60
	s_add_i32 s5, s5, s4
	v_add_u32_e32 v2, s5, v0
	v_ashrrev_i32_e32 v3, 31, v2
	v_lshlrev_b64 v[2:3], 2, v[2:3]
	v_mov_b32_e32 v1, s1
	v_add_co_u32_e32 v2, vcc, s0, v2
	v_addc_co_u32_e32 v3, vcc, v1, v3, vcc
	global_load_dword v5, v[2:3], off
	s_mul_i32 s4, s8, 0x60
	v_add_u32_e32 v4, s4, v0
	v_cvt_f32_u32_e32 v0, s9
	v_cvt_f32_ubyte0_e32 v1, 0
	s_lshl_b32 s0, s6, 4
	s_add_i32 s0, s0, s8
	v_mac_f32_e32 v0, 0x4f800000, v1
	v_rcp_f32_e32 v0, v0
	v_cvt_f32_u32_e32 v1, s9
	s_ashr_i32 s1, s0, 31
	s_lshl_b64 s[0:1], s[0:1], 3
	v_mul_f32_e32 v0, 0x5f7ffffc, v0
	v_rcp_iflag_f32_e32 v1, v1
	s_add_u32 s0, s2, s0
	v_mul_f32_e32 v9, 0x2f800000, v0
	s_addc_u32 s1, s3, s1
	v_trunc_f32_e32 v10, v9
	s_load_dwordx2 s[0:1], s[0:1], 0x0
	v_mac_f32_e32 v0, 0xcf800000, v10
	v_cvt_u32_f32_e32 v9, v0
	v_mul_f32_e32 v0, 0x4f7ffffe, v1
	v_cvt_u32_f32_e32 v10, v10
	v_cvt_u32_f32_e32 v11, v0
	s_add_i32 s12, s6, -1
	s_waitcnt lgkmcnt(0)
	v_mov_b32_e32 v6, s1
	v_mov_b32_e32 v7, s0
	;; [unrolled: 1-line block ×3, first 2 shown]
	s_mov_b32 s6, 0x3fb8aa3b
	s_mov_b32 s7, 0xc2ce8ed0
	;; [unrolled: 1-line block ×4, first 2 shown]
	v_mov_b32_e32 v12, 0x7f800000
	s_mul_hi_i32 s11, s12, s15
	s_cmp_lg_u64 s[10:11], 0
	s_mul_i32 s4, s12, s15
	s_cbranch_scc0 .LBB17_15
.LBB17_9:
	s_sub_u32 s0, 0, s9
	v_readfirstlane_b32 s5, v9
	v_readfirstlane_b32 s24, v10
	s_subb_u32 s1, 0, 0
	s_mul_hi_u32 s23, s0, s5
	s_mul_i32 s25, s0, s24
	s_mul_i32 s20, s1, s5
	s_add_i32 s23, s23, s25
	s_add_i32 s23, s23, s20
	s_mul_i32 s26, s0, s5
	s_mul_hi_u32 s20, s5, s23
	s_mul_i32 s25, s5, s23
	s_mul_hi_u32 s5, s5, s26
	s_add_u32 s5, s5, s25
	s_addc_u32 s20, 0, s20
	s_mul_hi_u32 s27, s24, s26
	s_mul_i32 s26, s24, s26
	s_add_u32 s5, s5, s26
	s_mul_hi_u32 s25, s24, s23
	s_addc_u32 s5, s20, s27
	s_addc_u32 s20, s25, 0
	s_mul_i32 s23, s24, s23
	s_add_u32 s5, s5, s23
	s_addc_u32 s20, 0, s20
	v_add_co_u32_e32 v0, vcc, s5, v9
	s_cmp_lg_u64 vcc, 0
	s_addc_u32 s5, s24, s20
	v_readfirstlane_b32 s23, v0
	s_mul_i32 s20, s0, s5
	s_mul_hi_u32 s24, s0, s23
	s_add_i32 s20, s24, s20
	s_mul_i32 s1, s1, s23
	s_add_i32 s20, s20, s1
	s_mul_i32 s0, s0, s23
	s_mul_hi_u32 s24, s5, s0
	s_mul_i32 s25, s5, s0
	s_mul_i32 s27, s23, s20
	s_mul_hi_u32 s0, s23, s0
	s_mul_hi_u32 s26, s23, s20
	s_add_u32 s0, s0, s27
	s_addc_u32 s23, 0, s26
	s_add_u32 s0, s0, s25
	s_mul_hi_u32 s1, s5, s20
	s_addc_u32 s0, s23, s24
	s_addc_u32 s1, s1, 0
	s_mul_i32 s20, s5, s20
	s_add_u32 s0, s0, s20
	s_addc_u32 s1, 0, s1
	v_add_co_u32_e32 v0, vcc, s0, v0
	s_cmp_lg_u64 vcc, 0
	s_addc_u32 s5, s5, s1
	s_ashr_i32 s0, s11, 31
	s_add_u32 s24, s4, s0
	s_mov_b32 s1, s0
	s_addc_u32 s25, s11, s0
	s_xor_b64 s[24:25], s[24:25], s[0:1]
	v_readfirstlane_b32 s20, v0
	s_mul_i32 s11, s24, s5
	s_mul_hi_u32 s23, s24, s20
	s_mul_hi_u32 s1, s24, s5
	s_add_u32 s11, s23, s11
	s_addc_u32 s1, 0, s1
	s_mul_hi_u32 s26, s25, s20
	s_mul_i32 s20, s25, s20
	s_add_u32 s11, s11, s20
	s_mul_hi_u32 s23, s25, s5
	s_addc_u32 s1, s1, s26
	s_addc_u32 s11, s23, 0
	s_mul_i32 s5, s25, s5
	s_add_u32 s1, s1, s5
	s_addc_u32 s5, 0, s11
	s_mul_i32 s5, s9, s5
	s_mul_hi_u32 s23, s9, s1
	s_add_i32 s23, s23, s5
	s_mul_i32 s5, s9, s1
	v_mov_b32_e32 v0, s5
	s_add_u32 s11, s1, 1
	s_add_u32 s20, s1, 2
	v_sub_co_u32_e32 v0, vcc, s24, v0
	s_cmp_lg_u64 vcc, 0
	s_subb_u32 s5, s25, s23
	v_subrev_co_u32_e32 v1, vcc, s9, v0
	s_cmp_lg_u64 vcc, 0
	s_subb_u32 s23, s5, 0
	v_cmp_le_u32_e32 vcc, s9, v1
	s_cmp_eq_u32 s23, 0
	v_cndmask_b32_e64 v1, 0, -1, vcc
	s_cselect_b64 vcc, -1, 0
	v_cndmask_b32_e32 v1, -1, v1, vcc
	v_mov_b32_e32 v13, s11
	v_mov_b32_e32 v14, s20
	v_cmp_ne_u32_e32 vcc, 0, v1
	v_cndmask_b32_e32 v1, v13, v14, vcc
	v_cmp_le_u32_e32 vcc, s9, v0
	s_cmp_eq_u32 s5, 0
	v_cndmask_b32_e64 v0, 0, -1, vcc
	s_cselect_b64 vcc, -1, 0
	v_cndmask_b32_e32 v0, -1, v0, vcc
	v_mov_b32_e32 v13, s1
	v_cmp_ne_u32_e32 vcc, 0, v0
	v_cndmask_b32_e32 v0, v13, v1, vcc
	v_xor_b32_e32 v0, s0, v0
	v_subrev_co_u32_e32 v0, vcc, s0, v0
	s_cbranch_execnz .LBB17_11
.LBB17_10:
	s_sub_i32 s0, 0, s9
	v_mul_lo_u32 v0, s0, v11
	v_mul_hi_u32 v0, v11, v0
	v_add_u32_e32 v0, v11, v0
	v_mul_hi_u32 v0, s4, v0
	v_mul_lo_u32 v13, v0, s9
	v_sub_u32_e32 v13, s4, v13
	v_add_u32_e32 v1, 1, v0
	v_subrev_u32_e32 v14, s9, v13
	v_cmp_le_u32_e32 vcc, s9, v13
	v_cndmask_b32_e32 v13, v13, v14, vcc
	v_cndmask_b32_e32 v0, v0, v1, vcc
	v_add_u32_e32 v1, 1, v0
	v_cmp_le_u32_e32 vcc, s9, v13
	v_cndmask_b32_e32 v0, v0, v1, vcc
.LBB17_11:
	v_cmp_ne_u32_e32 vcc, v8, v0
	s_cbranch_vccz .LBB17_14
; %bb.12:
	s_add_i32 s0, s12, s9
	s_lshl_b32 s0, s0, 4
	v_mul_hi_u32 v1, v0, s16
	s_add_i32 s0, s0, s8
	s_mov_b32 s1, s10
	v_add_u32_e32 v1, v1, v0
	s_lshl_b64 s[0:1], s[0:1], 3
	v_lshrrev_b32_e32 v1, s17, v1
	s_add_u32 s4, s2, s0
	v_mul_lo_u32 v13, v1, s18
	s_addc_u32 s5, s3, s1
	v_cmp_eq_u32_e32 vcc, v13, v0
	v_cmp_gt_u32_e64 s[0:1], s19, v1
	s_or_b64 s[0:1], s[0:1], vcc
	s_and_b64 vcc, exec, s[0:1]
	s_cbranch_vccnz .LBB17_16
; %bb.13:
	s_add_i32 s11, s12, -1
	s_mov_b64 s[0:1], 0
	s_branch .LBB17_17
.LBB17_14:
                                        ; implicit-def: $sgpr0_sgpr1
                                        ; implicit-def: $vgpr14
                                        ; implicit-def: $vgpr1
                                        ; implicit-def: $vgpr13
                                        ; implicit-def: $sgpr11
                                        ; implicit-def: $vgpr0
	s_branch .LBB17_18
.LBB17_15:
                                        ; implicit-def: $vgpr0_vgpr1
	s_branch .LBB17_10
.LBB17_16:
	s_mov_b64 s[0:1], -1
	s_mov_b32 s11, s12
	v_mov_b32_e32 v0, v8
.LBB17_17:
	s_mul_i32 s20, s12, 0x600
	v_add_u32_e32 v14, s20, v4
	v_ashrrev_i32_e32 v15, 31, v14
	v_lshlrev_b64 v[14:15], 2, v[14:15]
	v_mov_b32_e32 v1, s22
	v_add_co_u32_e32 v14, vcc, s21, v14
	v_addc_co_u32_e32 v15, vcc, v1, v15, vcc
	global_load_dword v14, v[14:15], off
	s_load_dwordx2 s[4:5], s[4:5], 0x0
	v_max_f32_e32 v1, v7, v7
	s_waitcnt lgkmcnt(0)
	v_max_f32_e64 v13, s4, s4
	v_max_f32_e32 v1, v1, v13
	v_sub_f32_e32 v13, v7, v1
	v_sub_f32_e32 v15, s4, v1
	v_mul_f32_e32 v16, 0x3fb8aa3b, v13
	v_mul_f32_e32 v17, 0x3fb8aa3b, v15
	v_fma_f32 v18, v13, s6, -v16
	v_rndne_f32_e32 v19, v16
	v_fma_f32 v20, v15, s6, -v17
	v_rndne_f32_e32 v21, v17
	v_fmac_f32_e32 v18, 0x32a5705f, v13
	v_sub_f32_e32 v16, v16, v19
	v_fmac_f32_e32 v20, 0x32a5705f, v15
	v_sub_f32_e32 v17, v17, v21
	v_add_f32_e32 v16, v16, v18
	v_cvt_i32_f32_e32 v19, v19
	v_add_f32_e32 v17, v17, v20
	v_exp_f32_e32 v16, v16
	v_cvt_i32_f32_e32 v21, v21
	v_exp_f32_e32 v17, v17
	v_cmp_ngt_f32_e32 vcc, s7, v13
	v_ldexp_f32 v16, v16, v19
	v_cndmask_b32_e32 v16, 0, v16, vcc
	v_ldexp_f32 v17, v17, v21
	v_cmp_ngt_f32_e32 vcc, s7, v15
	v_cndmask_b32_e32 v17, 0, v17, vcc
	v_cmp_nlt_f32_e32 vcc, s13, v13
	v_cndmask_b32_e32 v16, v12, v16, vcc
	v_cmp_nlt_f32_e32 vcc, s13, v15
	v_cndmask_b32_e32 v17, v12, v17, vcc
	v_cmp_le_f32_e32 vcc, s14, v13
	v_cndmask_b32_e32 v16, 0, v16, vcc
	v_cmp_le_f32_e32 vcc, s14, v15
	v_cndmask_b32_e32 v15, 0, v17, vcc
	v_mul_f32_e32 v13, s5, v15
	v_fmac_f32_e32 v13, v6, v16
	s_waitcnt vmcnt(0)
	v_mul_f32_e32 v14, v14, v15
	v_fmac_f32_e32 v14, v5, v16
	s_cbranch_execnz .LBB17_19
.LBB17_18:
	s_add_i32 s11, s12, -1
	s_mov_b64 s[0:1], 0
	v_mov_b32_e32 v0, v8
	v_mov_b32_e32 v13, v6
	;; [unrolled: 1-line block ×3, first 2 shown]
	s_waitcnt vmcnt(0)
	v_mov_b32_e32 v14, v5
.LBB17_19:
	s_andn2_b64 vcc, exec, s[0:1]
	s_cbranch_vccz .LBB17_23
; %bb.20:
	v_mov_b32_e32 v8, v0
	s_mov_b32 s12, s11
	v_mov_b32_e32 v6, v13
	v_mov_b32_e32 v7, v1
	s_waitcnt vmcnt(0)
	v_mov_b32_e32 v5, v14
	s_mul_hi_i32 s11, s12, s15
	s_cmp_lg_u64 s[10:11], 0
	s_mul_i32 s4, s12, s15
	s_cbranch_scc1 .LBB17_9
	s_branch .LBB17_15
.LBB17_21:
                                        ; implicit-def: $sgpr20_sgpr21
	s_load_dwordx4 s[16:19], s[4:5], 0x44
	s_branch .LBB17_2
.LBB17_22:
                                        ; implicit-def: $vgpr2_vgpr3
	s_branch .LBB17_5
.LBB17_23:
	v_div_scale_f32 v0, s[0:1], v13, v13, v14
	v_rcp_f32_e32 v1, v0
	v_div_scale_f32 v4, vcc, v14, v13, v14
	s_waitcnt vmcnt(0)
	v_fma_f32 v5, -v0, v1, 1.0
	v_fmac_f32_e32 v1, v5, v1
	v_mul_f32_e32 v5, v4, v1
	v_fma_f32 v6, -v0, v5, v4
	v_fmac_f32_e32 v5, v6, v1
	v_fma_f32 v0, -v0, v5, v4
	v_div_fmas_f32 v0, v0, v1, v5
	v_div_fixup_f32 v0, v0, v13, v14
	global_store_dword v[2:3], v0, off
.LBB17_24:
	s_endpgm
	.section	.rodata,"a",@progbits
	.p2align	6, 0x0
	.amdhsa_kernel _ZL33flash_attn_stream_k_fixup_generalILi96ELi16ELi1EEvPfPK15HIP_vector_typeIfLj2EEiiiiS1_IjLj3EES5_S5_S5_
		.amdhsa_group_segment_fixed_size 0
		.amdhsa_private_segment_fixed_size 0
		.amdhsa_kernarg_size 336
		.amdhsa_user_sgpr_count 6
		.amdhsa_user_sgpr_private_segment_buffer 1
		.amdhsa_user_sgpr_dispatch_ptr 0
		.amdhsa_user_sgpr_queue_ptr 0
		.amdhsa_user_sgpr_kernarg_segment_ptr 1
		.amdhsa_user_sgpr_dispatch_id 0
		.amdhsa_user_sgpr_flat_scratch_init 0
		.amdhsa_user_sgpr_kernarg_preload_length 0
		.amdhsa_user_sgpr_kernarg_preload_offset 0
		.amdhsa_user_sgpr_private_segment_size 0
		.amdhsa_uses_dynamic_stack 0
		.amdhsa_system_sgpr_private_segment_wavefront_offset 0
		.amdhsa_system_sgpr_workgroup_id_x 1
		.amdhsa_system_sgpr_workgroup_id_y 1
		.amdhsa_system_sgpr_workgroup_id_z 1
		.amdhsa_system_sgpr_workgroup_info 0
		.amdhsa_system_vgpr_workitem_id 0
		.amdhsa_next_free_vgpr 22
		.amdhsa_next_free_sgpr 32
		.amdhsa_accum_offset 24
		.amdhsa_reserve_vcc 1
		.amdhsa_reserve_flat_scratch 0
		.amdhsa_float_round_mode_32 0
		.amdhsa_float_round_mode_16_64 0
		.amdhsa_float_denorm_mode_32 3
		.amdhsa_float_denorm_mode_16_64 3
		.amdhsa_dx10_clamp 1
		.amdhsa_ieee_mode 1
		.amdhsa_fp16_overflow 0
		.amdhsa_tg_split 0
		.amdhsa_exception_fp_ieee_invalid_op 0
		.amdhsa_exception_fp_denorm_src 0
		.amdhsa_exception_fp_ieee_div_zero 0
		.amdhsa_exception_fp_ieee_overflow 0
		.amdhsa_exception_fp_ieee_underflow 0
		.amdhsa_exception_fp_ieee_inexact 0
		.amdhsa_exception_int_div_zero 0
	.end_amdhsa_kernel
	.section	.text._ZL33flash_attn_stream_k_fixup_generalILi96ELi16ELi1EEvPfPK15HIP_vector_typeIfLj2EEiiiiS1_IjLj3EES5_S5_S5_,"axG",@progbits,_ZL33flash_attn_stream_k_fixup_generalILi96ELi16ELi1EEvPfPK15HIP_vector_typeIfLj2EEiiiiS1_IjLj3EES5_S5_S5_,comdat
.Lfunc_end17:
	.size	_ZL33flash_attn_stream_k_fixup_generalILi96ELi16ELi1EEvPfPK15HIP_vector_typeIfLj2EEiiiiS1_IjLj3EES5_S5_S5_, .Lfunc_end17-_ZL33flash_attn_stream_k_fixup_generalILi96ELi16ELi1EEvPfPK15HIP_vector_typeIfLj2EEiiiiS1_IjLj3EES5_S5_S5_
                                        ; -- End function
	.section	.AMDGPU.csdata,"",@progbits
; Kernel info:
; codeLenInByte = 2820
; NumSgprs: 36
; NumVgprs: 22
; NumAgprs: 0
; TotalNumVgprs: 22
; ScratchSize: 0
; MemoryBound: 0
; FloatMode: 240
; IeeeMode: 1
; LDSByteSize: 0 bytes/workgroup (compile time only)
; SGPRBlocks: 4
; VGPRBlocks: 2
; NumSGPRsForWavesPerEU: 36
; NumVGPRsForWavesPerEU: 22
; AccumOffset: 24
; Occupancy: 8
; WaveLimiterHint : 0
; COMPUTE_PGM_RSRC2:SCRATCH_EN: 0
; COMPUTE_PGM_RSRC2:USER_SGPR: 6
; COMPUTE_PGM_RSRC2:TRAP_HANDLER: 0
; COMPUTE_PGM_RSRC2:TGID_X_EN: 1
; COMPUTE_PGM_RSRC2:TGID_Y_EN: 1
; COMPUTE_PGM_RSRC2:TGID_Z_EN: 1
; COMPUTE_PGM_RSRC2:TIDIG_COMP_CNT: 0
; COMPUTE_PGM_RSRC3_GFX90A:ACCUM_OFFSET: 5
; COMPUTE_PGM_RSRC3_GFX90A:TG_SPLIT: 0
	.section	.text._ZL26flash_attn_combine_resultsILi96EEvPKfPK15HIP_vector_typeIfLj2EEPfi,"axG",@progbits,_ZL26flash_attn_combine_resultsILi96EEvPKfPK15HIP_vector_typeIfLj2EEPfi,comdat
	.globl	_ZL26flash_attn_combine_resultsILi96EEvPKfPK15HIP_vector_typeIfLj2EEPfi ; -- Begin function _ZL26flash_attn_combine_resultsILi96EEvPKfPK15HIP_vector_typeIfLj2EEPfi
	.p2align	8
	.type	_ZL26flash_attn_combine_resultsILi96EEvPKfPK15HIP_vector_typeIfLj2EEPfi,@function
_ZL26flash_attn_combine_resultsILi96EEvPKfPK15HIP_vector_typeIfLj2EEPfi: ; @_ZL26flash_attn_combine_resultsILi96EEvPKfPK15HIP_vector_typeIfLj2EEPfi
; %bb.0:
	s_load_dwordx2 s[0:1], s[4:5], 0x20
	s_load_dword s21, s[4:5], 0x18
	s_load_dwordx4 s[16:19], s[4:5], 0x0
	s_load_dwordx2 s[14:15], s[4:5], 0x10
	s_waitcnt lgkmcnt(0)
	s_mul_i32 s0, s0, s8
	s_add_i32 s0, s0, s6
	s_mul_i32 s20, s0, s1
	s_add_i32 s20, s20, s7
	s_lshl_b32 s10, s21, 1
	s_mul_i32 s0, s20, s21
	v_cmp_gt_i32_e32 vcc, s10, v0
	s_and_saveexec_b64 s[2:3], vcc
	s_cbranch_execz .LBB18_13
; %bb.1:
	v_xad_u32 v1, v0, -1, s10
	s_movk_i32 s4, 0x5f
	s_ashr_i32 s1, s0, 31
	v_cmp_lt_u32_e32 vcc, s4, v1
	s_mov_b64 s[6:7], -1
	v_mov_b32_e32 v2, v0
	s_and_saveexec_b64 s[4:5], vcc
	s_cbranch_execz .LBB18_10
; %bb.2:
	s_mov_b32 s6, 0xaaaaaaab
	v_mul_hi_u32 v1, v1, s6
	v_lshrrev_b32_e32 v6, 6, v1
	s_lshl_b64 s[6:7], s[0:1], 3
	v_add_u32_e32 v2, -1, v6
	s_add_u32 s11, s18, s6
	v_add_u32_e32 v1, 0x60, v0
	v_lshrrev_b32_e32 v3, 1, v2
	s_addc_u32 s12, s19, s7
	v_add_u32_e32 v7, 1, v3
	v_cmp_lt_u32_e32 vcc, 13, v2
	v_mov_b32_e32 v4, 0
	v_pk_mov_b32 v[2:3], v[0:1], v[0:1] op_sel:[0,1]
	s_and_saveexec_b64 s[6:7], vcc
	s_cbranch_execz .LBB18_6
; %bb.3:
	v_and_b32_e32 v8, -8, v7
	s_mov_b32 s13, 0
	v_lshl_add_u32 v9, v0, 2, 0
	s_mov_b64 s[8:9], 0
	v_mov_b32_e32 v10, s12
	v_mov_b32_e32 v5, 0
	v_pk_mov_b32 v[2:3], v[0:1], v[0:1] op_sel:[0,1]
.LBB18_4:                               ; =>This Inner Loop Header: Depth=1
	v_mov_b32_e32 v4, v2
	v_lshlrev_b64 v[26:27], 2, v[4:5]
	v_add_u32_e32 v12, 0xc0, v3
	v_mov_b32_e32 v13, v5
	v_add_co_u32_e32 v26, vcc, s11, v26
	v_lshlrev_b64 v[12:13], 2, v[12:13]
	v_addc_co_u32_e32 v27, vcc, v10, v27, vcc
	v_add_u32_e32 v14, 0x180, v3
	v_mov_b32_e32 v15, v5
	v_add_co_u32_e32 v12, vcc, s11, v12
	v_lshlrev_b64 v[14:15], 2, v[14:15]
	v_addc_co_u32_e32 v13, vcc, v10, v13, vcc
	;; [unrolled: 5-line block ×7, first 2 shown]
	v_mov_b32_e32 v4, v3
	v_add_co_u32_e32 v24, vcc, s11, v24
	v_lshlrev_b64 v[28:29], 2, v[4:5]
	v_addc_co_u32_e32 v25, vcc, v10, v25, vcc
	v_add_u32_e32 v4, 0xc0, v2
	v_add_co_u32_e32 v28, vcc, s11, v28
	v_addc_co_u32_e32 v29, vcc, v10, v29, vcc
	global_load_dword v1, v[26:27], off
	v_lshlrev_b64 v[26:27], 2, v[4:5]
	v_add_u32_e32 v4, 0x180, v2
	v_add_co_u32_e32 v26, vcc, s11, v26
	v_addc_co_u32_e32 v27, vcc, v10, v27, vcc
	v_lshlrev_b64 v[30:31], 2, v[4:5]
	v_add_u32_e32 v4, 0x240, v2
	global_load_dword v11, v[28:29], off
	global_load_dword v32, v[26:27], off
	;; [unrolled: 1-line block ×3, first 2 shown]
	v_add_co_u32_e32 v12, vcc, s11, v30
	v_addc_co_u32_e32 v13, vcc, v10, v31, vcc
	v_lshlrev_b64 v[26:27], 2, v[4:5]
	v_add_u32_e32 v4, 0x300, v2
	v_add_co_u32_e32 v26, vcc, s11, v26
	v_addc_co_u32_e32 v27, vcc, v10, v27, vcc
	v_lshlrev_b64 v[28:29], 2, v[4:5]
	v_add_u32_e32 v4, 0x3c0, v2
	global_load_dword v30, v[12:13], off
	global_load_dword v31, v[14:15], off
	;; [unrolled: 1-line block ×4, first 2 shown]
	v_add_co_u32_e32 v12, vcc, s11, v28
	v_addc_co_u32_e32 v13, vcc, v10, v29, vcc
	v_lshlrev_b64 v[14:15], 2, v[4:5]
	v_add_u32_e32 v4, 0x480, v2
	v_add_co_u32_e32 v14, vcc, s11, v14
	v_addc_co_u32_e32 v15, vcc, v10, v15, vcc
	v_lshlrev_b64 v[16:17], 2, v[4:5]
	v_add_u32_e32 v4, 0x540, v2
	global_load_dword v26, v[12:13], off
	global_load_dword v27, v[18:19], off
	;; [unrolled: 1-line block ×4, first 2 shown]
	v_add_co_u32_e32 v12, vcc, s11, v16
	v_addc_co_u32_e32 v13, vcc, v10, v17, vcc
	v_lshlrev_b64 v[14:15], 2, v[4:5]
	v_add_co_u32_e32 v14, vcc, s11, v14
	v_addc_co_u32_e32 v15, vcc, v10, v15, vcc
	global_load_dword v16, v[12:13], off
	global_load_dword v17, v[22:23], off
	;; [unrolled: 1-line block ×4, first 2 shown]
	v_add_u32_e32 v8, -8, v8
	s_add_i32 s13, s13, 16
	v_cmp_eq_u32_e32 vcc, 0, v8
	v_add_u32_e32 v12, 0x200, v9
	v_add_u32_e32 v13, 0x400, v9
	;; [unrolled: 1-line block ×8, first 2 shown]
	v_mov_b32_e32 v4, s13
	s_or_b64 s[8:9], vcc, s[8:9]
	v_add_u32_e32 v2, 0x600, v2
	s_waitcnt vmcnt(14)
	ds_write2_b32 v9, v1, v11 offset1:96
	v_add_u32_e32 v9, 0x1800, v9
	s_waitcnt vmcnt(12)
	ds_write2_b32 v12, v32, v33 offset0:64 offset1:160
	s_waitcnt vmcnt(10)
	ds_write2_b32 v13, v30, v31 offset0:128 offset1:224
	;; [unrolled: 2-line block ×3, first 2 shown]
	s_waitcnt vmcnt(6)
	ds_write2_b32 v15, v26, v27 offset1:96
	s_waitcnt vmcnt(4)
	ds_write2_b32 v20, v28, v29 offset0:64 offset1:160
	s_waitcnt vmcnt(2)
	ds_write2_b32 v21, v16, v17 offset0:128 offset1:224
	;; [unrolled: 2-line block ×3, first 2 shown]
	s_andn2_b64 exec, exec, s[8:9]
	s_cbranch_execnz .LBB18_4
; %bb.5:
	s_or_b64 exec, exec, s[8:9]
.LBB18_6:
	s_or_b64 exec, exec, s[6:7]
	v_and_b32_e32 v1, 7, v7
	v_cmp_ne_u32_e32 vcc, 0, v1
	s_and_saveexec_b64 s[6:7], vcc
	s_cbranch_execz .LBB18_9
; %bb.7:
	s_movk_i32 s8, 0x180
	v_mul_lo_u32 v4, v4, s8
	v_lshlrev_b32_e32 v5, 2, v0
	v_add3_u32 v7, v4, v5, 0
	s_mov_b64 s[8:9], 0
	v_mov_b32_e32 v8, s12
	v_mov_b32_e32 v5, 0
.LBB18_8:                               ; =>This Inner Loop Header: Depth=1
	v_mov_b32_e32 v4, v2
	v_lshlrev_b64 v[10:11], 2, v[4:5]
	v_mov_b32_e32 v4, v3
	v_add_co_u32_e32 v10, vcc, s11, v10
	v_addc_co_u32_e32 v11, vcc, v8, v11, vcc
	v_lshlrev_b64 v[12:13], 2, v[4:5]
	v_add_co_u32_e32 v12, vcc, s11, v12
	v_addc_co_u32_e32 v13, vcc, v8, v13, vcc
	global_load_dword v4, v[10:11], off
	global_load_dword v9, v[12:13], off
	v_add_u32_e32 v1, -1, v1
	v_cmp_eq_u32_e32 vcc, 0, v1
	v_add_u32_e32 v2, 0xc0, v2
	v_add_u32_e32 v3, 0xc0, v3
	s_or_b64 s[8:9], vcc, s[8:9]
	s_waitcnt vmcnt(0)
	ds_write2_b32 v7, v4, v9 offset1:96
	v_add_u32_e32 v7, 0x300, v7
	s_andn2_b64 exec, exec, s[8:9]
	s_cbranch_execnz .LBB18_8
.LBB18_9:
	s_or_b64 exec, exec, s[6:7]
	v_add_u32_e32 v1, 1, v6
	v_and_b32_e32 v4, 0x7fffffe, v1
	s_movk_i32 s6, 0x60
	v_mad_u64_u32 v[2:3], s[6:7], v4, s6, v[0:1]
	v_cmp_ne_u32_e32 vcc, v1, v4
	s_orn2_b64 s[6:7], vcc, exec
.LBB18_10:
	s_or_b64 exec, exec, s[4:5]
	s_and_b64 exec, exec, s[6:7]
	s_cbranch_execz .LBB18_13
; %bb.11:
	s_lshl_b64 s[4:5], s[0:1], 3
	v_mov_b32_e32 v3, 0
	s_add_u32 s1, s18, s4
	v_lshlrev_b64 v[4:5], 2, v[2:3]
	s_addc_u32 s4, s19, s5
	v_mov_b32_e32 v1, s4
	v_add_co_u32_e32 v4, vcc, s1, v4
	v_addc_co_u32_e32 v5, vcc, v1, v5, vcc
	v_lshl_add_u32 v1, v2, 2, 0
	s_mov_b64 s[4:5], 0
.LBB18_12:                              ; =>This Inner Loop Header: Depth=1
	global_load_dword v3, v[4:5], off
	v_add_co_u32_e32 v4, vcc, 0x180, v4
	v_add_u32_e32 v2, 0x60, v2
	v_addc_co_u32_e32 v5, vcc, 0, v5, vcc
	v_cmp_le_i32_e32 vcc, s10, v2
	s_or_b64 s[4:5], vcc, s[4:5]
	s_waitcnt vmcnt(0)
	ds_write_b32 v1, v3
	v_add_u32_e32 v1, 0x180, v1
	s_andn2_b64 exec, exec, s[4:5]
	s_cbranch_execnz .LBB18_12
.LBB18_13:
	s_or_b64 exec, exec, s[2:3]
	v_mov_b32_e32 v1, 0
	s_waitcnt lgkmcnt(0)
	s_barrier
	ds_read_b32 v1, v1
	s_cmp_lt_i32 s21, 2
	s_cbranch_scc1 .LBB18_21
; %bb.14:
	s_add_i32 s1, s21, -1
	s_add_i32 s2, s21, -2
	s_cmp_lt_u32 s2, 7
	s_cbranch_scc1 .LBB18_18
; %bb.15:
	s_mov_b32 s4, 0
	s_add_i32 s2, 0, 8
	s_and_b32 s3, s1, -8
.LBB18_16:                              ; =>This Inner Loop Header: Depth=1
	v_mov_b32_e32 v8, s2
	ds_read2_b32 v[2:3], v8 offset1:2
	ds_read2_b32 v[4:5], v8 offset0:4 offset1:6
	ds_read2_b32 v[6:7], v8 offset0:8 offset1:10
	;; [unrolled: 1-line block ×3, first 2 shown]
	s_mov_b32 s5, s4
	s_waitcnt lgkmcnt(3)
	v_max3_f32 v1, v1, v2, v3
	s_waitcnt lgkmcnt(2)
	v_max3_f32 v1, v1, v4, v5
	s_add_i32 s2, s2, 64
	s_add_i32 s4, s4, 8
	s_waitcnt lgkmcnt(1)
	v_max3_f32 v1, v1, v6, v7
	s_cmp_eq_u32 s3, s4
	s_waitcnt lgkmcnt(0)
	v_max3_f32 v1, v1, v8, v9
	s_cbranch_scc0 .LBB18_16
; %bb.17:
	s_add_i32 s2, s5, 9
	s_and_b32 s1, s1, 7
	s_cmp_eq_u32 s1, 0
	s_cbranch_scc0 .LBB18_19
	s_branch .LBB18_21
.LBB18_18:
	s_mov_b32 s2, 1
	s_and_b32 s1, s1, 7
	s_cmp_eq_u32 s1, 0
	s_cbranch_scc1 .LBB18_21
.LBB18_19:
	s_lshl_b32 s2, s2, 3
	s_add_i32 s2, s2, 0
.LBB18_20:                              ; =>This Inner Loop Header: Depth=1
	v_mov_b32_e32 v2, s2
	ds_read_b32 v2, v2
	s_waitcnt lgkmcnt(1)
	v_max_f32_e32 v1, v1, v1
	s_add_i32 s2, s2, 8
	s_add_i32 s1, s1, -1
	s_cmp_lg_u32 s1, 0
	s_waitcnt lgkmcnt(0)
	v_max_f32_e32 v2, v2, v2
	v_max_f32_e32 v1, v1, v2
	s_cbranch_scc1 .LBB18_20
.LBB18_21:
	s_cmp_lt_i32 s21, 1
	s_cbranch_scc1 .LBB18_26
; %bb.22:
	s_mul_i32 s18, s0, 0x60
	s_ashr_i32 s19, s18, 31
	s_cmp_lt_u32 s21, 8
	v_mov_b32_e32 v8, 0
	s_cbranch_scc1 .LBB18_27
; %bb.23:
	s_lshl_b64 s[0:1], s[18:19], 2
	s_add_u32 s23, s16, s0
	s_addc_u32 s0, s17, s1
	v_lshlrev_b32_e32 v2, 2, v0
	v_mov_b32_e32 v10, s0
	v_add_co_u32_e32 v2, vcc, s23, v2
	v_addc_co_u32_e32 v3, vcc, 0, v10, vcc
	v_add_co_u32_e32 v2, vcc, 0x180, v2
	s_and_b32 s22, s21, 0x7ffffff8
	v_addc_co_u32_e32 v3, vcc, 0, v3, vcc
	v_or_b32_e32 v4, 0x180, v0
	s_mov_b32 s24, 0
	v_mov_b32_e32 v7, 0
	s_mov_b32 s25, 0x3fb8aa3b
	s_mov_b32 s26, 0xc2ce8ed0
	s_mov_b32 s27, 0x42b17218
	v_mov_b32_e32 v11, 0x7f800000
	s_mov_b32 s28, 0
	v_mov_b32_e32 v9, 0
	v_mov_b32_e32 v8, 0
.LBB18_24:                              ; =>This Inner Loop Header: Depth=1
	v_add_u32_e32 v6, 0xfffffe80, v4
	global_load_dword v36, v[2:3], off
	v_add_co_u32_e32 v2, vcc, 0xc00, v2
	v_lshlrev_b64 v[28:29], 2, v[6:7]
	v_addc_co_u32_e32 v3, vcc, 0, v3, vcc
	v_mov_b32_e32 v5, v7
	v_add_co_u32_e32 v28, vcc, s23, v28
	v_lshlrev_b64 v[30:31], 2, v[4:5]
	v_addc_co_u32_e32 v29, vcc, v10, v29, vcc
	v_add_u32_e32 v6, 0xffffff40, v4
	v_add_co_u32_e32 v30, vcc, s23, v30
	v_lshlrev_b64 v[32:33], 2, v[6:7]
	v_addc_co_u32_e32 v31, vcc, v10, v31, vcc
	v_add_u32_e32 v6, 0xffffffa0, v4
	v_add_co_u32_e32 v32, vcc, s23, v32
	v_mov_b32_e32 v24, s24
	v_addc_co_u32_e32 v33, vcc, v10, v33, vcc
	v_lshlrev_b64 v[34:35], 2, v[6:7]
	ds_read2_b64 v[12:15], v24 offset1:1
	ds_read2_b64 v[16:19], v24 offset0:2 offset1:3
	ds_read2_b64 v[20:23], v24 offset0:4 offset1:5
	;; [unrolled: 1-line block ×3, first 2 shown]
	v_add_u32_e32 v6, 0x60, v4
	global_load_dword v5, v[28:29], off
	global_load_dword v37, v[32:33], off
	v_add_co_u32_e32 v28, vcc, s23, v34
	v_addc_co_u32_e32 v29, vcc, v10, v35, vcc
	v_lshlrev_b64 v[32:33], 2, v[6:7]
	v_add_u32_e32 v6, 0xc0, v4
	v_add_co_u32_e32 v32, vcc, s23, v32
	v_addc_co_u32_e32 v33, vcc, v10, v33, vcc
	v_lshlrev_b64 v[34:35], 2, v[6:7]
	v_add_u32_e32 v6, 0x120, v4
	global_load_dword v38, v[28:29], off
	global_load_dword v39, v[30:31], off
	v_add_co_u32_e32 v28, vcc, s23, v34
	v_addc_co_u32_e32 v29, vcc, v10, v35, vcc
	v_lshlrev_b64 v[30:31], 2, v[6:7]
	global_load_dword v32, v[32:33], off
	v_add_co_u32_e32 v30, vcc, s23, v30
	v_addc_co_u32_e32 v31, vcc, v10, v31, vcc
	global_load_dword v30, v[30:31], off
	s_waitcnt lgkmcnt(3)
	v_sub_f32_e32 v12, v12, v1
	global_load_dword v28, v[28:29], off
	v_sub_f32_e32 v14, v14, v1
	v_mul_f32_e32 v6, 0x3fb8aa3b, v12
	s_waitcnt lgkmcnt(2)
	v_sub_f32_e32 v16, v16, v1
	v_mul_f32_e32 v33, 0x3fb8aa3b, v14
	v_fma_f32 v29, v12, s25, -v6
	v_rndne_f32_e32 v44, v6
	v_sub_f32_e32 v18, v18, v1
	s_waitcnt lgkmcnt(1)
	v_sub_f32_e32 v20, v20, v1
	v_mul_f32_e32 v34, 0x3fb8aa3b, v16
	v_fma_f32 v45, v14, s25, -v33
	v_rndne_f32_e32 v46, v33
	v_fmac_f32_e32 v29, 0x32a5705f, v12
	v_sub_f32_e32 v6, v6, v44
	v_mul_f32_e32 v35, 0x3fb8aa3b, v18
	v_mul_f32_e32 v40, 0x3fb8aa3b, v20
	v_fma_f32 v47, v16, s25, -v34
	v_rndne_f32_e32 v48, v34
	v_add_f32_e32 v6, v6, v29
	v_fmac_f32_e32 v45, 0x32a5705f, v14
	v_sub_f32_e32 v33, v33, v46
	v_sub_f32_e32 v22, v22, v1
	s_waitcnt lgkmcnt(0)
	v_sub_f32_e32 v24, v24, v1
	v_fma_f32 v49, v18, s25, -v35
	v_rndne_f32_e32 v50, v35
	v_fma_f32 v31, v20, s25, -v40
	v_rndne_f32_e32 v29, v40
	v_add_f32_e32 v33, v33, v45
	v_fmac_f32_e32 v47, 0x32a5705f, v16
	v_sub_f32_e32 v34, v34, v48
	v_cvt_i32_f32_e32 v44, v44
	v_exp_f32_e32 v6, v6
	v_mul_f32_e32 v41, 0x3fb8aa3b, v22
	v_mul_f32_e32 v42, 0x3fb8aa3b, v24
	v_add_f32_e32 v34, v34, v47
	v_fmac_f32_e32 v49, 0x32a5705f, v18
	v_sub_f32_e32 v35, v35, v50
	v_fmac_f32_e32 v31, 0x32a5705f, v20
	v_sub_f32_e32 v40, v40, v29
	v_cvt_i32_f32_e32 v46, v46
	v_exp_f32_e32 v33, v33
	v_sub_f32_e32 v26, v26, v1
	v_fma_f32 v45, v22, s25, -v41
	v_rndne_f32_e32 v47, v41
	v_add_f32_e32 v35, v35, v49
	v_fma_f32 v49, v24, s25, -v42
	v_add_f32_e32 v31, v40, v31
	v_rndne_f32_e32 v40, v42
	v_cvt_i32_f32_e32 v48, v48
	v_exp_f32_e32 v34, v34
	v_mul_f32_e32 v43, 0x3fb8aa3b, v26
	v_fmac_f32_e32 v45, 0x32a5705f, v22
	v_sub_f32_e32 v41, v41, v47
	v_fmac_f32_e32 v49, 0x32a5705f, v24
	v_sub_f32_e32 v42, v42, v40
	v_cvt_i32_f32_e32 v50, v50
	v_exp_f32_e32 v35, v35
	v_add_f32_e32 v41, v41, v45
	v_fma_f32 v45, v26, s25, -v43
	v_add_f32_e32 v42, v42, v49
	v_rndne_f32_e32 v49, v43
	v_cvt_i32_f32_e32 v29, v29
	v_exp_f32_e32 v31, v31
	v_ldexp_f32 v6, v6, v44
	v_cmp_ngt_f32_e64 s[12:13], s26, v12
	v_cvt_i32_f32_e32 v47, v47
	v_fmac_f32_e32 v45, 0x32a5705f, v26
	v_sub_f32_e32 v43, v43, v49
	v_exp_f32_e32 v41, v41
	v_ldexp_f32 v33, v33, v46
	v_cmp_ngt_f32_e32 vcc, s26, v14
	v_cndmask_b32_e64 v6, 0, v6, s[12:13]
	v_cmp_nlt_f32_e64 s[12:13], s27, v12
	v_cvt_i32_f32_e32 v40, v40
	v_add_f32_e32 v43, v43, v45
	v_exp_f32_e32 v42, v42
	v_ldexp_f32 v34, v34, v48
	v_cmp_ngt_f32_e64 s[0:1], s26, v16
	v_cndmask_b32_e32 v33, 0, v33, vcc
	v_cmp_nlt_f32_e32 vcc, s27, v14
	v_cndmask_b32_e64 v6, v11, v6, s[12:13]
	v_cvt_i32_f32_e32 v49, v49
	v_exp_f32_e32 v43, v43
	v_ldexp_f32 v35, v35, v50
	v_cmp_ngt_f32_e64 s[2:3], s26, v18
	v_cndmask_b32_e64 v14, 0, v34, s[0:1]
	v_cmp_nlt_f32_e64 s[0:1], s27, v16
	v_cndmask_b32_e32 v12, v11, v33, vcc
	v_fmac_f32_e32 v9, v6, v13
	s_waitcnt vmcnt(6)
	v_fmac_f32_e32 v8, v5, v6
	v_ldexp_f32 v29, v31, v29
	v_cmp_ngt_f32_e64 s[4:5], s26, v20
	v_cndmask_b32_e64 v16, 0, v35, s[2:3]
	v_cmp_nlt_f32_e64 s[2:3], s27, v18
	v_cndmask_b32_e64 v14, v11, v14, s[0:1]
	v_fmac_f32_e32 v9, v12, v15
	v_fmac_f32_e32 v8, v36, v12
	v_ldexp_f32 v31, v41, v47
	v_cmp_ngt_f32_e64 s[6:7], s26, v22
	v_cndmask_b32_e64 v18, 0, v29, s[4:5]
	v_cmp_nlt_f32_e64 s[4:5], s27, v20
	v_cndmask_b32_e64 v16, v11, v16, s[2:3]
	v_fmac_f32_e32 v9, v14, v17
	s_waitcnt vmcnt(5)
	v_fmac_f32_e32 v8, v37, v14
	v_ldexp_f32 v40, v42, v40
	v_cmp_ngt_f32_e64 s[8:9], s26, v24
	v_cndmask_b32_e64 v20, 0, v31, s[6:7]
	v_cmp_nlt_f32_e64 s[6:7], s27, v22
	v_cndmask_b32_e64 v18, v11, v18, s[4:5]
	v_fmac_f32_e32 v9, v16, v19
	s_waitcnt vmcnt(4)
	;; [unrolled: 8-line block ×3, first 2 shown]
	v_fmac_f32_e32 v8, v39, v18
	v_cndmask_b32_e64 v24, 0, v41, s[10:11]
	v_cmp_nlt_f32_e64 s[10:11], s27, v26
	v_cndmask_b32_e64 v22, v11, v22, s[8:9]
	v_fmac_f32_e32 v9, v20, v23
	s_waitcnt vmcnt(2)
	v_fmac_f32_e32 v8, v32, v20
	s_add_i32 s28, s28, 8
	s_add_i32 s24, s24, 64
	v_cndmask_b32_e64 v24, v11, v24, s[10:11]
	v_fmac_f32_e32 v9, v22, v25
	s_waitcnt vmcnt(0)
	v_fmac_f32_e32 v8, v28, v22
	s_cmp_eq_u32 s22, s28
	v_add_u32_e32 v4, 0x300, v4
	v_fmac_f32_e32 v9, v24, v27
	v_fmac_f32_e32 v8, v30, v24
	s_cbranch_scc0 .LBB18_24
; %bb.25:
	s_and_b32 s0, s21, 7
	s_cmp_eq_u32 s0, 0
	s_cbranch_scc0 .LBB18_28
	s_branch .LBB18_30
.LBB18_26:
	s_waitcnt lgkmcnt(0)
	v_mov_b32_e32 v1, 0x7fc00000
	s_branch .LBB18_31
.LBB18_27:
	s_mov_b32 s22, 0
	v_mov_b32_e32 v9, 0
	s_and_b32 s0, s21, 7
	s_cmp_eq_u32 s0, 0
	s_cbranch_scc1 .LBB18_30
.LBB18_28:
	s_lshl_b64 s[2:3], s[18:19], 2
	s_mul_i32 s1, s22, 0x60
	v_add_u32_e32 v2, s1, v0
	v_mov_b32_e32 v3, 0
	s_add_u32 s1, s16, s2
	v_lshlrev_b64 v[2:3], 2, v[2:3]
	s_addc_u32 s2, s17, s3
	v_mov_b32_e32 v4, s2
	v_add_co_u32_e32 v2, vcc, s1, v2
	s_lshl_b32 s1, s22, 3
	v_addc_co_u32_e32 v3, vcc, v4, v3, vcc
	s_add_i32 s1, s1, 0
	s_mov_b32 s2, 0x3fb8aa3b
	s_mov_b32 s3, 0xc2ce8ed0
	;; [unrolled: 1-line block ×3, first 2 shown]
	v_mov_b32_e32 v4, 0x7f800000
.LBB18_29:                              ; =>This Inner Loop Header: Depth=1
	global_load_dword v5, v[2:3], off
	v_mov_b32_e32 v6, s1
	ds_read_b64 v[6:7], v6
	v_add_co_u32_e32 v2, vcc, 0x180, v2
	v_addc_co_u32_e32 v3, vcc, 0, v3, vcc
	s_waitcnt lgkmcnt(0)
	v_sub_f32_e32 v6, v6, v1
	v_mul_f32_e32 v10, 0x3fb8aa3b, v6
	v_fma_f32 v11, v6, s2, -v10
	v_rndne_f32_e32 v12, v10
	v_fmac_f32_e32 v11, 0x32a5705f, v6
	v_sub_f32_e32 v10, v10, v12
	v_add_f32_e32 v10, v10, v11
	v_cvt_i32_f32_e32 v12, v12
	v_exp_f32_e32 v10, v10
	v_cmp_ngt_f32_e32 vcc, s3, v6
	s_add_i32 s1, s1, 8
	s_add_i32 s0, s0, -1
	v_ldexp_f32 v10, v10, v12
	v_cndmask_b32_e32 v10, 0, v10, vcc
	v_cmp_nlt_f32_e32 vcc, s4, v6
	v_cndmask_b32_e32 v6, v4, v10, vcc
	s_cmp_lg_u32 s0, 0
	v_fmac_f32_e32 v9, v6, v7
	s_waitcnt vmcnt(0)
	v_fmac_f32_e32 v8, v5, v6
	s_cbranch_scc1 .LBB18_29
.LBB18_30:
	s_waitcnt lgkmcnt(0)
	v_div_scale_f32 v1, s[0:1], v9, v9, v8
	v_rcp_f32_e32 v2, v1
	v_div_scale_f32 v3, vcc, v8, v9, v8
	v_fma_f32 v4, -v1, v2, 1.0
	v_fmac_f32_e32 v2, v4, v2
	v_mul_f32_e32 v4, v3, v2
	v_fma_f32 v5, -v1, v4, v3
	v_fmac_f32_e32 v4, v5, v2
	v_fma_f32 v1, -v1, v4, v3
	v_div_fmas_f32 v1, v1, v2, v4
	v_div_fixup_f32 v1, v1, v9, v8
.LBB18_31:
	s_mul_i32 s0, s20, 0x60
	s_ashr_i32 s1, s0, 31
	s_lshl_b64 s[0:1], s[0:1], 2
	s_add_u32 s0, s14, s0
	s_addc_u32 s1, s15, s1
	v_lshlrev_b32_e32 v0, 2, v0
	global_store_dword v0, v1, s[0:1]
	s_endpgm
	.section	.rodata,"a",@progbits
	.p2align	6, 0x0
	.amdhsa_kernel _ZL26flash_attn_combine_resultsILi96EEvPKfPK15HIP_vector_typeIfLj2EEPfi
		.amdhsa_group_segment_fixed_size 0
		.amdhsa_private_segment_fixed_size 0
		.amdhsa_kernarg_size 288
		.amdhsa_user_sgpr_count 6
		.amdhsa_user_sgpr_private_segment_buffer 1
		.amdhsa_user_sgpr_dispatch_ptr 0
		.amdhsa_user_sgpr_queue_ptr 0
		.amdhsa_user_sgpr_kernarg_segment_ptr 1
		.amdhsa_user_sgpr_dispatch_id 0
		.amdhsa_user_sgpr_flat_scratch_init 0
		.amdhsa_user_sgpr_kernarg_preload_length 0
		.amdhsa_user_sgpr_kernarg_preload_offset 0
		.amdhsa_user_sgpr_private_segment_size 0
		.amdhsa_uses_dynamic_stack 0
		.amdhsa_system_sgpr_private_segment_wavefront_offset 0
		.amdhsa_system_sgpr_workgroup_id_x 1
		.amdhsa_system_sgpr_workgroup_id_y 1
		.amdhsa_system_sgpr_workgroup_id_z 1
		.amdhsa_system_sgpr_workgroup_info 0
		.amdhsa_system_vgpr_workitem_id 0
		.amdhsa_next_free_vgpr 51
		.amdhsa_next_free_sgpr 29
		.amdhsa_accum_offset 52
		.amdhsa_reserve_vcc 1
		.amdhsa_reserve_flat_scratch 0
		.amdhsa_float_round_mode_32 0
		.amdhsa_float_round_mode_16_64 0
		.amdhsa_float_denorm_mode_32 3
		.amdhsa_float_denorm_mode_16_64 3
		.amdhsa_dx10_clamp 1
		.amdhsa_ieee_mode 1
		.amdhsa_fp16_overflow 0
		.amdhsa_tg_split 0
		.amdhsa_exception_fp_ieee_invalid_op 0
		.amdhsa_exception_fp_denorm_src 0
		.amdhsa_exception_fp_ieee_div_zero 0
		.amdhsa_exception_fp_ieee_overflow 0
		.amdhsa_exception_fp_ieee_underflow 0
		.amdhsa_exception_fp_ieee_inexact 0
		.amdhsa_exception_int_div_zero 0
	.end_amdhsa_kernel
	.section	.text._ZL26flash_attn_combine_resultsILi96EEvPKfPK15HIP_vector_typeIfLj2EEPfi,"axG",@progbits,_ZL26flash_attn_combine_resultsILi96EEvPKfPK15HIP_vector_typeIfLj2EEPfi,comdat
.Lfunc_end18:
	.size	_ZL26flash_attn_combine_resultsILi96EEvPKfPK15HIP_vector_typeIfLj2EEPfi, .Lfunc_end18-_ZL26flash_attn_combine_resultsILi96EEvPKfPK15HIP_vector_typeIfLj2EEPfi
                                        ; -- End function
	.section	.AMDGPU.csdata,"",@progbits
; Kernel info:
; codeLenInByte = 3168
; NumSgprs: 33
; NumVgprs: 51
; NumAgprs: 0
; TotalNumVgprs: 51
; ScratchSize: 0
; MemoryBound: 0
; FloatMode: 240
; IeeeMode: 1
; LDSByteSize: 0 bytes/workgroup (compile time only)
; SGPRBlocks: 4
; VGPRBlocks: 6
; NumSGPRsForWavesPerEU: 33
; NumVGPRsForWavesPerEU: 51
; AccumOffset: 52
; Occupancy: 8
; WaveLimiterHint : 0
; COMPUTE_PGM_RSRC2:SCRATCH_EN: 0
; COMPUTE_PGM_RSRC2:USER_SGPR: 6
; COMPUTE_PGM_RSRC2:TRAP_HANDLER: 0
; COMPUTE_PGM_RSRC2:TGID_X_EN: 1
; COMPUTE_PGM_RSRC2:TGID_Y_EN: 1
; COMPUTE_PGM_RSRC2:TGID_Z_EN: 1
; COMPUTE_PGM_RSRC2:TIDIG_COMP_CNT: 0
; COMPUTE_PGM_RSRC3_GFX90A:ACCUM_OFFSET: 12
; COMPUTE_PGM_RSRC3_GFX90A:TG_SPLIT: 0
	.section	.text._ZL18flash_attn_ext_f16ILi112ELi112ELi16ELi1ELb0ELb0EEvPKcS1_S1_S1_S1_PKiPfP15HIP_vector_typeIfLj2EEffffjfiS5_IjLj3EEiiiiiiiiiiiliiliiiiil,"axG",@progbits,_ZL18flash_attn_ext_f16ILi112ELi112ELi16ELi1ELb0ELb0EEvPKcS1_S1_S1_S1_PKiPfP15HIP_vector_typeIfLj2EEffffjfiS5_IjLj3EEiiiiiiiiiiiliiliiiiil,comdat
	.globl	_ZL18flash_attn_ext_f16ILi112ELi112ELi16ELi1ELb0ELb0EEvPKcS1_S1_S1_S1_PKiPfP15HIP_vector_typeIfLj2EEffffjfiS5_IjLj3EEiiiiiiiiiiiliiliiiiil ; -- Begin function _ZL18flash_attn_ext_f16ILi112ELi112ELi16ELi1ELb0ELb0EEvPKcS1_S1_S1_S1_PKiPfP15HIP_vector_typeIfLj2EEffffjfiS5_IjLj3EEiiiiiiiiiiiliiliiiiil
	.p2align	8
	.type	_ZL18flash_attn_ext_f16ILi112ELi112ELi16ELi1ELb0ELb0EEvPKcS1_S1_S1_S1_PKiPfP15HIP_vector_typeIfLj2EEffffjfiS5_IjLj3EEiiiiiiiiiiiliiliiiiil,@function
_ZL18flash_attn_ext_f16ILi112ELi112ELi16ELi1ELb0ELb0EEvPKcS1_S1_S1_S1_PKiPfP15HIP_vector_typeIfLj2EEffffjfiS5_IjLj3EEiiiiiiiiiiiliiliiiiil: ; @_ZL18flash_attn_ext_f16ILi112ELi112ELi16ELi1ELb0ELb0EEvPKcS1_S1_S1_S1_PKiPfP15HIP_vector_typeIfLj2EEffffjfiS5_IjLj3EEiiiiiiiiiiiliiliiiiil
; %bb.0:
	s_load_dwordx2 s[14:15], s[4:5], 0x80
	s_load_dwordx4 s[64:67], s[4:5], 0x64
	s_add_u32 flat_scratch_lo, s6, s9
	s_addc_u32 flat_scratch_hi, s7, 0
	s_add_u32 s0, s0, s9
	s_addc_u32 s1, s1, 0
	s_waitcnt lgkmcnt(0)
	s_abs_i32 s6, s15
	v_cvt_f32_u32_e32 v1, s6
	s_sub_i32 s10, 0, s6
	s_abs_i32 s9, s65
	s_xor_b32 s7, s65, s15
	v_rcp_iflag_f32_e32 v1, v1
	s_ashr_i32 s7, s7, 31
                                        ; implicit-def: $vgpr214 : SGPR spill to VGPR lane
	s_load_dword s70, s[4:5], 0xd0
	s_mov_b32 s69, s8
	v_mul_f32_e32 v1, 0x4f7ffffe, v1
	v_cvt_u32_f32_e32 v1, v1
	s_mov_b32 s8, 0
	s_waitcnt lgkmcnt(0)
	v_cvt_f32_u32_e32 v2, s70
	v_cvt_f32_ubyte0_e32 v3, 0
	v_readfirstlane_b32 s11, v1
	s_mul_i32 s10, s10, s11
	s_mul_hi_u32 s10, s11, s10
	s_add_i32 s11, s11, s10
	s_mul_hi_u32 s10, s9, s11
	s_mul_i32 s11, s10, s6
	s_sub_i32 s9, s9, s11
	s_add_i32 s12, s10, 1
	s_sub_i32 s11, s9, s6
	s_cmp_ge_u32 s9, s6
	s_cselect_b32 s10, s12, s10
	s_cselect_b32 s9, s11, s9
	s_add_i32 s11, s10, 1
	s_cmp_ge_u32 s9, s6
	s_cselect_b32 s6, s11, s10
	s_add_i32 s9, s14, 63
	s_xor_b32 s6, s6, s7
	s_ashr_i32 s10, s9, 31
	s_sub_i32 s7, s6, s7
	s_lshr_b32 s6, s10, 26
	s_add_i32 s9, s9, s6
	s_add_i32 s6, s64, 15
	s_lshr_b32 s6, s6, 4
	s_ashr_i32 s9, s9, 6
	v_writelane_b32 v214, s6, 0
	v_writelane_b32 v214, s9, 1
	s_mul_i32 s6, s6, s9
	v_writelane_b32 v214, s7, 2
	v_writelane_b32 v214, s6, 3
	s_mul_i32 s7, s6, s7
	s_mov_b32 s6, s14
	v_writelane_b32 v214, s6, 4
	v_writelane_b32 v214, s7, 5
	s_mul_i32 s6, s7, s15
	s_mul_i32 s10, s6, s66
	v_writelane_b32 v214, s7, 6
	s_ashr_i32 s11, s10, 31
	v_writelane_b32 v214, s6, 7
	s_mul_i32 s6, s11, s69
	s_mul_hi_u32 s7, s10, s69
	s_add_i32 s9, s7, s6
	s_mul_i32 s12, s10, s69
	s_cmp_lg_u64 s[8:9], 0
	s_cbranch_scc0 .LBB19_2
; %bb.1:
	v_madmk_f32 v1, v3, 0x4f800000, v2
	v_rcp_f32_e32 v1, v1
	s_sub_u32 s8, 0, s70
	s_subb_u32 s13, 0, 0
	s_mov_b64 s[6:7], 0
	v_mul_f32_e32 v1, 0x5f7ffffc, v1
	v_mul_f32_e32 v4, 0x2f800000, v1
	v_trunc_f32_e32 v4, v4
	v_madmk_f32 v1, v4, 0xcf800000, v1
	v_cvt_u32_f32_e32 v4, v4
	v_cvt_u32_f32_e32 v1, v1
	v_readfirstlane_b32 s14, v4
	v_readfirstlane_b32 s15, v1
	s_mul_hi_u32 s17, s8, s15
	s_mul_i32 s18, s8, s14
	s_mul_i32 s16, s13, s15
	s_add_i32 s17, s17, s18
	s_add_i32 s17, s17, s16
	s_mul_i32 s19, s8, s15
	s_mul_hi_u32 s16, s15, s17
	s_mul_i32 s18, s15, s17
	s_mul_hi_u32 s15, s15, s19
	s_add_u32 s15, s15, s18
	s_addc_u32 s16, 0, s16
	s_mul_hi_u32 s20, s14, s19
	s_mul_i32 s19, s14, s19
	s_add_u32 s15, s15, s19
	s_mul_hi_u32 s18, s14, s17
	s_addc_u32 s15, s16, s20
	s_addc_u32 s16, s18, 0
	s_mul_i32 s17, s14, s17
	s_add_u32 s15, s15, s17
	s_addc_u32 s16, 0, s16
	v_add_co_u32_e32 v1, vcc, s15, v1
	s_cmp_lg_u64 vcc, 0
	s_addc_u32 s14, s14, s16
	v_readfirstlane_b32 s16, v1
	s_mul_i32 s15, s8, s14
	s_mul_hi_u32 s17, s8, s16
	s_add_i32 s15, s17, s15
	s_mul_i32 s13, s13, s16
	s_add_i32 s15, s15, s13
	s_mul_i32 s8, s8, s16
	s_mul_hi_u32 s17, s14, s8
	s_mul_i32 s18, s14, s8
	s_mul_i32 s20, s16, s15
	s_mul_hi_u32 s8, s16, s8
	s_mul_hi_u32 s19, s16, s15
	s_add_u32 s8, s8, s20
	s_addc_u32 s16, 0, s19
	s_add_u32 s8, s8, s18
	s_mul_hi_u32 s13, s14, s15
	s_addc_u32 s8, s16, s17
	s_addc_u32 s13, s13, 0
	s_mul_i32 s15, s14, s15
	s_add_u32 s8, s8, s15
	s_addc_u32 s13, 0, s13
	v_add_co_u32_e32 v1, vcc, s8, v1
	s_cmp_lg_u64 vcc, 0
	s_addc_u32 s13, s14, s13
	s_ashr_i32 s14, s9, 31
	s_add_u32 s8, s12, s14
	s_mov_b32 s15, s14
	s_addc_u32 s9, s9, s14
	s_xor_b64 s[8:9], s[8:9], s[14:15]
	v_readfirstlane_b32 s18, v1
	s_mul_i32 s17, s8, s13
	s_mul_hi_u32 s19, s8, s18
	s_mul_hi_u32 s16, s8, s13
	s_add_u32 s17, s19, s17
	s_addc_u32 s16, 0, s16
	s_mul_hi_u32 s20, s9, s18
	s_mul_i32 s18, s9, s18
	s_add_u32 s17, s17, s18
	s_mul_hi_u32 s19, s9, s13
	s_addc_u32 s16, s16, s20
	s_addc_u32 s17, s19, 0
	s_mul_i32 s13, s9, s13
	s_add_u32 s13, s16, s13
	s_addc_u32 s16, 0, s17
	s_add_u32 s17, s13, 1
	s_addc_u32 s18, s16, 0
	s_add_u32 s19, s13, 2
	s_mul_i32 s21, s70, s16
	s_mul_hi_u32 s22, s70, s13
	s_addc_u32 s20, s16, 0
	s_add_i32 s22, s22, s21
	s_mul_i32 s21, s70, s13
	v_mov_b32_e32 v1, s21
	v_sub_co_u32_e32 v1, vcc, s8, v1
	s_cmp_lg_u64 vcc, 0
	s_subb_u32 s8, s9, s22
	v_subrev_co_u32_e32 v4, vcc, s70, v1
	s_cmp_lg_u64 vcc, 0
	s_subb_u32 s9, s8, 0
	v_readfirstlane_b32 s21, v4
	s_cmp_ge_u32 s21, s70
	s_cselect_b32 s21, -1, 0
	s_cmp_eq_u32 s9, 0
	s_cselect_b32 s9, s21, -1
	s_cmp_lg_u32 s9, 0
	s_cselect_b32 s9, s20, s18
	v_readfirstlane_b32 s18, v1
	s_cselect_b32 s17, s19, s17
	s_cmp_ge_u32 s18, s70
	s_cselect_b32 s18, -1, 0
	s_cmp_eq_u32 s8, 0
	s_cselect_b32 s8, s18, -1
	s_cmp_lg_u32 s8, 0
	s_cselect_b32 s9, s9, s16
	s_cselect_b32 s8, s17, s13
	s_xor_b64 s[8:9], s[8:9], s[14:15]
	s_sub_u32 s90, s8, s14
	s_branch .LBB19_3
.LBB19_2:
	s_mov_b64 s[6:7], -1
                                        ; implicit-def: $sgpr90_sgpr91
.LBB19_3:
	s_load_dwordx2 s[8:9], s[4:5], 0x74
	v_cvt_f32_u32_e32 v1, s70
	s_andn2_b64 vcc, exec, s[6:7]
	s_waitcnt lgkmcnt(0)
	v_writelane_b32 v214, s8, 8
	v_writelane_b32 v214, s9, 9
	s_cbranch_vccnz .LBB19_5
; %bb.4:
	v_rcp_iflag_f32_e32 v4, v1
	s_sub_i32 s6, 0, s70
	v_mul_f32_e32 v4, 0x4f7ffffe, v4
	v_cvt_u32_f32_e32 v4, v4
	v_readfirstlane_b32 s7, v4
	s_mul_i32 s6, s6, s7
	s_mul_hi_u32 s6, s7, s6
	s_add_i32 s7, s7, s6
	s_mul_hi_u32 s6, s12, s7
	s_mul_i32 s8, s6, s70
	s_sub_i32 s8, s12, s8
	s_add_i32 s7, s6, 1
	s_sub_i32 s9, s8, s70
	s_cmp_ge_u32 s8, s70
	s_cselect_b32 s6, s7, s6
	s_cselect_b32 s8, s9, s8
	s_add_i32 s7, s6, 1
	s_cmp_ge_u32 s8, s70
	s_cselect_b32 s90, s7, s6
.LBB19_5:
	s_add_i32 s6, s69, 1
	s_mul_i32 s7, s11, s6
	s_mul_hi_u32 s8, s10, s6
	s_add_i32 s9, s8, s7
	s_mov_b32 s8, 0
	s_cmp_lg_u64 s[8:9], 0
	s_mul_i32 s8, s10, s6
	s_cbranch_scc0 .LBB19_7
; %bb.6:
	v_madmk_f32 v2, v3, 0x4f800000, v2
	v_rcp_f32_e32 v2, v2
	s_sub_u32 s10, 0, s70
	s_subb_u32 s11, 0, 0
	s_mov_b64 s[6:7], 0
	v_mul_f32_e32 v2, 0x5f7ffffc, v2
	v_mul_f32_e32 v3, 0x2f800000, v2
	v_trunc_f32_e32 v3, v3
	v_madmk_f32 v2, v3, 0xcf800000, v2
	v_cvt_u32_f32_e32 v3, v3
	v_cvt_u32_f32_e32 v2, v2
	v_readfirstlane_b32 s12, v3
	v_readfirstlane_b32 s13, v2
	s_mul_hi_u32 s15, s10, s13
	s_mul_i32 s16, s10, s12
	s_mul_i32 s14, s11, s13
	s_add_i32 s15, s15, s16
	s_add_i32 s15, s15, s14
	s_mul_i32 s17, s10, s13
	s_mul_hi_u32 s14, s13, s15
	s_mul_i32 s16, s13, s15
	s_mul_hi_u32 s13, s13, s17
	s_add_u32 s13, s13, s16
	s_addc_u32 s14, 0, s14
	s_mul_hi_u32 s18, s12, s17
	s_mul_i32 s17, s12, s17
	s_add_u32 s13, s13, s17
	s_mul_hi_u32 s16, s12, s15
	s_addc_u32 s13, s14, s18
	s_addc_u32 s14, s16, 0
	s_mul_i32 s15, s12, s15
	s_add_u32 s13, s13, s15
	s_addc_u32 s14, 0, s14
	v_add_co_u32_e32 v2, vcc, s13, v2
	s_cmp_lg_u64 vcc, 0
	s_addc_u32 s12, s12, s14
	v_readfirstlane_b32 s14, v2
	s_mul_i32 s13, s10, s12
	s_mul_hi_u32 s15, s10, s14
	s_add_i32 s13, s15, s13
	s_mul_i32 s11, s11, s14
	s_add_i32 s13, s13, s11
	s_mul_i32 s10, s10, s14
	s_mul_hi_u32 s15, s12, s10
	s_mul_i32 s16, s12, s10
	s_mul_i32 s18, s14, s13
	s_mul_hi_u32 s10, s14, s10
	s_mul_hi_u32 s17, s14, s13
	s_add_u32 s10, s10, s18
	s_addc_u32 s14, 0, s17
	s_add_u32 s10, s10, s16
	s_mul_hi_u32 s11, s12, s13
	s_addc_u32 s10, s14, s15
	s_addc_u32 s11, s11, 0
	s_mul_i32 s13, s12, s13
	s_add_u32 s10, s10, s13
	s_addc_u32 s11, 0, s11
	v_add_co_u32_e32 v2, vcc, s10, v2
	s_cmp_lg_u64 vcc, 0
	s_addc_u32 s14, s12, s11
	s_ashr_i32 s10, s9, 31
	s_add_u32 s12, s8, s10
	s_mov_b32 s11, s10
	s_addc_u32 s13, s9, s10
	s_xor_b64 s[12:13], s[12:13], s[10:11]
	v_readfirstlane_b32 s16, v2
	s_mul_i32 s15, s12, s14
	s_mul_hi_u32 s17, s12, s16
	s_mul_hi_u32 s9, s12, s14
	s_add_u32 s15, s17, s15
	s_addc_u32 s9, 0, s9
	s_mul_hi_u32 s18, s13, s16
	s_mul_i32 s16, s13, s16
	s_add_u32 s15, s15, s16
	s_mul_hi_u32 s17, s13, s14
	s_addc_u32 s9, s9, s18
	s_addc_u32 s15, s17, 0
	s_mul_i32 s14, s13, s14
	s_add_u32 s9, s9, s14
	s_addc_u32 s14, 0, s15
	s_add_u32 s15, s9, 1
	s_addc_u32 s16, s14, 0
	s_add_u32 s17, s9, 2
	s_mul_i32 s19, s70, s14
	s_mul_hi_u32 s20, s70, s9
	s_addc_u32 s18, s14, 0
	s_add_i32 s20, s20, s19
	s_mul_i32 s19, s70, s9
	v_mov_b32_e32 v2, s19
	v_sub_co_u32_e32 v2, vcc, s12, v2
	s_cmp_lg_u64 vcc, 0
	s_subb_u32 s12, s13, s20
	v_subrev_co_u32_e32 v3, vcc, s70, v2
	s_cmp_lg_u64 vcc, 0
	s_subb_u32 s13, s12, 0
	v_readfirstlane_b32 s19, v3
	s_cmp_ge_u32 s19, s70
	s_cselect_b32 s19, -1, 0
	s_cmp_eq_u32 s13, 0
	s_cselect_b32 s13, s19, -1
	s_cmp_lg_u32 s13, 0
	s_cselect_b32 s13, s18, s16
	v_readfirstlane_b32 s16, v2
	s_cselect_b32 s15, s17, s15
	s_cmp_ge_u32 s16, s70
	s_cselect_b32 s16, -1, 0
	s_cmp_eq_u32 s12, 0
	s_cselect_b32 s12, s16, -1
	s_cmp_lg_u32 s12, 0
	s_cselect_b32 s13, s13, s14
	s_cselect_b32 s12, s15, s9
	s_xor_b64 s[12:13], s[12:13], s[10:11]
	s_sub_u32 s10, s12, s10
	v_writelane_b32 v214, s10, 12
	v_writelane_b32 v214, s11, 13
	s_branch .LBB19_8
.LBB19_7:
	s_mov_b64 s[6:7], -1
                                        ; implicit-def: $sgpr10_sgpr11
                                        ; kill: killed $sgpr10_sgpr11
.LBB19_8:
	s_load_dwordx2 s[10:11], s[4:5], 0x5c
	s_andn2_b64 vcc, exec, s[6:7]
	s_waitcnt lgkmcnt(0)
	v_writelane_b32 v214, s10, 10
	v_writelane_b32 v214, s11, 11
	s_cbranch_vccnz .LBB19_10
; %bb.9:
	v_rcp_iflag_f32_e32 v1, v1
	s_sub_i32 s6, 0, s70
	v_mul_f32_e32 v1, 0x4f7ffffe, v1
	v_cvt_u32_f32_e32 v1, v1
	v_readfirstlane_b32 s7, v1
	s_mul_i32 s6, s6, s7
	s_mul_hi_u32 s6, s7, s6
	s_add_i32 s7, s7, s6
	s_mul_hi_u32 s6, s8, s7
	s_mul_i32 s9, s6, s70
	s_sub_i32 s8, s8, s9
	s_add_i32 s7, s6, 1
	s_sub_i32 s9, s8, s70
	s_cmp_ge_u32 s8, s70
	s_cselect_b32 s6, s7, s6
	s_cselect_b32 s8, s9, s8
	s_add_i32 s7, s6, 1
	s_cmp_ge_u32 s8, s70
	s_cselect_b32 s6, s7, s6
	v_writelane_b32 v214, s6, 12
	v_writelane_b32 v214, s7, 13
.LBB19_10:
	s_load_dwordx16 s[48:63], s[4:5], 0x0
	s_load_dwordx4 s[20:23], s[4:5], 0x40
	s_load_dword s6, s[4:5], 0x50
	s_ashr_i32 s82, s67, 3
	v_bfe_u32 v69, v0, 10, 10
	s_mov_b32 s99, 0
	v_lshlrev_b32_e32 v67, 1, v69
	s_waitcnt lgkmcnt(0)
	v_writelane_b32 v214, s6, 14
	s_load_dwordx2 s[6:7], s[4:5], 0x8c
	s_load_dwordx4 s[8:11], s[4:5], 0x98
	s_load_dwordx2 s[12:13], s[4:5], 0xa8
	s_load_dwordx2 s[24:25], s[4:5], 0xb8
	s_nop 0
	s_load_dwordx2 s[4:5], s[4:5], 0xc8
	v_lshlrev_b32_e32 v73, 2, v69
	s_waitcnt lgkmcnt(0)
	s_ashr_i32 s78, s6, 2
	s_ashr_i32 s66, s10, 2
	v_writelane_b32 v214, s12, 15
	v_writelane_b32 v214, s13, 16
	;; [unrolled: 1-line block ×4, first 2 shown]
	v_readlane_b32 s12, v214, 1
	s_abs_i32 s97, s12
	v_cvt_f32_u32_e32 v1, s97
	s_mov_b32 s5, s7
	v_writelane_b32 v214, s4, 19
	v_writelane_b32 v214, s5, 20
	v_rcp_iflag_f32_e32 v1, v1
	s_mov_b64 s[4:5], s[8:9]
	s_mov_b32 s7, s11
	v_writelane_b32 v214, s4, 21
	v_mul_f32_e32 v1, 0x4f7ffffe, v1
	v_cvt_u32_f32_e32 v1, v1
	v_writelane_b32 v214, s5, 22
	v_writelane_b32 v214, s6, 23
	;; [unrolled: 1-line block ×3, first 2 shown]
	s_sub_i32 s6, 0, s97
	v_readfirstlane_b32 s7, v1
	s_mul_i32 s6, s6, s7
	s_ashr_i32 s5, s12, 31
	s_mul_hi_u32 s6, s7, s6
	v_writelane_b32 v214, s5, 25
	s_abs_i32 s5, s90
	s_add_i32 s33, s7, s6
	s_mul_hi_u32 s6, s5, s33
	s_mul_i32 s6, s6, s97
	s_sub_i32 s5, s5, s6
	s_ashr_i32 s72, s25, 1
	s_ashr_i32 s4, s90, 31
	s_sub_i32 s6, s5, s97
	s_cmp_ge_u32 s5, s97
	s_cselect_b32 s5, s6, s5
	s_sub_i32 s6, s5, s97
	s_cmp_ge_u32 s5, s97
	s_cselect_b32 s5, s6, s5
	s_xor_b32 s5, s5, s4
	s_sub_i32 s40, s5, s4
	v_readlane_b32 s4, v214, 12
	s_mov_b32 s10, s4
	s_sub_i32 s4, s4, s90
	s_add_i32 s6, s4, s40
	s_min_i32 s68, s12, s6
	s_cmp_gt_i32 s10, s90
	v_readlane_b32 s5, v214, 13
	s_cselect_b64 s[8:9], -1, 0
	s_cmp_le_i32 s10, s90
	v_cvt_f16_f32_e32 v1, s20
	s_cselect_b64 s[4:5], -1, 0
	s_cmp_gt_i32 s12, s6
	s_cselect_b64 s[6:7], -1, 0
	s_or_b64 s[4:5], s[6:7], s[4:5]
	s_and_b64 vcc, exec, s[4:5]
	v_pack_b32_f16 v51, v1, v1
	v_lshlrev_b32_e32 v71, 4, v69
	v_and_b32_e32 v75, 3, v69
	s_cbranch_vccz .LBB19_13
; %bb.11:
	s_andn2_b64 vcc, exec, s[8:9]
	s_cbranch_vccz .LBB19_251
.LBB19_12:
	s_endpgm
.LBB19_13:
	s_cmp_lg_u64 s[54:55], 0
	v_writelane_b32 v214, s70, 26
	s_cselect_b64 s[4:5], -1, 0
	v_writelane_b32 v214, s4, 27
	s_cmp_eq_u64 s[56:57], 0
	v_writelane_b32 v214, s5, 28
	s_cselect_b64 s[4:5], -1, 0
	v_writelane_b32 v214, s4, 29
	s_cmp_lg_u64 s[58:59], 0
	v_writelane_b32 v214, s5, 30
	s_cselect_b64 s[4:5], -1, 0
	v_and_b32_e32 v18, 0x3ff, v0
	v_writelane_b32 v214, s4, 31
	v_lshrrev_b32_e32 v2, 3, v18
	v_writelane_b32 v214, s5, 32
	v_and_b32_e32 v20, 15, v18
	v_and_b32_e32 v3, 0x3f0, v73
	s_movk_i32 s4, 0xf0
	v_and_b32_e32 v7, 30, v2
	v_mad_u32_u24 v5, v3, s4, 0
	v_mul_u32_u24_e32 v6, 0xf0, v20
	v_lshlrev_b32_e32 v8, 2, v7
	v_add3_u32 v79, v5, v6, v8
	v_lshrrev_b32_e32 v5, 1, v18
	v_lshlrev_b32_e32 v9, 2, v18
	v_lshl_add_u32 v81, v69, 5, v5
	v_and_b32_e32 v22, 4, v9
	v_mad_u32_u24 v5, v81, s4, 0
	v_lshlrev_b32_e32 v10, 2, v22
	s_movk_i32 s8, 0xc0
	v_and_b32_e32 v12, 48, v71
	v_add3_u32 v82, v5, v10, s8
	v_lshrrev_b32_e32 v5, 2, v18
	v_mad_u32_u24 v13, v12, s4, 0
	v_add3_u32 v84, v13, v6, v8
	v_and_b32_e32 v6, 60, v5
	v_add_u16_e32 v8, v12, v6
	v_or_b32_e32 v3, v3, v20
	v_lshrrev_b16_e32 v8, 1, v8
	v_mul_u32_u24_e32 v3, 0x90, v3
	v_lshlrev_b32_e32 v8, 2, v8
	v_add_u32_e32 v83, v71, v5
	v_add3_u32 v86, 0, v3, v8
	v_or_b32_e32 v3, 3, v5
	v_mul_u32_u24_e32 v5, 0x78, v6
	v_or_b32_e32 v5, v5, v20
	v_mul_u32_u24_e32 v3, 0xf0, v3
	v_lshl_add_u32 v87, v5, 1, v13
	v_lshlrev_b32_e32 v5, 1, v20
	v_and_b32_e32 v24, 12, v9
	v_lshl_add_u32 v77, v69, 3, v2
	v_mad_u32_u24 v10, v83, s4, 0
	v_add3_u32 v89, v13, v3, v5
	s_movk_i32 s70, 0x80
	v_lshlrev_b32_e32 v3, 2, v24
	v_and_b32_e32 v26, 28, v9
	s_lshl_b32 s98, s69, 4
	s_ashr_i32 s73, s72, 31
	s_ashr_i32 s79, s78, 31
	s_ashr_i32 s67, s66, 31
	v_mul_u32_u24_e32 v11, 0xf0, v77
	v_add3_u32 v90, v10, v3, s70
	v_lshlrev_b32_e32 v3, 2, v26
	s_lshl_b64 s[4:5], s[98:99], 3
	v_add3_u32 v91, 0, v11, v3
	s_add_u32 s4, s62, s4
	v_or_b32_e32 v3, v73, v18
	v_add_u32_e32 v85, v12, v6
	v_mul_u32_u24_e32 v6, 0xf0, v6
	s_addc_u32 s5, s63, s5
	v_lshlrev_b32_e32 v3, 3, v3
	v_add3_u32 v88, v13, v6, v5
	v_mov_b32_e32 v5, s5
	v_add_co_u32_e32 v28, vcc, s4, v3
	v_or_b32_e32 v3, v71, v20
	v_lshrrev_b32_e32 v1, 5, v18
	v_addc_co_u32_e32 v29, vcc, 0, v5, vcc
	v_mad_u32_u24 v5, v3, 60, v7
	v_lshrrev_b32_e32 v3, 1, v69
	v_add_u32_e32 v92, v1, v3
	v_add_u32_e32 v94, v2, v67
	v_lshlrev_b32_e32 v2, 2, v92
	v_and_b32_e32 v3, 15, v92
	s_movk_i32 s4, 0x3c0
	v_add_u32_e32 v95, 2, v92
	v_and_or_b32 v6, v2, s4, v3
	v_lshlrev_b32_e32 v2, 2, v95
	v_and_b32_e32 v3, 15, v95
	s_movk_i32 s4, 0x7c0
	v_add_u32_e32 v96, 4, v92
	v_and_or_b32 v7, v2, s4, v3
	v_lshlrev_b32_e32 v2, 2, v96
	v_and_b32_e32 v3, 15, v96
	v_add_u32_e32 v97, 6, v92
	v_and_or_b32 v8, v2, s4, v3
	v_lshlrev_b32_e32 v2, 2, v97
	v_and_b32_e32 v3, 15, v97
	;; [unrolled: 4-line block ×4, first 2 shown]
	v_add_u32_e32 v100, 12, v92
	v_lshrrev_b32_e32 v4, 4, v18
	v_and_or_b32 v11, v2, s4, v3
	v_lshlrev_b32_e32 v2, 2, v100
	v_and_b32_e32 v3, 15, v100
	v_add_u32_e32 v101, 14, v92
	v_add_u32_e32 v93, v4, v69
	v_and_or_b32 v12, v2, s4, v3
	v_lshlrev_b32_e32 v2, 2, v101
	v_and_b32_e32 v3, 15, v101
	v_and_or_b32 v13, v2, s4, v3
	v_lshlrev_b32_e32 v2, 2, v93
	v_and_b32_e32 v3, 15, v93
	v_add_u32_e32 v102, 4, v93
	v_and_or_b32 v14, v2, s4, v3
	v_lshlrev_b32_e32 v2, 2, v102
	v_and_b32_e32 v3, 15, v102
	s_movk_i32 s4, 0xfc0
	v_add_u32_e32 v103, 8, v93
	v_and_or_b32 v15, v2, s4, v3
	v_lshlrev_b32_e32 v2, 2, v103
	v_and_b32_e32 v3, 15, v103
	v_add_u32_e32 v104, 12, v93
	v_writelane_b32 v214, s69, 33
	v_and_or_b32 v16, v2, s4, v3
	v_lshlrev_b32_e32 v2, 2, v104
	v_and_b32_e32 v3, 15, v104
	v_and_or_b32 v17, v2, s4, v3
	v_lshlrev_b32_e32 v2, 2, v94
	v_and_b32_e32 v3, 15, v94
	v_readlane_b32 s19, v214, 6
	v_and_or_b32 v19, v2, s4, v3
	s_abs_i32 s4, s19
	v_cvt_f32_u32_e32 v21, s4
	v_readlane_b32 s17, v214, 7
	v_add_u32_e32 v105, 8, v94
	s_abs_i32 s20, s17
	s_movk_i32 s5, 0x1fc0
	v_lshlrev_b32_e32 v3, 2, v105
	v_and_b32_e32 v23, 15, v105
	v_readlane_b32 s18, v214, 3
	v_cvt_f32_u32_e32 v2, s20
	v_and_or_b32 v23, v3, s5, v23
	s_abs_i32 s5, s18
	v_rcp_iflag_f32_e32 v3, v21
	v_cvt_f32_u32_e32 v21, s5
	v_rcp_iflag_f32_e32 v2, v2
	s_mov_b32 s6, s24
	s_abs_i32 s24, s24
	v_cvt_f32_u32_e32 v25, s24
	v_rcp_iflag_f32_e32 v21, v21
	v_mul_f32_e32 v2, 0x4f7ffffe, v2
	v_cvt_u32_f32_e32 v2, v2
	v_mul_f32_e32 v3, 0x4f7ffffe, v3
	v_rcp_iflag_f32_e32 v25, v25
	v_mul_f32_e32 v21, 0x4f7ffffe, v21
	v_cvt_u32_f32_e32 v3, v3
	v_cvt_u32_f32_e32 v21, v21
	v_mul_f32_e32 v25, 0x4f7ffffe, v25
	v_readfirstlane_b32 s9, v2
	v_mul_lo_u32 v2, s66, v81
	v_cvt_u32_f32_e32 v25, v25
	v_readfirstlane_b32 s14, v3
	v_readfirstlane_b32 s15, v21
	v_ashrrev_i32_e32 v3, 31, v2
	v_and_b32_e32 v21, 1, v18
	v_lshlrev_b32_e32 v21, 4, v21
	v_lshlrev_b64 v[30:31], 2, v[2:3]
	v_add_co_u32_e32 v2, vcc, v21, v30
	v_addc_co_u32_e32 v3, vcc, 0, v31, vcc
	v_readfirstlane_b32 s16, v25
	v_mov_b32_e32 v25, s53
	v_add_co_u32_e32 v27, vcc, s52, v2
	v_mul_lo_u32 v2, s66, v83
	v_addc_co_u32_e32 v25, vcc, v3, v25, vcc
	v_ashrrev_i32_e32 v3, 31, v2
	v_and_b32_e32 v32, 3, v18
	v_lshlrev_b32_e32 v37, 4, v32
	v_lshlrev_b64 v[32:33], 2, v[2:3]
	v_add_co_u32_e32 v2, vcc, v37, v32
	v_addc_co_u32_e32 v3, vcc, 0, v33, vcc
	v_mov_b32_e32 v34, s53
	v_add_co_u32_e32 v49, vcc, s52, v2
	v_mul_lo_u32 v2, s66, v77
	v_addc_co_u32_e32 v52, vcc, v3, v34, vcc
	v_ashrrev_i32_e32 v3, 31, v2
	v_and_b32_e32 v36, 7, v18
	v_lshlrev_b64 v[34:35], 2, v[2:3]
	v_lshlrev_b32_e32 v48, 4, v36
	v_add_co_u32_e32 v2, vcc, v48, v34
	v_addc_co_u32_e32 v3, vcc, 0, v35, vcc
	v_add_u32_e32 v108, 32, v77
	v_mov_b32_e32 v38, s53
	v_add_co_u32_e32 v106, vcc, s52, v2
	v_mul_lo_u32 v2, s66, v108
	v_addc_co_u32_e32 v107, vcc, v38, v3, vcc
	v_ashrrev_i32_e32 v3, 31, v2
	v_writelane_b32 v214, s6, 34
	v_lshlrev_b64 v[38:39], 2, v[2:3]
	v_writelane_b32 v214, s7, 35
	v_add_co_u32_e32 v2, vcc, v48, v38
	s_mul_i32 s6, s64, s65
	v_addc_co_u32_e32 v3, vcc, 0, v39, vcc
	v_writelane_b32 v214, s6, 36
	s_mov_b64 s[26:27], s[22:23]
	s_mov_b32 s25, s21
	v_mov_b32_e32 v40, s53
	v_add_co_u32_e32 v109, vcc, s52, v2
	v_mul_lo_u32 v2, s78, v81
	v_writelane_b32 v214, s24, 37
	v_addc_co_u32_e32 v110, vcc, v40, v3, vcc
	v_ashrrev_i32_e32 v3, 31, v2
	v_writelane_b32 v214, s25, 38
	v_lshlrev_b64 v[40:41], 2, v[2:3]
	v_writelane_b32 v214, s26, 39
	v_add_co_u32_e32 v2, vcc, v21, v40
	v_writelane_b32 v214, s27, 40
	v_cmp_nle_f32_e64 s[6:7], s21, 0
	v_addc_co_u32_e32 v3, vcc, 0, v41, vcc
	v_writelane_b32 v214, s6, 41
	v_mov_b32_e32 v21, s51
	v_add_co_u32_e32 v53, vcc, s50, v2
	v_mul_lo_u32 v2, s78, v83
	v_writelane_b32 v214, s7, 42
	v_cmp_gt_u32_e64 s[6:7], 16, v77
	v_addc_co_u32_e32 v21, vcc, v3, v21, vcc
	v_ashrrev_i32_e32 v3, 31, v2
	v_writelane_b32 v214, s6, 43
	v_lshlrev_b64 v[42:43], 2, v[2:3]
	v_writelane_b32 v214, s7, 44
	s_mul_i32 s21, s65, 56
	v_add_co_u32_e32 v2, vcc, v37, v42
	v_writelane_b32 v214, s21, 45
	s_ashr_i32 s17, s17, 31
	v_addc_co_u32_e32 v3, vcc, 0, v43, vcc
	v_writelane_b32 v214, s17, 46
	s_sub_i32 s17, 0, s20
	v_mov_b32_e32 v37, s51
	v_add_co_u32_e32 v54, vcc, s50, v2
	v_mul_lo_u32 v2, s78, v77
	s_mul_i32 s17, s17, s9
	v_addc_co_u32_e32 v37, vcc, v3, v37, vcc
	v_ashrrev_i32_e32 v3, 31, v2
	s_mul_hi_u32 s17, s9, s17
	v_lshlrev_b64 v[44:45], 2, v[2:3]
	v_writelane_b32 v214, s20, 47
	s_add_i32 s9, s9, s17
	v_add_co_u32_e32 v3, vcc, v48, v44
	v_writelane_b32 v214, s9, 48
	s_ashr_i32 s9, s19, 31
	v_addc_co_u32_e32 v46, vcc, 0, v45, vcc
	v_lshl_add_u32 v2, s78, 5, v2
	v_writelane_b32 v214, s9, 49
	s_sub_i32 s9, 0, s4
	v_mov_b32_e32 v47, s51
	v_add_co_u32_e32 v111, vcc, s50, v3
	v_ashrrev_i32_e32 v3, 31, v2
	s_mul_i32 s9, s9, s14
	v_addc_co_u32_e32 v112, vcc, v47, v46, vcc
	v_lshlrev_b64 v[46:47], 2, v[2:3]
	s_mul_hi_u32 s9, s14, s9
	v_add_co_u32_e32 v2, vcc, v48, v46
	v_add_u32_e32 v116, v73, v4
	v_writelane_b32 v214, s4, 50
	s_add_i32 s9, s14, s9
	v_addc_co_u32_e32 v3, vcc, 0, v47, vcc
	v_add_u32_e32 v115, v1, v67
	v_mad_u32_u24 v1, v116, 60, v20
	v_writelane_b32 v214, s9, 51
	s_ashr_i32 s9, s18, 31
	v_mov_b32_e32 v48, s51
	v_add_co_u32_e32 v113, vcc, s50, v2
	v_lshl_add_u32 v117, v1, 2, 0
	v_mad_u32_u24 v1, v77, 60, v36
	v_writelane_b32 v214, s9, 52
	s_sub_i32 s9, 0, s5
	v_addc_co_u32_e32 v114, vcc, v48, v3, vcc
	v_lshl_add_u32 v118, v1, 2, 0
	v_mul_u32_u24_e32 v1, 0x90, v69
	v_lshlrev_b32_e32 v48, 1, v18
	s_mul_i32 s9, s9, s15
	v_add3_u32 v119, 0, v1, v48
	v_add_u32_e32 v1, v71, v18
	v_and_b32_e32 v50, 31, v18
	s_mul_hi_u32 s9, s15, s9
	v_mul_u32_u24_e32 v120, 0xf0, v1
	v_mad_u32_u24 v1, v115, 60, v50
	v_writelane_b32 v214, s5, 53
	s_add_i32 s9, s15, s9
	v_lshl_add_u32 v122, v1, 2, 0
	v_mad_u32_u24 v1, v6, 60, v50
	v_writelane_b32 v214, s9, 54
	s_sub_i32 s9, 0, s24
	v_add_co_u32_e32 v151, vcc, s8, v27
	v_lshl_add_u32 v124, v1, 2, 0
	v_mad_u32_u24 v1, v7, 60, v50
	s_mul_i32 s9, s9, s16
	v_addc_co_u32_e32 v152, vcc, 0, v25, vcc
	v_lshl_add_u32 v126, v1, 2, 0
	v_mad_u32_u24 v1, v8, 60, v50
	s_mul_hi_u32 s9, s16, s9
	v_add_co_u32_e32 v153, vcc, s70, v49
	v_lshl_add_u32 v128, v1, 2, 0
	v_mad_u32_u24 v1, v9, 60, v50
	v_writelane_b32 v214, s24, 55
	s_add_i32 s9, s16, s9
	v_addc_co_u32_e32 v154, vcc, 0, v52, vcc
	v_lshl_add_u32 v130, v1, 2, 0
	v_mad_u32_u24 v1, v10, 60, v50
	v_writelane_b32 v214, s9, 56
	v_add_co_u32_e32 v155, vcc, s8, v53
	v_cmp_eq_u32_e64 s[8:9], 0, v75
	v_lshl_add_u32 v132, v1, 2, 0
	v_mad_u32_u24 v1, v11, 60, v50
	v_writelane_b32 v214, s8, 57
	v_lshl_add_u32 v134, v1, 2, 0
	v_mad_u32_u24 v1, v12, 60, v50
	v_writelane_b32 v214, s9, 58
	v_cmp_ne_u32_e64 s[8:9], 0, v75
	v_lshl_add_u32 v136, v1, 2, 0
	v_mad_u32_u24 v1, v13, 60, v50
	v_writelane_b32 v214, s8, 59
	v_lshl_add_u32 v138, v1, 2, 0
	v_mad_u32_u24 v1, v14, 60, v20
	v_writelane_b32 v214, s9, 60
	v_cmp_gt_u32_e64 s[8:9], 16, v18
	v_lshl_add_u32 v140, v1, 2, 0
	v_mad_u32_u24 v1, v15, 60, v20
	v_writelane_b32 v214, s8, 61
	v_lshl_add_u32 v142, v1, 2, 0
	v_mad_u32_u24 v1, v16, 60, v20
	v_writelane_b32 v214, s9, 62
	s_mov_b32 s8, s72
	v_lshl_add_u32 v144, v1, 2, 0
	v_mad_u32_u24 v1, v17, 60, v20
                                        ; implicit-def: $vgpr213 : SGPR spill to VGPR lane
	v_writelane_b32 v214, s8, 63
	v_lshl_add_u32 v146, v1, 2, 0
	v_mad_u32_u24 v1, v19, 60, v36
	v_writelane_b32 v213, s9, 0
	s_lshl_b64 s[8:9], s[72:73], 1
	v_lshl_add_u32 v148, v1, 2, 0
	v_mad_u32_u24 v1, v23, 60, v36
	v_addc_co_u32_e32 v156, vcc, 0, v21, vcc
	v_writelane_b32 v213, s8, 1
	s_mov_b64 s[74:75], src_private_base
	v_lshl_add_u32 v150, v1, 2, 0
	v_add_co_u32_e32 v157, vcc, s70, v54
	v_mbcnt_lo_u32_b32 v1, -1, 0
	v_writelane_b32 v213, s9, 2
	v_cmp_gt_u32_e64 s[6:7], 64, v18
	s_mov_b32 s74, 0
	v_cmp_gt_u32_e64 s[46:47], 64, v81
	v_cmp_gt_u32_e64 s[10:11], 64, v83
	;; [unrolled: 1-line block ×3, first 2 shown]
	v_lshl_add_u32 v121, v5, 2, 0
	v_mul_u32_u24_e32 v123, 0xf0, v6
	v_mul_u32_u24_e32 v125, 0xf0, v7
	;; [unrolled: 1-line block ×14, first 2 shown]
	v_addc_co_u32_e32 v158, vcc, 0, v37, vcc
	s_mov_b32 s27, 0x42b17218
	s_mov_b32 s65, 0x3fb8aa3b
	s_mov_b32 s92, 0xc2ce8ed0
	s_mov_b32 s93, 0xc1a00000
	s_mov_b32 s28, 0x5040100
	v_mbcnt_hi_u32_b32 v159, -1, v1
	v_mov_b32_e32 v160, 0
	v_add_u32_e32 v161, 4, v69
	v_add_u32_e32 v162, 0x240, v119
	;; [unrolled: 1-line block ×13, first 2 shown]
	v_or_b32_e32 v174, 1, v85
	v_or_b32_e32 v175, 2, v85
	;; [unrolled: 1-line block ×3, first 2 shown]
	v_add_u32_e32 v177, 8, v115
	v_mov_b32_e32 v178, 0x3ecccdef
	v_mov_b32_e32 v179, 0x37000000
	;; [unrolled: 1-line block ×4, first 2 shown]
	v_cmp_gt_u32_e64 s[14:15], 32, v77
	v_cmp_gt_u32_e64 s[16:17], 64, v85
	;; [unrolled: 1-line block ×5, first 2 shown]
	s_lshl_b64 s[86:87], s[66:67], 8
	s_lshl_b64 s[94:95], s[78:79], 8
	v_writelane_b32 v213, s82, 3
	v_writelane_b32 v213, s33, 4
	s_branch .LBB19_16
.LBB19_14:                              ;   in Loop: Header=BB19_16 Depth=1
	s_or_b64 exec, exec, s[8:9]
	s_barrier
.LBB19_15:                              ;   in Loop: Header=BB19_16 Depth=1
	v_readlane_b32 s26, v214, 1
	s_add_i32 s8, s90, s26
	s_abs_i32 s24, s8
	v_readlane_b32 s33, v213, 4
	s_mul_hi_u32 s25, s24, s33
	s_mul_i32 s25, s25, s97
	s_sub_i32 s24, s24, s25
	s_ashr_i32 s9, s8, 31
	s_sub_i32 s25, s24, s97
	s_cmp_ge_u32 s24, s97
	s_cselect_b32 s24, s25, s24
	s_sub_i32 s25, s24, s97
	s_cmp_ge_u32 s24, s97
	s_cselect_b32 s24, s25, s24
	s_xor_b32 s24, s24, s9
	s_sub_i32 s9, s9, s24
	s_add_i32 s90, s8, s9
	v_readlane_b32 s8, v214, 12
	s_sub_i32 s24, s8, s90
	s_min_i32 s68, s26, s24
	v_readlane_b32 s9, v214, 13
	s_cmp_gt_i32 s8, s90
	s_cselect_b64 s[8:9], -1, 0
	s_cmp_le_i32 s26, s24
	s_cselect_b64 s[24:25], -1, 0
	s_and_b64 s[24:25], s[24:25], s[8:9]
	s_mov_b32 s40, 0
	s_and_b64 vcc, exec, s[24:25]
	s_cbranch_vccz .LBB19_250
.LBB19_16:                              ; =>This Loop Header: Depth=1
                                        ;     Child Loop BB19_159 Depth 2
                                        ;     Child Loop BB19_40 Depth 2
	s_ashr_i32 s8, s90, 31
	v_readlane_b32 s9, v214, 46
	s_xor_b32 s8, s8, s9
	s_abs_i32 s9, s90
	v_readlane_b32 s24, v214, 48
	s_mul_hi_u32 s24, s9, s24
	v_readlane_b32 s29, v214, 47
	s_mul_i32 s25, s24, s29
	s_sub_i32 s9, s9, s25
	s_add_i32 s25, s24, 1
	s_sub_i32 s26, s9, s29
	s_cmp_ge_u32 s9, s29
	s_cselect_b32 s24, s25, s24
	s_cselect_b32 s9, s26, s9
	s_add_i32 s25, s24, 1
	s_cmp_ge_u32 s9, s29
	s_cselect_b32 s9, s25, s24
	s_xor_b32 s9, s9, s8
	s_sub_i32 s24, s9, s8
	v_readlane_b32 s8, v214, 27
	v_readlane_b32 s9, v214, 28
	s_ashr_i32 s25, s24, 31
	s_andn2_b64 vcc, exec, s[8:9]
	s_mov_b64 s[8:9], 0
	s_cbranch_vccnz .LBB19_18
; %bb.17:                               ;   in Loop: Header=BB19_16 Depth=1
	s_abs_i32 s8, s24
	v_readlane_b32 s9, v214, 56
	s_mul_hi_u32 s9, s8, s9
	v_readlane_b32 s26, v214, 55
	s_mul_i32 s9, s9, s26
	s_sub_i32 s8, s8, s9
	s_sub_i32 s9, s8, s26
	s_cmp_ge_u32 s8, s26
	s_cselect_b32 s8, s9, s8
	s_sub_i32 s9, s8, s26
	s_cmp_ge_u32 s8, s26
	s_cselect_b32 s8, s9, s8
	s_xor_b32 s8, s8, s25
	v_readlane_b32 s30, v214, 17
	s_sub_i32 s8, s8, s25
	v_readlane_b32 s31, v214, 18
	s_ashr_i32 s9, s8, 31
	s_mul_i32 s26, s8, s31
	s_mul_hi_u32 s29, s8, s30
	s_add_i32 s26, s29, s26
	s_mul_i32 s9, s9, s30
	s_add_i32 s26, s26, s9
	s_mul_i32 s8, s8, s30
	s_add_u32 s8, s54, s8
	s_addc_u32 s9, s55, s26
.LBB19_18:                              ;   in Loop: Header=BB19_16 Depth=1
	v_readlane_b32 s26, v214, 7
	s_mul_i32 s26, s24, s26
	s_sub_i32 s26, s90, s26
	s_ashr_i32 s29, s26, 31
	v_readlane_b32 s30, v214, 49
	s_xor_b32 s29, s29, s30
	s_abs_i32 s30, s26
	v_readlane_b32 s31, v214, 51
	s_mul_hi_u32 s31, s30, s31
	v_readlane_b32 s4, v214, 50
	s_mul_i32 s34, s31, s4
	s_sub_i32 s30, s30, s34
	s_add_i32 s34, s31, 1
	s_sub_i32 s35, s30, s4
	s_cmp_ge_u32 s30, s4
	s_cselect_b32 s31, s34, s31
	s_cselect_b32 s30, s35, s30
	s_add_i32 s34, s31, 1
	s_cmp_ge_u32 s30, s4
	s_cselect_b32 s30, s34, s31
	s_xor_b32 s30, s30, s29
	s_sub_i32 s41, s30, s29
	v_readlane_b32 s29, v214, 6
	s_mul_i32 s29, s41, s29
	s_sub_i32 s26, s26, s29
	s_ashr_i32 s29, s26, 31
	v_readlane_b32 s30, v214, 52
	s_xor_b32 s29, s29, s30
	s_abs_i32 s30, s26
	v_readlane_b32 s31, v214, 54
	s_mul_hi_u32 s31, s30, s31
	v_readlane_b32 s4, v214, 53
	s_mul_i32 s34, s31, s4
	s_sub_i32 s30, s30, s34
	s_add_i32 s34, s31, 1
	s_sub_i32 s35, s30, s4
	s_cmp_ge_u32 s30, s4
	s_cselect_b32 s31, s34, s31
	s_cselect_b32 s30, s35, s30
	s_add_i32 s34, s31, 1
	s_cmp_ge_u32 s30, s4
	s_cselect_b32 s30, s34, s31
	s_xor_b32 s30, s30, s29
	s_sub_i32 s29, s30, s29
	v_readlane_b32 s30, v214, 2
	s_mul_i32 s30, s41, s30
	s_add_i32 s38, s30, s29
	v_readlane_b32 s30, v214, 41
	v_readlane_b32 s31, v214, 42
	s_andn2_b64 vcc, exec, s[30:31]
	v_mov_b32_e32 v52, 1.0
	s_cbranch_vccnz .LBB19_20
; %bb.19:                               ;   in Loop: Header=BB19_16 Depth=1
	v_readlane_b32 s31, v214, 14
	s_sub_i32 s30, s38, s31
	s_lshl_b32 s30, s30, 1
	s_add_i32 s34, s38, 1
	s_or_b32 s35, s30, 1
	s_cmp_lt_u32 s38, s31
	v_readlane_b32 s80, v214, 37
	s_cselect_b64 vcc, -1, 0
	v_readlane_b32 s82, v214, 39
	v_readlane_b32 s83, v214, 40
	s_and_b64 s[30:31], vcc, exec
	v_mov_b32_e32 v1, s83
	v_mov_b32_e32 v2, s82
	s_cselect_b32 s30, s34, s35
	v_cndmask_b32_e32 v19, v1, v2, vcc
	v_cvt_f32_i32_e32 v1, s30
	v_cmp_neq_f32_e32 vcc, 1.0, v19
	s_mov_b32 s30, 0x3f2aaaab
	s_movk_i32 s34, 0x204
	v_cndmask_b32_e32 v21, 1.0, v1, vcc
	v_cmp_eq_f32_e32 vcc, 0, v21
	v_cndmask_b32_e64 v23, |v19|, 1.0, vcc
	v_frexp_mant_f32_e32 v1, v23
	v_cmp_gt_f32_e64 s[30:31], s30, v1
	v_cndmask_b32_e64 v2, 1.0, 2.0, s[30:31]
	v_mul_f32_e32 v1, v1, v2
	v_add_f32_e32 v2, 1.0, v1
	v_rcp_f32_e32 v10, v2
	v_add_f32_e32 v3, -1.0, v2
	v_sub_f32_e32 v5, v1, v3
	v_add_f32_e32 v3, -1.0, v1
	v_mul_f32_e32 v1, v3, v10
	v_mul_f32_e32 v4, v2, v1
	v_fma_f32 v6, v1, v2, -v4
	v_fmac_f32_e32 v6, v1, v5
	v_add_f32_e32 v2, v4, v6
	v_sub_f32_e32 v5, v3, v2
	v_pk_add_f32 v[8:9], v[2:3], v[4:5] neg_lo:[0,1] neg_hi:[0,1]
	v_mov_b32_e32 v7, v2
	v_pk_add_f32 v[2:3], v[8:9], v[6:7] neg_lo:[0,1] neg_hi:[0,1]
	v_add_f32_e32 v2, v2, v3
	v_add_f32_e32 v2, v5, v2
	v_mul_f32_e32 v3, v10, v2
	v_add_f32_e32 v2, v1, v3
	v_sub_f32_e32 v1, v2, v1
	v_sub_f32_e32 v1, v3, v1
	v_mul_f32_e32 v3, v2, v2
	v_fma_f32 v5, v2, v2, -v3
	v_add_f32_e32 v4, v1, v1
	v_fmac_f32_e32 v5, v2, v4
	v_add_f32_e32 v4, v3, v5
	v_mov_b32_e32 v6, 0x3e91f4c4
	v_fmac_f32_e32 v6, 0x3e76c4e1, v4
	v_fma_f32 v6, v4, v6, v178
	v_sub_f32_e32 v3, v4, v3
	v_sub_f32_e32 v12, v5, v3
	v_mul_f32_e32 v3, v4, v6
	v_fma_f32 v5, v4, v6, -v3
	v_fmac_f32_e32 v5, v12, v6
	v_add_f32_e32 v6, v3, v5
	v_add_f32_e32 v7, 0x3f2aaaaa, v6
	v_sub_f32_e32 v3, v6, v3
	v_sub_f32_e32 v3, v5, v3
	v_add_f32_e32 v5, 0xbf2aaaaa, v7
	v_add_f32_e32 v3, 0x31739010, v3
	v_sub_f32_e32 v5, v6, v5
	v_pk_mul_f32 v[8:9], v[2:3], v[4:5]
	v_fma_f32 v6, v4, v2, -v8
	v_pk_add_f32 v[10:11], v[2:3], v[4:5]
	v_fmac_f32_e32 v6, v4, v1
	v_mov_b32_e32 v9, v11
	v_fmac_f32_e32 v6, v12, v2
	v_pk_add_f32 v[4:5], v[8:9], v[6:7]
	v_sub_f32_e32 v3, v4, v8
	v_sub_f32_e32 v3, v6, v3
	;; [unrolled: 1-line block ×3, first 2 shown]
	v_add_f32_e32 v10, v11, v6
	v_mov_b32_e32 v6, v5
	v_pk_mul_f32 v[6:7], v[4:5], v[6:7]
	v_cvt_f64_f32_e32 v[8:9], v23
	v_frexp_exp_i32_f64_e32 v7, v[8:9]
	v_subbrev_co_u32_e64 v7, s[30:31], 0, v7, s[30:31]
	v_cvt_f32_i32_e32 v7, v7
	v_fma_f32 v8, v4, v5, -v6
	v_fmac_f32_e32 v8, v4, v10
	s_mov_b32 s30, 0x3f317218
	v_mul_f32_e32 v4, 0x3f317218, v7
	v_fmac_f32_e32 v8, v3, v5
	v_fma_f32 v10, v7, s30, -v4
	v_fmac_f32_e32 v10, 0xb102e308, v7
	v_ldexp_f32 v11, v2, 1
	v_add_f32_e32 v5, v6, v8
	v_pk_add_f32 v[2:3], v[4:5], v[10:11]
	v_mov_b32_e32 v12, v5
	v_mov_b32_e32 v13, v3
	;; [unrolled: 1-line block ×3, first 2 shown]
	v_pk_add_f32 v[6:7], v[12:13], v[6:7] neg_lo:[0,1] neg_hi:[0,1]
	v_mov_b32_e32 v9, v5
	v_ldexp_f32 v1, v1, 1
	v_pk_add_f32 v[6:7], v[8:9], v[6:7] neg_lo:[0,1] neg_hi:[0,1]
	v_add_f32_e32 v1, v1, v6
	v_add_f32_e32 v5, v1, v7
	v_pk_add_f32 v[6:7], v[2:3], v[4:5] neg_lo:[0,1] neg_hi:[0,1]
	v_pk_add_f32 v[8:9], v[2:3], v[4:5]
	v_mov_b32_e32 v12, v6
	v_mov_b32_e32 v13, v9
	;; [unrolled: 1-line block ×3, first 2 shown]
	v_pk_add_f32 v[12:13], v[10:11], v[12:13]
	v_mov_b32_e32 v4, v13
	v_pk_add_f32 v[14:15], v[4:5], v[2:3] neg_lo:[0,1] neg_hi:[0,1]
	v_mov_b32_e32 v1, v14
	v_mov_b32_e32 v12, v9
	;; [unrolled: 1-line block ×4, first 2 shown]
	v_pk_add_f32 v[6:7], v[10:11], v[6:7] neg_lo:[0,1] neg_hi:[0,1]
	v_pk_add_f32 v[16:17], v[8:9], v[0:1] neg_lo:[0,1] neg_hi:[0,1]
	;; [unrolled: 1-line block ×3, first 2 shown]
	v_mov_b32_e32 v10, v5
	v_pk_add_f32 v[2:3], v[10:11], v[2:3] neg_lo:[0,1] neg_hi:[0,1]
	v_mov_b32_e32 v16, v6
	v_pk_add_f32 v[8:9], v[16:17], v[2:3]
	v_mov_b32_e32 v10, v9
	v_pk_add_f32 v[10:11], v[8:9], v[10:11]
	v_pk_add_f32 v[4:5], v[4:5], v[10:11]
	v_mov_b32_e32 v7, v13
	v_mov_b32_e32 v9, v4
	v_pk_add_f32 v[12:13], v[8:9], v[6:7] neg_lo:[0,1] neg_hi:[0,1]
	v_mov_b32_e32 v3, v10
	v_sub_f32_e32 v1, v8, v12
	v_pk_add_f32 v[2:3], v[2:3], v[12:13] neg_lo:[0,1] neg_hi:[0,1]
	v_sub_f32_e32 v1, v6, v1
	v_add_f32_e32 v1, v2, v1
	v_add_f32_e32 v1, v1, v3
	;; [unrolled: 1-line block ×3, first 2 shown]
	v_sub_f32_e32 v3, v2, v4
	v_sub_f32_e32 v1, v1, v3
	v_mul_f32_e32 v3, v21, v2
	v_fma_f32 v2, v21, v2, -v3
	v_fmac_f32_e32 v2, v21, v1
	v_add_f32_e32 v1, v3, v2
	v_cmp_class_f32_e64 s[30:31], v3, s34
	v_sub_f32_e32 v4, v1, v3
	v_cndmask_b32_e64 v1, v1, v3, s[30:31]
	v_cmp_eq_f32_e64 s[30:31], s27, v1
	v_cndmask_b32_e64 v3, 0, v179, s[30:31]
	v_sub_f32_e32 v2, v2, v4
	v_sub_f32_e32 v4, v1, v3
	v_mul_f32_e32 v5, 0x3fb8aa3b, v4
	v_fma_f32 v6, v4, s65, -v5
	v_rndne_f32_e32 v7, v5
	v_fmac_f32_e32 v6, 0x32a5705f, v4
	v_sub_f32_e32 v5, v5, v7
	v_add_f32_e32 v5, v5, v6
	v_exp_f32_e32 v5, v5
	v_cvt_i32_f32_e32 v6, v7
	s_mov_b32 s35, 0x7f800000
	v_cmp_neq_f32_e64 s[30:31], |v1|, s35
	v_cndmask_b32_e64 v1, 0, v2, s[30:31]
	v_ldexp_f32 v2, v5, v6
	v_cmp_ngt_f32_e64 s[30:31], s92, v4
	v_cndmask_b32_e64 v2, 0, v2, s[30:31]
	v_cmp_nlt_f32_e64 s[30:31], s27, v4
	v_add_f32_e32 v1, v3, v1
	v_cndmask_b32_e64 v2, v180, v2, s[30:31]
	v_fma_f32 v1, v2, v1, v2
	v_cmp_class_f32_e64 s[30:31], v2, s34
	v_trunc_f32_e32 v3, v21
	v_cndmask_b32_e64 v1, v1, v2, s[30:31]
	v_cndmask_b32_e64 v2, v19, 1.0, vcc
	v_cmp_eq_f32_e32 vcc, v3, v21
	v_mul_f32_e32 v3, 0.5, v21
	v_trunc_f32_e32 v4, v3
	v_cmp_neq_f32_e64 s[30:31], v4, v3
	s_and_b64 s[30:31], vcc, s[30:31]
	v_cndmask_b32_e64 v3, 1.0, v2, s[30:31]
	s_brev_b32 s39, -2
	v_bfi_b32 v1, s39, v1, v3
	v_cndmask_b32_e32 v3, v181, v1, vcc
	v_cmp_gt_f32_e32 vcc, 0, v2
	v_cndmask_b32_e32 v1, v1, v3, vcc
	v_cmp_eq_f32_e32 vcc, s35, v23
	v_cmp_eq_f32_e64 s[34:35], 0, v2
	v_cmp_gt_f32_e64 s[36:37], 0, v21
	s_xor_b64 s[36:37], s[36:37], s[34:35]
	v_cndmask_b32_e64 v3, v180, 0, s[36:37]
	v_cndmask_b32_e64 v4, 0, v2, s[30:31]
	v_bfi_b32 v3, s39, v3, v4
	s_or_b64 vcc, vcc, s[34:35]
	v_cndmask_b32_e32 v1, v1, v3, vcc
	v_cmp_o_f32_e32 vcc, v2, v2
	v_cndmask_b32_e32 v52, v181, v1, vcc
	v_readlane_b32 s81, v214, 38
.LBB19_20:                              ;   in Loop: Header=BB19_16 Depth=1
	v_readlane_b32 s30, v214, 3
	s_mul_i32 s29, s29, s30
	s_sub_i32 s26, s26, s29
	s_ashr_i32 s29, s26, 31
	v_readlane_b32 s30, v214, 25
	s_abs_i32 s26, s26
	s_xor_b32 s29, s29, s30
	s_mul_hi_u32 s30, s26, s33
	s_mul_i32 s31, s30, s97
	s_sub_i32 s26, s26, s31
	s_add_i32 s31, s30, 1
	s_sub_i32 s34, s26, s97
	s_cmp_ge_u32 s26, s97
	s_cselect_b32 s30, s31, s30
	s_cselect_b32 s26, s34, s26
	s_add_i32 s31, s30, 1
	s_cmp_ge_u32 s26, s97
	s_cselect_b32 s26, s31, s30
	v_readlane_b32 s30, v214, 31
	s_xor_b32 s26, s26, s29
	v_readlane_b32 s31, v214, 32
	s_andn2_b64 vcc, exec, s[30:31]
	s_sub_i32 s69, s26, s29
	s_cbranch_vccnz .LBB19_22
; %bb.21:                               ;   in Loop: Header=BB19_16 Depth=1
	v_readlane_b32 s26, v214, 0
	s_mul_i32 s26, s24, s26
	s_add_i32 s30, s69, s26
	s_ashr_i32 s31, s30, 31
	s_lshl_b64 s[30:31], s[30:31], 2
	s_add_u32 s30, s58, s30
	s_addc_u32 s31, s59, s31
	global_load_dword v1, v160, s[30:31]
	s_waitcnt vmcnt(0)
	v_readfirstlane_b32 s26, v1
	s_ashr_i32 s29, s26, 31
	s_lshr_b32 s29, s29, 26
	s_add_i32 s26, s26, s29
	s_ashr_i32 s26, s26, 6
	s_min_i32 s68, s68, s26
.LBB19_22:                              ;   in Loop: Header=BB19_16 Depth=1
	v_readlane_b32 s26, v214, 36
	s_mul_i32 s26, s26, s24
	s_add_i32 s26, s38, s26
	s_mul_i32 s98, s26, 56
	s_lshl_b64 s[30:31], s[98:99], 3
	s_add_u32 s5, s60, s30
	s_addc_u32 s4, s61, s31
	v_readlane_b32 s30, v214, 15
	v_readlane_b32 s31, v214, 16
	s_mul_i32 s26, s24, s31
	s_mul_hi_u32 s29, s24, s30
	s_add_i32 s26, s29, s26
	s_mul_i32 s29, s25, s30
	v_readlane_b32 s80, v214, 21
	s_add_i32 s33, s26, s29
	s_mul_i32 s26, s24, s30
	v_readlane_b32 s83, v214, 24
	v_writelane_b32 v213, s26, 5
	s_add_u32 s26, s52, s26
	s_mul_i32 s98, s41, s83
	s_addc_u32 s29, s53, s33
	s_ashr_i32 s96, s98, 31
	s_add_u32 s91, s26, s98
	s_addc_u32 s88, s29, s96
	s_ashr_i32 s39, s38, 31
	s_lshl_b64 s[30:31], s[38:39], 2
	s_add_u32 s26, s56, s30
	s_addc_u32 s29, s57, s31
	v_readlane_b32 s30, v214, 29
	v_readlane_b32 s31, v214, 30
	s_and_b64 s[30:31], s[30:31], exec
	v_readlane_b32 s30, v214, 8
	v_readlane_b32 s31, v214, 9
	s_cselect_b32 s84, 0, s26
	s_mul_i32 s26, s24, s31
	s_cselect_b32 s85, 0, s29
	s_ashr_i32 s29, s26, 31
	s_add_u32 s26, s48, s26
	s_mul_i32 s30, s38, s30
	v_readlane_b32 s81, v214, 22
	s_addc_u32 s29, s49, s29
	s_ashr_i32 s31, s30, 31
	s_mov_b64 s[36:37], s[80:81]
	s_add_u32 s76, s26, s30
	s_addc_u32 s26, s29, s31
	s_mul_i32 s29, s24, s37
	s_mul_hi_u32 s30, s24, s36
	s_add_i32 s29, s30, s29
	s_mul_i32 s25, s25, s36
	s_add_i32 s29, s29, s25
	s_mul_i32 s24, s24, s36
	v_writelane_b32 v213, s24, 6
	s_add_u32 s30, s50, s24
	v_readlane_b32 s24, v214, 19
	v_readlane_b32 s25, v214, 20
	s_mul_i32 s24, s41, s25
	s_addc_u32 s31, s51, s29
	s_ashr_i32 s25, s24, 31
	s_add_u32 s89, s30, s24
	s_addc_u32 s77, s31, s25
	s_cmp_lg_u32 s40, 0
	v_readlane_b32 s82, v214, 23
	s_cbranch_scc0 .LBB19_52
; %bb.23:                               ;   in Loop: Header=BB19_16 Depth=1
	s_lshl_b32 s80, s69, 4
	v_add_u32_e32 v1, s80, v115
	v_cmp_le_i32_e32 vcc, s64, v1
	s_and_saveexec_b64 s[30:31], vcc
	s_xor_b64 s[30:31], exec, s[30:31]
	s_cbranch_execz .LBB19_25
; %bb.24:                               ;   in Loop: Header=BB19_16 Depth=1
	ds_write_b32 v122, v160
                                        ; implicit-def: $vgpr1
.LBB19_25:                              ;   in Loop: Header=BB19_16 Depth=1
	s_or_saveexec_b64 s[30:31], s[30:31]
	v_readlane_b32 s82, v213, 3
	s_xor_b64 exec, exec, s[30:31]
	s_cbranch_execz .LBB19_27
; %bb.26:                               ;   in Loop: Header=BB19_16 Depth=1
	v_mad_u64_u32 v[2:3], s[34:35], v1, s82, v[50:51]
	v_ashrrev_i32_e32 v3, 31, v2
	v_lshlrev_b64 v[2:3], 3, v[2:3]
	v_mov_b32_e32 v1, s26
	v_add_co_u32_e32 v2, vcc, s76, v2
	v_addc_co_u32_e32 v3, vcc, v1, v3, vcc
	global_load_dwordx2 v[2:3], v[2:3], off
	s_waitcnt vmcnt(0)
	v_cvt_f16_f32_e32 v1, v2
	v_cvt_f16_f32_e32 v2, v3
	v_pack_b32_f16 v1, v1, v2
	v_pk_mul_f16 v1, v51, v1
	ds_write_b32 v122, v1
.LBB19_27:                              ;   in Loop: Header=BB19_16 Depth=1
	s_or_b64 exec, exec, s[30:31]
	v_add_u32_e32 v1, s80, v177
	v_cmp_le_i32_e32 vcc, s64, v1
	s_and_saveexec_b64 s[30:31], vcc
	s_xor_b64 s[30:31], exec, s[30:31]
	s_cbranch_execz .LBB19_29
; %bb.28:                               ;   in Loop: Header=BB19_16 Depth=1
	ds_write_b32 v122, v160 offset:1920
                                        ; implicit-def: $vgpr1
.LBB19_29:                              ;   in Loop: Header=BB19_16 Depth=1
	s_andn2_saveexec_b64 s[30:31], s[30:31]
	s_cbranch_execz .LBB19_31
; %bb.30:                               ;   in Loop: Header=BB19_16 Depth=1
	v_mad_u64_u32 v[2:3], s[34:35], v1, s82, v[50:51]
	v_ashrrev_i32_e32 v3, 31, v2
	v_lshlrev_b64 v[2:3], 3, v[2:3]
	v_mov_b32_e32 v1, s26
	v_add_co_u32_e32 v2, vcc, s76, v2
	v_addc_co_u32_e32 v3, vcc, v1, v3, vcc
	global_load_dwordx2 v[2:3], v[2:3], off
	s_waitcnt vmcnt(0)
	v_cvt_f16_f32_e32 v1, v2
	v_cvt_f16_f32_e32 v2, v3
	v_pack_b32_f16 v1, v1, v2
	v_pk_mul_f16 v1, v51, v1
	ds_write_b32 v122, v1 offset:1920
.LBB19_31:                              ;   in Loop: Header=BB19_16 Depth=1
	s_or_b64 exec, exec, s[30:31]
	v_add_u32_e32 v2, s80, v116
	v_cmp_gt_i32_e32 vcc, s64, v2
	v_mov_b32_e32 v1, 0
	s_and_saveexec_b64 s[30:31], vcc
	s_cbranch_execz .LBB19_33
; %bb.32:                               ;   in Loop: Header=BB19_16 Depth=1
	v_mul_lo_u32 v1, v2, s82
	v_ashrrev_i32_e32 v3, 31, v1
	v_add_co_u32_e32 v2, vcc, v1, v20
	v_addc_co_u32_e32 v3, vcc, 0, v3, vcc
	v_lshlrev_b64 v[2:3], 3, v[2:3]
	v_mov_b32_e32 v1, s26
	v_add_co_u32_e32 v2, vcc, s76, v2
	v_addc_co_u32_e32 v3, vcc, v1, v3, vcc
	global_load_dwordx2 v[2:3], v[2:3], off offset:256
	s_waitcnt vmcnt(0)
	v_cvt_f16_f32_e32 v1, v2
	v_cvt_f16_f32_e32 v2, v3
	v_pack_b32_f16 v1, v1, v2
	v_pk_mul_f16 v1, v51, v1
.LBB19_33:                              ;   in Loop: Header=BB19_16 Depth=1
	s_or_b64 exec, exec, s[30:31]
	ds_write_b32 v117, v1 offset:128
	s_mov_b64 s[30:31], exec
	v_readlane_b32 s34, v214, 43
	v_readlane_b32 s35, v214, 44
	s_and_b64 s[34:35], s[30:31], s[34:35]
	s_mov_b64 exec, s[34:35]
	s_cbranch_execz .LBB19_38
; %bb.34:                               ;   in Loop: Header=BB19_16 Depth=1
	v_or_b32_e32 v1, s80, v77
	v_cmp_le_i32_e32 vcc, s64, v1
	s_and_saveexec_b64 s[34:35], vcc
	s_xor_b64 s[34:35], exec, s[34:35]
	s_cbranch_execz .LBB19_36
; %bb.35:                               ;   in Loop: Header=BB19_16 Depth=1
	ds_write_b32 v118, v160 offset:192
                                        ; implicit-def: $vgpr1
.LBB19_36:                              ;   in Loop: Header=BB19_16 Depth=1
	s_andn2_saveexec_b64 s[34:35], s[34:35]
	s_cbranch_execz .LBB19_38
; %bb.37:                               ;   in Loop: Header=BB19_16 Depth=1
	v_mul_lo_u32 v1, v1, s82
	v_ashrrev_i32_e32 v3, 31, v1
	v_add_co_u32_e32 v2, vcc, v1, v36
	v_addc_co_u32_e32 v3, vcc, 0, v3, vcc
	v_lshlrev_b64 v[2:3], 3, v[2:3]
	v_mov_b32_e32 v1, s26
	v_add_co_u32_e32 v2, vcc, s76, v2
	v_addc_co_u32_e32 v3, vcc, v1, v3, vcc
	global_load_dwordx2 v[2:3], v[2:3], off offset:384
	s_waitcnt vmcnt(0)
	v_cvt_f16_f32_e32 v1, v2
	v_cvt_f16_f32_e32 v2, v3
	v_pack_b32_f16 v1, v1, v2
	v_pk_mul_f16 v1, v51, v1
	ds_write_b32 v118, v1 offset:192
.LBB19_38:                              ;   in Loop: Header=BB19_16 Depth=1
	s_or_b64 exec, exec, s[30:31]
	s_waitcnt lgkmcnt(0)
	s_barrier
	ds_read2_b64 v[10:13], v79 offset1:4
	ds_read2_b64 v[6:9], v79 offset0:8 offset1:12
	ds_read2_b64 v[2:5], v79 offset0:16 offset1:20
	ds_read_b64 v[54:55], v79 offset:192
	s_add_i32 s41, s68, -1
	s_cmp_le_i32 s41, s40
	v_mov_b32_e32 v184, 0
	s_waitcnt lgkmcnt(0)
	s_barrier
	s_cbranch_scc1 .LBB19_53
; %bb.39:                               ;   in Loop: Header=BB19_16 Depth=1
	v_lshlrev_b32_e32 v1, 1, v18
	v_mov_b32_e32 v14, s9
	v_add_co_u32_e32 v19, vcc, s8, v1
	v_add_u32_e32 v1, s80, v69
	v_readlane_b32 s36, v214, 10
	v_addc_co_u32_e32 v21, vcc, 0, v14, vcc
	v_mul_hi_u32 v14, s36, v1
	v_readlane_b32 s37, v214, 11
	v_add_u32_e32 v14, v1, v14
	v_lshrrev_b32_e32 v14, s37, v14
	v_mul_lo_u32 v14, v14, s64
	v_readlane_b32 s30, v214, 63
	v_sub_u32_e32 v1, v1, v14
	v_readlane_b32 s31, v213, 0
	s_mov_b32 s38, s30
	v_mad_i64_i32 v[14:15], s[30:31], v1, s38, 0
	v_add_u32_e32 v1, s80, v161
	v_mul_hi_u32 v16, s36, v1
	v_add_u32_e32 v16, v1, v16
	v_lshrrev_b32_e32 v16, s37, v16
	v_mul_lo_u32 v16, v16, s64
	v_sub_u32_e32 v1, v1, v16
	v_mad_i64_i32 v[16:17], s[30:31], v1, s38, 0
	v_add_u32_e32 v1, s80, v163
	v_mul_hi_u32 v23, s36, v1
	v_add_u32_e32 v23, v1, v23
	v_lshrrev_b32_e32 v23, s37, v23
	v_mul_lo_u32 v23, v23, s64
	v_sub_u32_e32 v1, v1, v23
	v_mad_i64_i32 v[62:63], s[30:31], v1, s38, 0
	v_add_u32_e32 v1, s80, v165
	v_mul_hi_u32 v23, s36, v1
	v_add_u32_e32 v23, v1, v23
	v_lshrrev_b32_e32 v23, s37, v23
	v_mul_lo_u32 v23, v23, s64
	v_sub_u32_e32 v1, v1, v23
	v_mad_i64_i32 v[64:65], s[30:31], v1, s38, 0
	v_and_b32_e32 v1, 64, v159
	v_add_u32_e32 v1, 64, v1
	v_xor_b32_e32 v23, 32, v159
	v_cmp_lt_i32_e32 vcc, v23, v1
	v_xor_b32_e32 v25, 16, v159
	v_cndmask_b32_e32 v23, v159, v23, vcc
	v_cmp_lt_i32_e32 vcc, v25, v1
	s_cmp_lg_u64 s[8:9], 0
	v_cndmask_b32_e32 v1, v159, v25, vcc
	s_cselect_b64 s[34:35], -1, 0
	v_mov_b32_e32 v80, 0
	v_lshlrev_b32_e32 v23, 2, v23
	v_lshlrev_b32_e32 v25, 2, v1
	v_mov_b32_e32 v56, v52
	v_mov_b32_e32 v57, v52
	s_lshl_b32 s36, s40, 6
	v_mov_b32_e32 v183, 0
	v_mov_b32_e32 v188, 0xfeffffff
	v_lshlrev_b64 v[58:59], 1, v[14:15]
	v_lshlrev_b64 v[60:61], 1, v[16:17]
	;; [unrolled: 1-line block ×4, first 2 shown]
	v_mov_b32_e32 v182, 0
	v_mov_b32_e32 v78, 0
	;; [unrolled: 1-line block ×13, first 2 shown]
.LBB19_40:                              ;   Parent Loop BB19_16 Depth=1
                                        ; =>  This Inner Loop Header: Depth=2
	v_cndmask_b32_e64 v1, 0, 1, s[34:35]
	v_cmp_ne_u32_e64 s[30:31], 1, v1
	s_andn2_b64 vcc, exec, s[34:35]
	s_ashr_i32 s37, s36, 31
	s_cbranch_vccnz .LBB19_44
; %bb.41:                               ;   in Loop: Header=BB19_40 Depth=2
	v_mov_b32_e32 v1, 0
	v_mov_b32_e32 v14, 0
	;; [unrolled: 1-line block ×4, first 2 shown]
	s_and_saveexec_b64 s[38:39], s[6:7]
	s_cbranch_execz .LBB19_43
; %bb.42:                               ;   in Loop: Header=BB19_40 Depth=2
	s_lshl_b64 s[42:43], s[36:37], 1
	v_add_co_u32_e32 v53, vcc, s42, v19
	v_mov_b32_e32 v1, s43
	v_addc_co_u32_e32 v186, vcc, v21, v1, vcc
	v_add_co_u32_e32 v14, vcc, v53, v58
	v_addc_co_u32_e32 v15, vcc, v186, v59, vcc
	flat_load_ushort v1, v[14:15]
	v_add_co_u32_e32 v14, vcc, v53, v60
	v_addc_co_u32_e32 v15, vcc, v186, v61, vcc
	v_add_co_u32_e32 v16, vcc, v53, v62
	v_addc_co_u32_e32 v17, vcc, v186, v63, vcc
	flat_load_ushort v14, v[14:15]
	s_nop 0
	flat_load_ushort v15, v[16:17]
	v_add_co_u32_e32 v16, vcc, v53, v64
	v_addc_co_u32_e32 v17, vcc, v186, v65, vcc
	flat_load_ushort v16, v[16:17]
.LBB19_43:                              ;   in Loop: Header=BB19_40 Depth=2
	s_or_b64 exec, exec, s[38:39]
	s_waitcnt vmcnt(0) lgkmcnt(0)
	ds_write_b16 v119, v1 offset:15360
	ds_write_b16 v162, v14 offset:15360
	;; [unrolled: 1-line block ×4, first 2 shown]
.LBB19_44:                              ;   in Loop: Header=BB19_40 Depth=2
	s_mul_hi_i32 s39, s36, s78
	s_mul_i32 s38, s36, s78
	s_lshl_b64 s[38:39], s[38:39], 2
	s_add_u32 s37, s89, s38
	s_addc_u32 s42, s77, s39
	buffer_store_dword v160, off, s[0:3], 0
	buffer_store_dword v160, off, s[0:3], 0 offset:4
	buffer_store_dword v160, off, s[0:3], 0 offset:8
	;; [unrolled: 1-line block ×3, first 2 shown]
	s_and_saveexec_b64 s[38:39], s[46:47]
	s_cbranch_execz .LBB19_46
; %bb.45:                               ;   in Loop: Header=BB19_40 Depth=2
	v_mov_b32_e32 v1, s42
	v_add_co_u32_e32 v14, vcc, s37, v40
	v_addc_co_u32_e32 v1, vcc, v1, v41, vcc
	v_lshlrev_b32_e32 v15, 2, v22
	v_add_co_u32_e32 v14, vcc, v14, v15
	v_addc_co_u32_e32 v15, vcc, 0, v1, vcc
	global_load_dwordx4 v[14:17], v[14:15], off offset:192
	s_waitcnt vmcnt(0)
	ds_write_b128 v82, v[14:17]
.LBB19_46:                              ;   in Loop: Header=BB19_40 Depth=2
	s_or_b64 exec, exec, s[38:39]
	v_mov_b32_e32 v1, s42
	v_add_co_u32_e32 v14, vcc, s37, v42
	v_addc_co_u32_e32 v1, vcc, v1, v43, vcc
	v_lshlrev_b32_e32 v187, 2, v24
	v_add_co_u32_e32 v14, vcc, v14, v187
	v_addc_co_u32_e32 v1, vcc, 0, v1, vcc
	v_add_co_u32_e32 v14, vcc, 0x80, v14
	v_addc_co_u32_e32 v1, vcc, 0, v1, vcc
	v_mov_b32_e32 v53, s75
	v_cndmask_b32_e64 v15, v53, v1, s[10:11]
	v_mov_b32_e32 v1, s74
	v_cndmask_b32_e64 v14, v1, v14, s[10:11]
	flat_load_dwordx4 v[14:17], v[14:15]
	v_mov_b32_e32 v189, s42
	v_add_co_u32_e32 v190, vcc, s37, v44
	v_lshlrev_b32_e32 v186, 2, v26
	v_addc_co_u32_e32 v189, vcc, v189, v45, vcc
	v_add_co_u32_e32 v190, vcc, v190, v186
	v_addc_co_u32_e32 v189, vcc, 0, v189, vcc
	v_cndmask_b32_e64 v190, v1, v190, s[12:13]
	v_cndmask_b32_e64 v191, v53, v189, s[12:13]
	v_mov_b32_e32 v189, s42
	s_waitcnt vmcnt(0) lgkmcnt(0)
	ds_write_b128 v90, v[14:17]
	flat_load_dwordx4 v[14:17], v[190:191]
	v_add_co_u32_e32 v190, vcc, s37, v46
	v_addc_co_u32_e32 v189, vcc, v189, v47, vcc
	v_add_co_u32_e32 v190, vcc, v190, v186
	v_addc_co_u32_e32 v189, vcc, 0, v189, vcc
	v_cndmask_b32_e64 v190, v1, v190, s[14:15]
	v_cndmask_b32_e64 v191, v53, v189, s[14:15]
	s_and_b64 vcc, exec, s[30:31]
	s_waitcnt vmcnt(0) lgkmcnt(0)
	ds_write_b128 v91, v[14:17]
	flat_load_dwordx4 v[14:17], v[190:191]
	s_waitcnt vmcnt(0) lgkmcnt(0)
	ds_write_b128 v173, v[14:17]
	s_waitcnt lgkmcnt(0)
	s_barrier
	ds_read2_b64 v[14:17], v84 offset1:4
	s_waitcnt lgkmcnt(0)
	v_mfma_f32_16x16x16f16 v[190:193], v[14:15], v[10:11], 0
	v_mfma_f32_16x16x16f16 v[14:17], v[16:17], v[12:13], v[190:193]
	s_nop 7
	s_nop 1
	ds_read2_b64 v[190:193], v84 offset0:8 offset1:12
	s_waitcnt lgkmcnt(0)
	v_mfma_f32_16x16x16f16 v[14:17], v[190:191], v[6:7], v[14:17]
	v_mfma_f32_16x16x16f16 v[14:17], v[192:193], v[8:9], v[14:17]
	ds_read2_b64 v[190:193], v84 offset0:16 offset1:20
	s_waitcnt lgkmcnt(0)
	v_mfma_f32_16x16x16f16 v[14:17], v[190:191], v[2:3], v[14:17]
	ds_read_b64 v[190:191], v84 offset:192
	s_waitcnt lgkmcnt(0)
	s_barrier
	v_mfma_f32_16x16x16f16 v[14:17], v[192:193], v[4:5], v[14:17]
	v_mfma_f32_16x16x16f16 v[14:17], v[190:191], v[54:55], v[14:17]
	s_cbranch_vccnz .LBB19_48
; %bb.47:                               ;   in Loop: Header=BB19_40 Depth=2
	v_add_u32_e32 v1, 0x3c00, v86
	ds_read2_b32 v[190:191], v1 offset1:1
	v_mov_b32_e32 v53, v52
	s_waitcnt lgkmcnt(0)
	v_cvt_f32_f16_e32 v192, v190
	v_cvt_f32_f16_e32 v194, v191
	v_cvt_f32_f16_sdwa v195, v191 dst_sel:DWORD dst_unused:UNUSED_PAD src0_sel:WORD_1
	v_cvt_f32_f16_sdwa v193, v190 dst_sel:DWORD dst_unused:UNUSED_PAD src0_sel:WORD_1
	s_nop 1
	v_pk_fma_f32 v[16:17], v[52:53], v[194:195], v[16:17]
	v_pk_fma_f32 v[14:15], v[56:57], v[192:193], v[14:15]
.LBB19_48:                              ;   in Loop: Header=BB19_40 Depth=2
	v_add_f32_e32 v1, 0x40051340, v14
	v_max_f32_e32 v53, v188, v188
	v_max_f32_e32 v1, v53, v1
	v_cndmask_b32_e64 v1, v188, v1, s[16:17]
	v_add_f32_e32 v53, 0x40051340, v15
	v_max_f32_e32 v189, v1, v1
	v_max_f32_e32 v53, v189, v53
	v_cndmask_b32_e64 v1, v1, v53, s[18:19]
	s_nop 1
	v_add_f32_e32 v53, 0x40051340, v16
	v_max_f32_e32 v189, v1, v1
	v_max_f32_e32 v53, v189, v53
	v_cndmask_b32_e64 v1, v1, v53, s[20:21]
	v_add_f32_e32 v53, 0x40051340, v17
	v_max_f32_e32 v189, v1, v1
	v_max_f32_e32 v53, v189, v53
	v_cndmask_b32_e64 v1, v1, v53, s[22:23]
	ds_bpermute_b32 v53, v23, v1
	v_max_f32_e32 v1, v1, v1
	s_mul_hi_i32 s31, s36, s66
	s_mul_i32 s30, s36, s66
	s_lshl_b64 s[30:31], s[30:31], 2
	s_waitcnt lgkmcnt(0)
	v_max_f32_e32 v53, v53, v53
	v_max_f32_e32 v1, v1, v53
	ds_bpermute_b32 v53, v25, v1
	s_add_u32 s38, s91, s30
	s_addc_u32 s37, s88, s31
	buffer_store_dword v160, off, s[0:3], 0
	buffer_store_dword v160, off, s[0:3], 0 offset:4
	buffer_store_dword v160, off, s[0:3], 0 offset:8
	;; [unrolled: 1-line block ×3, first 2 shown]
	s_and_saveexec_b64 s[30:31], s[46:47]
	s_cbranch_execz .LBB19_50
; %bb.49:                               ;   in Loop: Header=BB19_40 Depth=2
	v_mov_b32_e32 v189, s37
	v_add_co_u32_e32 v190, vcc, s38, v30
	v_addc_co_u32_e32 v189, vcc, v189, v31, vcc
	v_lshlrev_b32_e32 v191, 2, v22
	v_add_co_u32_e32 v190, vcc, v190, v191
	v_addc_co_u32_e32 v191, vcc, 0, v189, vcc
	global_load_dwordx4 v[190:193], v[190:191], off offset:192
	s_waitcnt vmcnt(0)
	ds_write_b128 v82, v[190:193]
.LBB19_50:                              ;   in Loop: Header=BB19_40 Depth=2
	s_or_b64 exec, exec, s[30:31]
	s_waitcnt lgkmcnt(0)
	v_max_f32_e32 v53, v53, v53
	v_max_f32_e32 v1, v1, v1
	;; [unrolled: 1-line block ×3, first 2 shown]
	v_sub_f32_e32 v14, v14, v1
	v_mul_f32_e32 v53, 0x3fb8aa3b, v14
	v_fma_f32 v189, v14, s65, -v53
	v_rndne_f32_e32 v190, v53
	v_fmac_f32_e32 v189, 0x32a5705f, v14
	v_sub_f32_e32 v53, v53, v190
	v_add_f32_e32 v53, v53, v189
	v_exp_f32_e32 v53, v53
	v_cvt_i32_f32_e32 v189, v190
	v_cmp_ngt_f32_e32 vcc, s92, v14
	v_sub_f32_e32 v15, v15, v1
	v_cndmask_b32_e64 v16, v16, v16, s[18:19]
	v_ldexp_f32 v53, v53, v189
	v_cndmask_b32_e32 v53, 0, v53, vcc
	v_cmp_nlt_f32_e32 vcc, s27, v14
	v_cndmask_b32_e32 v14, v180, v53, vcc
	v_mul_f32_e32 v53, 0x3fb8aa3b, v15
	v_fma_f32 v189, v15, s65, -v53
	v_rndne_f32_e32 v190, v53
	v_fmac_f32_e32 v189, 0x32a5705f, v15
	v_sub_f32_e32 v53, v53, v190
	v_add_f32_e32 v53, v53, v189
	v_exp_f32_e32 v53, v53
	v_cvt_i32_f32_e32 v189, v190
	v_cmp_ngt_f32_e32 vcc, s92, v15
	v_cndmask_b32_e64 v14, 0, v14, s[16:17]
	v_sub_f32_e32 v16, v16, v1
	v_ldexp_f32 v53, v53, v189
	v_cndmask_b32_e32 v53, 0, v53, vcc
	v_cmp_nlt_f32_e32 vcc, s27, v15
	v_cndmask_b32_e32 v53, v180, v53, vcc
	v_mov_b32_e32 v15, s99
	v_add_f32_e32 v189, v53, v14
	v_cndmask_b32_e64 v190, v15, v53, s[18:19]
	v_mul_f32_e32 v53, 0x3fb8aa3b, v16
	v_cndmask_b32_e64 v15, v14, v189, s[18:19]
	v_fma_f32 v189, v16, s65, -v53
	v_rndne_f32_e32 v191, v53
	v_fmac_f32_e32 v189, 0x32a5705f, v16
	v_sub_f32_e32 v53, v53, v191
	v_add_f32_e32 v53, v53, v189
	v_exp_f32_e32 v53, v53
	v_cvt_i32_f32_e32 v189, v191
	v_cmp_ngt_f32_e32 vcc, s92, v16
	v_cndmask_b32_e64 v17, v17, v17, s[18:19]
	v_cvt_f16_f32_e32 v14, v14
	v_ldexp_f32 v53, v53, v189
	v_cndmask_b32_e32 v53, 0, v53, vcc
	v_cmp_nlt_f32_e32 vcc, s27, v16
	v_cndmask_b32_e32 v53, v180, v53, vcc
	v_mov_b32_e32 v16, s99
	v_cndmask_b32_e64 v191, v16, v53, s[20:21]
	v_sub_f32_e32 v16, v17, v1
	v_add_f32_e32 v189, v15, v53
	v_mul_f32_e32 v17, 0x3fb8aa3b, v16
	v_cndmask_b32_e64 v15, v15, v189, s[20:21]
	v_fma_f32 v53, v16, s65, -v17
	v_rndne_f32_e32 v189, v17
	v_fmac_f32_e32 v53, 0x32a5705f, v16
	v_sub_f32_e32 v17, v17, v189
	v_add_f32_e32 v17, v17, v53
	v_exp_f32_e32 v17, v17
	v_cvt_i32_f32_e32 v53, v189
	v_cmp_ngt_f32_e32 vcc, s92, v16
	v_mov_b32_e32 v192, s74
	s_add_i32 s40, s40, 1
	v_ldexp_f32 v17, v17, v53
	v_cndmask_b32_e32 v17, 0, v17, vcc
	v_cmp_nlt_f32_e32 vcc, s27, v16
	v_cndmask_b32_e32 v189, v180, v17, vcc
	v_add_f32_e32 v16, v15, v189
	v_cndmask_b32_e64 v16, v15, v16, s[22:23]
	v_sub_f32_e32 v15, v188, v1
	v_mul_f32_e32 v17, 0x3fb8aa3b, v15
	v_fma_f32 v53, v15, s65, -v17
	v_rndne_f32_e32 v188, v17
	v_fmac_f32_e32 v53, 0x32a5705f, v15
	v_sub_f32_e32 v17, v17, v188
	v_add_f32_e32 v17, v17, v53
	v_exp_f32_e32 v17, v17
	v_cvt_i32_f32_e32 v53, v188
	v_cmp_ngt_f32_e32 vcc, s92, v15
	s_add_i32 s36, s36, 64
	s_cmp_lt_i32 s40, s41
	v_ldexp_f32 v17, v17, v53
	v_cndmask_b32_e32 v17, 0, v17, vcc
	v_cmp_nlt_f32_e32 vcc, s27, v15
	v_cndmask_b32_e32 v17, v180, v17, vcc
	v_cmp_le_f32_e32 vcc, s93, v15
	v_cndmask_b32_e32 v15, 0, v17, vcc
	v_fmac_f32_e32 v16, v183, v15
	v_cvt_f16_f32_e32 v15, v15
	v_pk_mul_f16 v183, v15, v80 op_sel_hi:[0,1]
	v_pk_mul_f16 v80, v15, v182 op_sel_hi:[0,1]
	v_cvt_f16_f32_e32 v182, v190
	v_pk_mul_f16 v37, v15, v37 op_sel_hi:[0,1]
	v_pk_mul_f16 v27, v15, v27 op_sel_hi:[0,1]
	;; [unrolled: 1-line block ×12, first 2 shown]
	v_mov_b32_e32 v15, s99
	v_cndmask_b32_e64 v15, v15, v189, s[22:23]
	v_pack_b32_f16 v14, v14, v182
	v_cvt_f16_f32_e32 v182, v191
	v_cvt_f16_f32_e32 v15, v15
	v_mov_b32_e32 v184, s37
	v_pack_b32_f16 v15, v182, v15
	v_add_co_u32_e32 v182, vcc, s38, v32
	v_addc_co_u32_e32 v184, vcc, v184, v33, vcc
	v_add_co_u32_e32 v182, vcc, v182, v187
	v_addc_co_u32_e32 v184, vcc, 0, v184, vcc
	v_add_co_u32_e32 v182, vcc, s70, v182
	v_addc_co_u32_e32 v184, vcc, 0, v184, vcc
	v_mov_b32_e32 v187, s75
	v_cndmask_b32_e64 v185, v187, v184, s[10:11]
	v_cndmask_b32_e64 v184, v192, v182, s[10:11]
	flat_load_dwordx4 v[188:191], v[184:185]
	v_add_co_u32_e32 v182, vcc, s38, v34
	v_mov_b32_e32 v184, s37
	v_addc_co_u32_e32 v184, vcc, v184, v35, vcc
	v_add_co_u32_e32 v182, vcc, v182, v186
	v_addc_co_u32_e32 v184, vcc, 0, v184, vcc
	v_cndmask_b32_e64 v185, v187, v184, s[12:13]
	v_cndmask_b32_e64 v184, v192, v182, s[12:13]
	v_add_co_u32_e32 v182, vcc, s38, v38
	s_waitcnt vmcnt(0) lgkmcnt(0)
	ds_write_b128 v90, v[188:191]
	flat_load_dwordx4 v[188:191], v[184:185]
	v_mov_b32_e32 v184, s37
	v_addc_co_u32_e32 v184, vcc, v184, v39, vcc
	v_add_co_u32_e32 v182, vcc, v182, v186
	v_addc_co_u32_e32 v184, vcc, 0, v184, vcc
	v_cndmask_b32_e64 v185, v187, v184, s[14:15]
	v_cndmask_b32_e64 v184, v192, v182, s[14:15]
	s_waitcnt vmcnt(0) lgkmcnt(0)
	ds_write_b128 v91, v[188:191]
	flat_load_dwordx4 v[184:187], v[184:185]
	s_waitcnt vmcnt(0) lgkmcnt(0)
	ds_write_b128 v173, v[184:187]
	s_waitcnt lgkmcnt(0)
	s_barrier
	ds_read_u16 v182, v88 offset:240
	ds_read_u16 v188, v88 offset:480
	v_cvt_f32_f16_e32 v186, v27
	v_cvt_f32_f16_sdwa v187, v27 dst_sel:DWORD dst_unused:UNUSED_PAD src0_sel:WORD_1
	ds_read_u16 v27, v89
	ds_read_u16 v190, v89 offset:32
	v_cvt_f32_f16_e32 v184, v37
	v_cvt_f32_f16_sdwa v185, v37 dst_sel:DWORD dst_unused:UNUSED_PAD src0_sel:WORD_1
	s_waitcnt lgkmcnt(1)
	v_perm_b32 v189, v27, v188, s28
	ds_read_u16 v27, v87
	ds_read_u16 v191, v87 offset:32
	s_waitcnt lgkmcnt(1)
	v_perm_b32 v188, v182, v27, s28
	s_nop 1
	v_mfma_f32_16x16x16f16 v[184:187], v[188:189], v[14:15], v[184:187]
	s_nop 7
	s_nop 2
	v_cvt_f16_f32_e32 v27, v184
	v_cvt_f16_f32_e32 v37, v185
	;; [unrolled: 1-line block ×4, first 2 shown]
	v_cvt_f32_f16_sdwa v185, v66 dst_sel:DWORD dst_unused:UNUSED_PAD src0_sel:WORD_1
	v_pack_b32_f16 v37, v27, v37
	v_cvt_f32_f16_e32 v186, v49
	v_pack_b32_f16 v27, v182, v184
	ds_read_u16 v182, v167 offset:240
	ds_read_u16 v188, v167 offset:480
	v_cvt_f32_f16_e32 v184, v66
	v_cvt_f32_f16_sdwa v187, v49 dst_sel:DWORD dst_unused:UNUSED_PAD src0_sel:WORD_1
	s_waitcnt lgkmcnt(0)
	v_perm_b32 v189, v190, v188, s28
	v_perm_b32 v188, v182, v191, s28
	s_nop 1
	v_mfma_f32_16x16x16f16 v[184:187], v[188:189], v[14:15], v[184:187]
	s_nop 7
	s_nop 2
	v_cvt_f16_f32_e32 v49, v184
	v_cvt_f16_f32_e32 v66, v185
	v_cvt_f16_f32_e32 v182, v186
	v_cvt_f16_f32_e32 v184, v187
	v_cvt_f32_f16_sdwa v185, v70 dst_sel:DWORD dst_unused:UNUSED_PAD src0_sel:WORD_1
	v_pack_b32_f16 v66, v49, v66
	v_cvt_f32_f16_e32 v186, v68
	v_pack_b32_f16 v49, v182, v184
	ds_read_u16 v182, v87 offset:64
	ds_read_u16 v188, v168 offset:240
	ds_read_u16 v189, v168 offset:480
	ds_read_u16 v190, v89 offset:64
	v_cvt_f32_f16_e32 v184, v70
	v_cvt_f32_f16_sdwa v187, v68 dst_sel:DWORD dst_unused:UNUSED_PAD src0_sel:WORD_1
	s_waitcnt lgkmcnt(2)
	v_perm_b32 v188, v188, v182, s28
	s_waitcnt lgkmcnt(0)
	v_perm_b32 v189, v190, v189, s28
	s_nop 1
	v_mfma_f32_16x16x16f16 v[184:187], v[188:189], v[14:15], v[184:187]
	s_nop 7
	s_nop 2
	v_cvt_f16_f32_e32 v68, v184
	v_cvt_f16_f32_e32 v70, v185
	v_cvt_f16_f32_e32 v182, v186
	v_cvt_f16_f32_e32 v184, v187
	v_cvt_f32_f16_sdwa v185, v74 dst_sel:DWORD dst_unused:UNUSED_PAD src0_sel:WORD_1
	v_pack_b32_f16 v70, v68, v70
	v_cvt_f32_f16_e32 v186, v72
	v_pack_b32_f16 v68, v182, v184
	ds_read_u16 v182, v87 offset:96
	ds_read_u16 v188, v169 offset:240
	ds_read_u16 v189, v169 offset:480
	ds_read_u16 v190, v89 offset:96
	v_cvt_f32_f16_e32 v184, v74
	v_cvt_f32_f16_sdwa v187, v72 dst_sel:DWORD dst_unused:UNUSED_PAD src0_sel:WORD_1
	s_waitcnt lgkmcnt(2)
	v_perm_b32 v188, v188, v182, s28
	s_waitcnt lgkmcnt(0)
	;; [unrolled: 22-line block ×3, first 2 shown]
	v_perm_b32 v189, v190, v189, s28
	s_nop 1
	v_mfma_f32_16x16x16f16 v[184:187], v[188:189], v[14:15], v[184:187]
	s_nop 7
	s_nop 2
	v_cvt_f16_f32_e32 v76, v184
	v_cvt_f16_f32_e32 v182, v186
	;; [unrolled: 1-line block ×3, first 2 shown]
	ds_read_u16 v186, v87 offset:160
	ds_read_u16 v188, v171 offset:240
	;; [unrolled: 1-line block ×4, first 2 shown]
	v_cvt_f16_f32_e32 v78, v185
	v_cvt_f32_f16_sdwa v185, v80 dst_sel:DWORD dst_unused:UNUSED_PAD src0_sel:WORD_1
	s_waitcnt lgkmcnt(2)
	v_perm_b32 v186, v188, v186, s28
	s_waitcnt lgkmcnt(0)
	v_perm_b32 v187, v189, v187, s28
	v_pack_b32_f16 v78, v76, v78
	v_pack_b32_f16 v76, v182, v184
	v_cvt_f32_f16_e32 v182, v183
	v_cvt_f32_f16_sdwa v183, v183 dst_sel:DWORD dst_unused:UNUSED_PAD src0_sel:WORD_1
	v_cvt_f32_f16_e32 v184, v80
	s_nop 1
	v_mfma_f32_16x16x16f16 v[182:185], v[186:187], v[14:15], v[182:185]
	v_cvt_f32_f16_e32 v186, v17
	v_cvt_f32_f16_sdwa v187, v17 dst_sel:DWORD dst_unused:UNUSED_PAD src0_sel:WORD_1
	s_nop 7
	s_nop 0
	v_cvt_f16_f32_e32 v80, v182
	v_cvt_f16_f32_e32 v182, v183
	;; [unrolled: 1-line block ×4, first 2 shown]
	v_cvt_f32_f16_sdwa v185, v53 dst_sel:DWORD dst_unused:UNUSED_PAD src0_sel:WORD_1
	v_pack_b32_f16 v80, v80, v182
	v_pack_b32_f16 v182, v183, v184
	ds_read_u16 v183, v87 offset:192
	ds_read_u16 v188, v172 offset:240
	;; [unrolled: 1-line block ×4, first 2 shown]
	v_cvt_f32_f16_e32 v184, v53
	s_waitcnt lgkmcnt(0)
	v_perm_b32 v188, v188, v183, s28
	s_barrier
	v_perm_b32 v189, v190, v189, s28
	s_nop 1
	v_mfma_f32_16x16x16f16 v[184:187], v[188:189], v[14:15], v[184:187]
	s_nop 7
	s_nop 2
	v_cvt_f16_f32_e32 v14, v184
	v_cvt_f16_f32_e32 v15, v185
	;; [unrolled: 1-line block ×4, first 2 shown]
	v_pack_b32_f16 v185, v14, v15
	v_pack_b32_f16 v184, v17, v53
	s_cbranch_scc0 .LBB19_54
; %bb.51:                               ;   in Loop: Header=BB19_40 Depth=2
	v_mov_b32_e32 v183, v16
	v_mov_b32_e32 v188, v1
	s_branch .LBB19_40
.LBB19_52:                              ;   in Loop: Header=BB19_16 Depth=1
	v_readlane_b32 s82, v213, 3
	s_mov_b32 s71, s5
	s_cbranch_execz .LBB19_15
	s_branch .LBB19_139
.LBB19_53:                              ;   in Loop: Header=BB19_16 Depth=1
	v_mov_b32_e32 v16, 0
	v_mov_b32_e32 v1, 0xfeffffff
	v_mov_b32_e32 v185, 0
	v_mov_b32_e32 v27, 0
	v_mov_b32_e32 v37, 0
	v_mov_b32_e32 v49, 0
	v_mov_b32_e32 v66, 0
	v_mov_b32_e32 v68, 0
	v_mov_b32_e32 v70, 0
	v_mov_b32_e32 v72, 0
	v_mov_b32_e32 v74, 0
	v_mov_b32_e32 v76, 0
	v_mov_b32_e32 v78, 0
	v_mov_b32_e32 v182, 0
	v_mov_b32_e32 v80, 0
.LBB19_54:                              ;   in Loop: Header=BB19_16 Depth=1
	s_lshl_b32 s72, s40, 6
	v_readlane_b32 s30, v214, 4
	s_sub_i32 s83, s30, s72
	s_cmp_lg_u64 s[8:9], 0
	s_cselect_b64 s[38:39], -1, 0
	s_ashr_i32 s73, s72, 31
	s_cmp_eq_u64 s[8:9], 0
	v_readlane_b32 s31, v214, 5
	s_cbranch_scc1 .LBB19_60
; %bb.55:                               ;   in Loop: Header=BB19_16 Depth=1
	v_cmp_le_i32_e32 vcc, s83, v18
                                        ; implicit-def: $sgpr34
	s_and_saveexec_b64 s[30:31], vcc
	s_xor_b64 s[30:31], exec, s[30:31]
	s_cbranch_execz .LBB19_57
; %bb.56:                               ;   in Loop: Header=BB19_16 Depth=1
	ds_write_b16 v119, v160 offset:15360
	ds_write_b16 v162, v160 offset:15360
	s_mov_b32 s34, 0
.LBB19_57:                              ;   in Loop: Header=BB19_16 Depth=1
	s_or_saveexec_b64 s[30:31], s[30:31]
	v_mov_b32_e32 v14, s34
	v_mov_b32_e32 v15, s34
	s_xor_b64 exec, exec, s[30:31]
	s_cbranch_execz .LBB19_59
; %bb.58:                               ;   in Loop: Header=BB19_16 Depth=1
	s_lshl_b64 s[34:35], s[72:73], 1
	s_add_u32 s34, s8, s34
	s_addc_u32 s35, s9, s35
	v_lshlrev_b32_e32 v14, 1, v18
	v_add_co_u32_e32 v17, vcc, s34, v14
	v_mov_b32_e32 v14, s35
	v_addc_co_u32_e32 v19, vcc, 0, v14, vcc
	v_add_u32_e32 v14, s80, v69
	v_readlane_b32 s36, v214, 10
	v_mul_hi_u32 v15, s36, v14
	v_readlane_b32 s37, v214, 11
	v_add_u32_e32 v15, v14, v15
	v_lshrrev_b32_e32 v15, s37, v15
	v_mul_lo_u32 v15, v15, s64
	v_sub_u32_e32 v14, v14, v15
	v_readlane_b32 s40, v214, 63
	v_mad_i64_i32 v[14:15], s[34:35], v14, s40, 0
	v_lshlrev_b64 v[14:15], 1, v[14:15]
	v_add_co_u32_e32 v14, vcc, v17, v14
	v_addc_co_u32_e32 v15, vcc, v19, v15, vcc
	flat_load_ushort v21, v[14:15]
	v_add_u32_e32 v14, s80, v161
	v_mul_hi_u32 v15, s36, v14
	v_add_u32_e32 v15, v14, v15
	v_lshrrev_b32_e32 v15, s37, v15
	v_mul_lo_u32 v15, v15, s64
	v_sub_u32_e32 v14, v14, v15
	v_mad_i64_i32 v[14:15], s[34:35], v14, s40, 0
	v_lshlrev_b64 v[14:15], 1, v[14:15]
	v_add_co_u32_e32 v14, vcc, v17, v14
	v_addc_co_u32_e32 v15, vcc, v19, v15, vcc
	flat_load_ushort v14, v[14:15]
	v_readlane_b32 s41, v213, 0
	s_waitcnt vmcnt(0) lgkmcnt(0)
	ds_write_b16 v119, v21 offset:15360
	ds_write_b16 v162, v14 offset:15360
	v_add_u32_e32 v14, s80, v163
	v_mul_hi_u32 v15, s36, v14
	v_add_u32_e32 v15, v14, v15
	v_lshrrev_b32_e32 v15, s37, v15
	v_mul_lo_u32 v15, v15, s64
	v_sub_u32_e32 v14, v14, v15
	v_mad_i64_i32 v[14:15], s[34:35], v14, s40, 0
	v_lshlrev_b64 v[14:15], 1, v[14:15]
	v_add_co_u32_e32 v14, vcc, v17, v14
	v_addc_co_u32_e32 v15, vcc, v19, v15, vcc
	flat_load_ushort v14, v[14:15]
	v_add_u32_e32 v15, s80, v165
	v_mul_hi_u32 v21, s36, v15
	v_add_u32_e32 v21, v15, v21
	v_lshrrev_b32_e32 v21, s37, v21
	v_mul_lo_u32 v21, v21, s64
	v_sub_u32_e32 v15, v15, v21
	v_mad_i64_i32 v[56:57], s[34:35], v15, s40, 0
	v_lshlrev_b64 v[56:57], 1, v[56:57]
	v_add_co_u32_e32 v56, vcc, v17, v56
	v_addc_co_u32_e32 v57, vcc, v19, v57, vcc
	flat_load_ushort v15, v[56:57]
.LBB19_59:                              ;   in Loop: Header=BB19_16 Depth=1
	s_or_b64 exec, exec, s[30:31]
	s_waitcnt vmcnt(0) lgkmcnt(0)
	ds_write_b16 v164, v14 offset:15360
	ds_write_b16 v166, v15 offset:15360
.LBB19_60:                              ;   in Loop: Header=BB19_16 Depth=1
	s_mul_hi_i32 s31, s72, s78
	s_mul_i32 s30, s72, s78
	s_lshl_b64 s[30:31], s[30:31], 2
	s_add_u32 s40, s89, s30
	s_addc_u32 s41, s77, s31
	buffer_store_dword v160, off, s[0:3], 0
	buffer_store_dword v160, off, s[0:3], 0 offset:4
	buffer_store_dword v160, off, s[0:3], 0 offset:8
	buffer_store_dword v160, off, s[0:3], 0 offset:12
	s_and_saveexec_b64 s[30:31], s[46:47]
	s_cbranch_execz .LBB19_62
; %bb.61:                               ;   in Loop: Header=BB19_16 Depth=1
	v_mov_b32_e32 v14, s41
	v_add_co_u32_e32 v15, vcc, s40, v40
	v_addc_co_u32_e32 v14, vcc, v14, v41, vcc
	v_lshlrev_b32_e32 v17, 2, v22
	v_add_co_u32_e32 v15, vcc, v15, v17
	v_addc_co_u32_e32 v14, vcc, 0, v14, vcc
	v_add_co_u32_e32 v17, vcc, 0xc0, v15
	v_addc_co_u32_e32 v14, vcc, 0, v14, vcc
	v_mov_b32_e32 v15, s75
	v_cmp_gt_i32_e32 vcc, s83, v81
	v_cndmask_b32_e32 v15, v15, v14, vcc
	v_mov_b32_e32 v14, s74
	v_cndmask_b32_e32 v14, v14, v17, vcc
	flat_load_dwordx4 v[56:59], v[14:15]
	s_waitcnt vmcnt(0) lgkmcnt(0)
	ds_write_b128 v82, v[56:59]
.LBB19_62:                              ;   in Loop: Header=BB19_16 Depth=1
	s_or_b64 exec, exec, s[30:31]
	v_mov_b32_e32 v14, s41
	v_add_co_u32_e32 v15, vcc, s40, v42
	v_addc_co_u32_e32 v14, vcc, v14, v43, vcc
	v_lshlrev_b32_e32 v53, 2, v24
	v_add_co_u32_e32 v15, vcc, v15, v53
	v_addc_co_u32_e32 v14, vcc, 0, v14, vcc
	v_add_co_u32_e32 v17, vcc, 0x80, v15
	v_addc_co_u32_e32 v14, vcc, 0, v14, vcc
	v_mov_b32_e32 v19, s75
	v_cmp_gt_i32_e64 s[36:37], s83, v83
	v_mov_b32_e32 v21, s74
	v_cndmask_b32_e64 v15, v19, v14, s[36:37]
	v_cndmask_b32_e64 v14, v21, v17, s[36:37]
	flat_load_dwordx4 v[56:59], v[14:15]
	v_mov_b32_e32 v14, s41
	v_add_co_u32_e32 v15, vcc, s40, v44
	v_lshlrev_b32_e32 v25, 2, v26
	v_addc_co_u32_e32 v14, vcc, v14, v45, vcc
	v_add_co_u32_e32 v17, vcc, v15, v25
	v_addc_co_u32_e32 v14, vcc, 0, v14, vcc
	v_cmp_gt_i32_e64 s[34:35], s83, v77
	v_cndmask_b32_e64 v15, v19, v14, s[34:35]
	v_cndmask_b32_e64 v14, v21, v17, s[34:35]
	v_cmp_gt_i32_e64 s[30:31], s83, v108
	s_waitcnt vmcnt(0) lgkmcnt(0)
	ds_write_b128 v90, v[56:59]
	flat_load_dwordx4 v[56:59], v[14:15]
	v_mov_b32_e32 v14, s41
	v_add_co_u32_e32 v15, vcc, s40, v46
	v_addc_co_u32_e32 v14, vcc, v14, v47, vcc
	v_add_co_u32_e32 v17, vcc, v15, v25
	v_addc_co_u32_e32 v14, vcc, 0, v14, vcc
	v_cndmask_b32_e64 v15, v19, v14, s[30:31]
	v_cndmask_b32_e64 v14, v21, v17, s[30:31]
	s_andn2_b64 vcc, exec, s[38:39]
	s_waitcnt vmcnt(0) lgkmcnt(0)
	ds_write_b128 v91, v[56:59]
	flat_load_dwordx4 v[56:59], v[14:15]
	s_waitcnt vmcnt(0) lgkmcnt(0)
	ds_write_b128 v173, v[56:59]
	s_waitcnt lgkmcnt(0)
	s_barrier
	ds_read2_b64 v[56:59], v84 offset1:4
	s_waitcnt lgkmcnt(0)
	v_mfma_f32_16x16x16f16 v[60:63], v[56:57], v[10:11], 0
	v_mfma_f32_16x16x16f16 v[10:13], v[58:59], v[12:13], v[60:63]
	ds_read2_b64 v[56:59], v84 offset0:8 offset1:12
	s_waitcnt lgkmcnt(0)
	v_mfma_f32_16x16x16f16 v[10:13], v[56:57], v[6:7], v[10:13]
	v_mfma_f32_16x16x16f16 v[6:9], v[58:59], v[8:9], v[10:13]
	s_nop 7
	s_nop 1
	ds_read2_b64 v[10:13], v84 offset0:16 offset1:20
	s_waitcnt lgkmcnt(0)
	v_mfma_f32_16x16x16f16 v[6:9], v[10:11], v[2:3], v[6:9]
	v_mfma_f32_16x16x16f16 v[2:5], v[12:13], v[4:5], v[6:9]
	s_nop 7
	s_nop 1
	ds_read_b64 v[6:7], v84 offset:192
	s_waitcnt lgkmcnt(0)
	v_mfma_f32_16x16x16f16 v[2:5], v[6:7], v[54:55], v[2:5]
	s_barrier
	s_cbranch_vccnz .LBB19_64
; %bb.63:                               ;   in Loop: Header=BB19_16 Depth=1
	v_add_u32_e32 v6, 0x3c00, v86
	ds_read2_b32 v[6:7], v6 offset1:1
	s_waitcnt lgkmcnt(0)
	v_cvt_f32_f16_e32 v8, v6
	v_cvt_f32_f16_e32 v10, v7
	v_cvt_f32_f16_sdwa v11, v7 dst_sel:DWORD dst_unused:UNUSED_PAD src0_sel:WORD_1
	v_cvt_f32_f16_sdwa v9, v6 dst_sel:DWORD dst_unused:UNUSED_PAD src0_sel:WORD_1
	s_nop 1
	v_pk_fma_f32 v[4:5], v[52:53], v[10:11], v[4:5] op_sel_hi:[0,1,1]
	v_pk_fma_f32 v[2:3], v[52:53], v[8:9], v[2:3] op_sel_hi:[0,1,1]
.LBB19_64:                              ;   in Loop: Header=BB19_16 Depth=1
	v_add_f32_e32 v6, 0x40051340, v2
	v_max_f32_e32 v7, v1, v1
	v_max_f32_e32 v6, v7, v6
	v_cmp_gt_u32_e64 s[44:45], s83, v85
	v_cndmask_b32_e64 v6, v1, v6, s[44:45]
	v_add_f32_e32 v7, 0x40051340, v3
	v_max_f32_e32 v8, v6, v6
	v_max_f32_e32 v7, v8, v7
	v_cmp_gt_u32_e64 s[42:43], s83, v174
	v_cndmask_b32_e64 v6, v6, v7, s[42:43]
	;; [unrolled: 5-line block ×4, first 2 shown]
	v_and_b32_e32 v7, 64, v159
	v_add_u32_e32 v7, 64, v7
	v_xor_b32_e32 v8, 32, v159
	v_cmp_lt_i32_e32 vcc, v8, v7
	v_cndmask_b32_e32 v8, v159, v8, vcc
	v_lshlrev_b32_e32 v17, 2, v8
	ds_bpermute_b32 v8, v17, v6
	v_max_f32_e32 v6, v6, v6
	s_mul_hi_i32 s73, s72, s66
	s_mul_i32 s72, s72, s66
	s_lshl_b64 s[72:73], s[72:73], 2
	s_waitcnt lgkmcnt(0)
	v_max_f32_e32 v8, v8, v8
	v_max_f32_e32 v6, v6, v8
	v_xor_b32_e32 v8, 16, v159
	v_cmp_lt_i32_e32 vcc, v8, v7
	v_cndmask_b32_e32 v7, v159, v8, vcc
	v_lshlrev_b32_e32 v19, 2, v7
	ds_bpermute_b32 v7, v19, v6
	s_add_u32 s71, s91, s72
	s_addc_u32 s81, s88, s73
	buffer_store_dword v160, off, s[0:3], 0
	buffer_store_dword v160, off, s[0:3], 0 offset:4
	buffer_store_dword v160, off, s[0:3], 0 offset:8
	;; [unrolled: 1-line block ×3, first 2 shown]
	s_and_saveexec_b64 s[72:73], s[46:47]
	s_cbranch_execz .LBB19_66
; %bb.65:                               ;   in Loop: Header=BB19_16 Depth=1
	v_mov_b32_e32 v8, s81
	v_add_co_u32_e32 v9, vcc, s71, v30
	v_addc_co_u32_e32 v8, vcc, v8, v31, vcc
	v_lshlrev_b32_e32 v10, 2, v22
	v_add_co_u32_e32 v9, vcc, v9, v10
	v_addc_co_u32_e32 v8, vcc, 0, v8, vcc
	v_add_co_u32_e32 v10, vcc, 0xc0, v9
	v_addc_co_u32_e32 v8, vcc, 0, v8, vcc
	v_mov_b32_e32 v9, s75
	v_cmp_gt_i32_e32 vcc, s83, v81
	v_cndmask_b32_e32 v9, v9, v8, vcc
	v_mov_b32_e32 v8, s74
	v_cndmask_b32_e32 v8, v8, v10, vcc
	flat_load_dwordx4 v[8:11], v[8:9]
	s_waitcnt vmcnt(0) lgkmcnt(0)
	ds_write_b128 v82, v[8:11]
.LBB19_66:                              ;   in Loop: Header=BB19_16 Depth=1
	s_or_b64 exec, exec, s[72:73]
	s_waitcnt lgkmcnt(0)
	v_max_f32_e32 v7, v7, v7
	v_max_f32_e32 v6, v6, v6
	;; [unrolled: 1-line block ×3, first 2 shown]
	v_sub_f32_e32 v2, v2, v6
	v_mul_f32_e32 v7, 0x3fb8aa3b, v2
	v_fma_f32 v8, v2, s65, -v7
	v_rndne_f32_e32 v9, v7
	v_fmac_f32_e32 v8, 0x32a5705f, v2
	v_sub_f32_e32 v7, v7, v9
	v_add_f32_e32 v7, v7, v8
	v_exp_f32_e32 v7, v7
	v_cvt_i32_f32_e32 v8, v9
	v_cmp_ngt_f32_e32 vcc, s92, v2
	v_sub_f32_e32 v3, v3, v6
	v_cndmask_b32_e64 v4, v4, v4, s[42:43]
	v_ldexp_f32 v7, v7, v8
	v_cndmask_b32_e32 v7, 0, v7, vcc
	v_cmp_nlt_f32_e32 vcc, s27, v2
	v_cndmask_b32_e32 v2, v180, v7, vcc
	v_mul_f32_e32 v7, 0x3fb8aa3b, v3
	v_fma_f32 v8, v3, s65, -v7
	v_rndne_f32_e32 v9, v7
	v_fmac_f32_e32 v8, 0x32a5705f, v3
	v_sub_f32_e32 v7, v7, v9
	v_add_f32_e32 v7, v7, v8
	v_exp_f32_e32 v7, v7
	v_cvt_i32_f32_e32 v8, v9
	v_cmp_ngt_f32_e32 vcc, s92, v3
	v_cndmask_b32_e64 v2, 0, v2, s[44:45]
	v_sub_f32_e32 v4, v4, v6
	v_ldexp_f32 v7, v7, v8
	v_cndmask_b32_e32 v7, 0, v7, vcc
	v_cmp_nlt_f32_e32 vcc, s27, v3
	v_cndmask_b32_e32 v7, v180, v7, vcc
	v_mov_b32_e32 v3, s99
	v_add_f32_e32 v8, v7, v2
	v_cndmask_b32_e64 v54, v3, v7, s[42:43]
	v_mul_f32_e32 v7, 0x3fb8aa3b, v4
	v_cndmask_b32_e64 v3, v2, v8, s[42:43]
	v_fma_f32 v8, v4, s65, -v7
	v_rndne_f32_e32 v9, v7
	v_fmac_f32_e32 v8, 0x32a5705f, v4
	v_sub_f32_e32 v7, v7, v9
	v_add_f32_e32 v7, v7, v8
	v_exp_f32_e32 v7, v7
	v_cvt_i32_f32_e32 v8, v9
	v_cmp_ngt_f32_e32 vcc, s92, v4
	v_cndmask_b32_e64 v5, v5, v5, s[42:43]
	v_sub_f32_e32 v1, v1, v6
	v_ldexp_f32 v7, v7, v8
	v_cndmask_b32_e32 v7, 0, v7, vcc
	v_cmp_nlt_f32_e32 vcc, s27, v4
	v_cndmask_b32_e32 v7, v180, v7, vcc
	v_mov_b32_e32 v4, s99
	v_cndmask_b32_e64 v55, v4, v7, s[40:41]
	v_sub_f32_e32 v4, v5, v6
	v_add_f32_e32 v8, v3, v7
	v_mul_f32_e32 v5, 0x3fb8aa3b, v4
	v_cndmask_b32_e64 v3, v3, v8, s[40:41]
	v_fma_f32 v7, v4, s65, -v5
	v_rndne_f32_e32 v8, v5
	v_fmac_f32_e32 v7, 0x32a5705f, v4
	v_sub_f32_e32 v5, v5, v8
	v_add_f32_e32 v5, v5, v7
	v_exp_f32_e32 v5, v5
	v_cvt_i32_f32_e32 v7, v8
	v_cmp_ngt_f32_e32 vcc, s92, v4
	v_cvt_f16_f32_e32 v2, v2
	s_cmp_eq_u64 s[84:85], 0
	v_ldexp_f32 v5, v5, v7
	v_cndmask_b32_e32 v5, 0, v5, vcc
	v_cmp_nlt_f32_e32 vcc, s27, v4
	v_cndmask_b32_e32 v56, v180, v5, vcc
	v_add_f32_e32 v4, v3, v56
	v_cndmask_b32_e64 v7, v3, v4, s[38:39]
	v_mul_f32_e32 v3, 0x3fb8aa3b, v1
	v_fma_f32 v4, v1, s65, -v3
	v_rndne_f32_e32 v5, v3
	v_fmac_f32_e32 v4, 0x32a5705f, v1
	v_sub_f32_e32 v3, v3, v5
	v_add_f32_e32 v3, v3, v4
	v_exp_f32_e32 v3, v3
	v_cvt_i32_f32_e32 v4, v5
	v_cmp_ngt_f32_e32 vcc, s92, v1
	v_ldexp_f32 v3, v3, v4
	v_cndmask_b32_e32 v3, 0, v3, vcc
	v_cmp_nlt_f32_e32 vcc, s27, v1
	v_cndmask_b32_e32 v3, v180, v3, vcc
	v_cmp_le_f32_e32 vcc, s93, v1
	v_cndmask_b32_e32 v1, 0, v3, vcc
	v_cvt_f16_f32_e32 v3, v1
	v_fmac_f32_e32 v7, v16, v1
	v_pk_mul_f16 v1, v3, v27 op_sel_hi:[0,1]
	v_cvt_f16_f32_e32 v27, v54
	v_pk_mul_f16 v4, v3, v37 op_sel_hi:[0,1]
	v_pk_mul_f16 v8, v3, v66 op_sel_hi:[0,1]
	;; [unrolled: 1-line block ×13, first 2 shown]
	v_mov_b32_e32 v3, s99
	v_cndmask_b32_e64 v3, v3, v56, s[38:39]
	v_pack_b32_f16 v2, v2, v27
	v_cvt_f16_f32_e32 v27, v55
	v_cvt_f16_f32_e32 v3, v3
	v_mov_b32_e32 v37, s81
	v_mov_b32_e32 v49, s75
	v_pack_b32_f16 v3, v27, v3
	v_add_co_u32_e32 v27, vcc, s71, v32
	v_addc_co_u32_e32 v37, vcc, v37, v33, vcc
	v_add_co_u32_e32 v27, vcc, v27, v53
	v_addc_co_u32_e32 v37, vcc, 0, v37, vcc
	v_add_co_u32_e32 v27, vcc, s70, v27
	v_addc_co_u32_e32 v37, vcc, 0, v37, vcc
	v_cndmask_b32_e64 v55, v49, v37, s[36:37]
	v_mov_b32_e32 v37, s74
	v_cndmask_b32_e64 v54, v37, v27, s[36:37]
	flat_load_dwordx4 v[54:57], v[54:55]
	v_add_co_u32_e32 v27, vcc, s71, v34
	v_mov_b32_e32 v53, s81
	v_addc_co_u32_e32 v53, vcc, v53, v35, vcc
	v_add_co_u32_e32 v27, vcc, v27, v25
	v_addc_co_u32_e32 v53, vcc, 0, v53, vcc
	s_waitcnt vmcnt(0) lgkmcnt(0)
	ds_write_b128 v90, v[54:57]
	v_cndmask_b32_e64 v55, v49, v53, s[34:35]
	v_cndmask_b32_e64 v54, v37, v27, s[34:35]
	flat_load_dwordx4 v[54:57], v[54:55]
	v_add_co_u32_e32 v27, vcc, s71, v38
	v_mov_b32_e32 v53, s81
	v_addc_co_u32_e32 v53, vcc, v53, v39, vcc
	v_add_co_u32_e32 v25, vcc, v27, v25
	v_addc_co_u32_e32 v27, vcc, 0, v53, vcc
	v_readlane_b32 s34, v214, 57
	v_readlane_b32 s35, v214, 58
	s_waitcnt vmcnt(0) lgkmcnt(0)
	ds_write_b128 v91, v[54:57]
	v_cndmask_b32_e64 v55, v49, v27, s[30:31]
	v_cndmask_b32_e64 v54, v37, v25, s[30:31]
	flat_load_dwordx4 v[54:57], v[54:55]
	s_cselect_b64 s[30:31], -1, 0
	s_xor_b64 s[34:35], s[34:35], -1
	s_or_b64 s[30:31], s[34:35], s[30:31]
	s_waitcnt vmcnt(0) lgkmcnt(0)
	ds_write_b128 v173, v[54:57]
	s_waitcnt lgkmcnt(0)
	s_barrier
	ds_read_u16 v25, v88 offset:240
	ds_read_u16 v27, v88 offset:480
	v_cvt_f32_f16_e32 v56, v1
	v_cvt_f32_f16_sdwa v57, v1 dst_sel:DWORD dst_unused:UNUSED_PAD src0_sel:WORD_1
	ds_read_u16 v1, v89
	ds_read_u16 v37, v89 offset:32
	v_cvt_f32_f16_e32 v54, v4
	v_cvt_f32_f16_sdwa v55, v4 dst_sel:DWORD dst_unused:UNUSED_PAD src0_sel:WORD_1
	s_waitcnt lgkmcnt(1)
	v_perm_b32 v59, v1, v27, s28
	ds_read_u16 v1, v87
	ds_read_u16 v27, v87 offset:32
	s_waitcnt lgkmcnt(1)
	v_perm_b32 v58, v25, v1, s28
	s_nop 1
	v_mfma_f32_16x16x16f16 v[54:57], v[58:59], v[2:3], v[54:57]
	s_nop 7
	s_nop 2
	v_cvt_f16_f32_e32 v1, v54
	v_cvt_f16_f32_e32 v4, v55
	v_cvt_f16_f32_e32 v25, v56
	v_cvt_f16_f32_e32 v49, v57
	v_cvt_f32_f16_e32 v54, v8
	v_pack_b32_f16 v4, v1, v4
	v_cvt_f32_f16_sdwa v55, v8 dst_sel:DWORD dst_unused:UNUSED_PAD src0_sel:WORD_1
	v_pack_b32_f16 v1, v25, v49
	ds_read_u16 v25, v167 offset:240
	ds_read_u16 v49, v167 offset:480
	v_cvt_f32_f16_e32 v56, v5
	v_cvt_f32_f16_sdwa v57, v5 dst_sel:DWORD dst_unused:UNUSED_PAD src0_sel:WORD_1
	s_waitcnt lgkmcnt(1)
	v_perm_b32 v58, v25, v27, s28
	s_waitcnt lgkmcnt(0)
	v_perm_b32 v59, v37, v49, s28
	s_nop 1
	v_mfma_f32_16x16x16f16 v[54:57], v[58:59], v[2:3], v[54:57]
	s_nop 7
	s_nop 2
	v_cvt_f16_f32_e32 v5, v54
	v_cvt_f16_f32_e32 v8, v55
	v_cvt_f16_f32_e32 v25, v56
	v_cvt_f16_f32_e32 v27, v57
	v_cvt_f32_f16_e32 v54, v10
	v_pack_b32_f16 v8, v5, v8
	v_cvt_f32_f16_sdwa v55, v10 dst_sel:DWORD dst_unused:UNUSED_PAD src0_sel:WORD_1
	v_pack_b32_f16 v5, v25, v27
	ds_read_u16 v25, v87 offset:64
	ds_read_u16 v27, v168 offset:240
	ds_read_u16 v37, v168 offset:480
	ds_read_u16 v49, v89 offset:64
	v_cvt_f32_f16_e32 v56, v9
	v_cvt_f32_f16_sdwa v57, v9 dst_sel:DWORD dst_unused:UNUSED_PAD src0_sel:WORD_1
	s_waitcnt lgkmcnt(2)
	v_perm_b32 v58, v27, v25, s28
	s_waitcnt lgkmcnt(0)
	v_perm_b32 v59, v49, v37, s28
	s_nop 1
	v_mfma_f32_16x16x16f16 v[54:57], v[58:59], v[2:3], v[54:57]
	s_nop 7
	s_nop 2
	v_cvt_f16_f32_e32 v9, v54
	v_cvt_f16_f32_e32 v10, v55
	v_cvt_f16_f32_e32 v25, v56
	v_cvt_f16_f32_e32 v27, v57
	v_cvt_f32_f16_e32 v54, v12
	v_pack_b32_f16 v10, v9, v10
	v_cvt_f32_f16_sdwa v55, v12 dst_sel:DWORD dst_unused:UNUSED_PAD src0_sel:WORD_1
	v_pack_b32_f16 v9, v25, v27
	ds_read_u16 v25, v87 offset:96
	ds_read_u16 v27, v169 offset:240
	;; [unrolled: 22-line block ×5, first 2 shown]
	ds_read_u16 v37, v172 offset:480
	ds_read_u16 v49, v89 offset:192
	v_cvt_f32_f16_e32 v56, v21
	v_cvt_f32_f16_sdwa v57, v21 dst_sel:DWORD dst_unused:UNUSED_PAD src0_sel:WORD_1
	s_waitcnt lgkmcnt(2)
	v_perm_b32 v58, v27, v25, s28
	s_waitcnt lgkmcnt(0)
	v_perm_b32 v59, v49, v37, s28
	s_barrier
	s_nop 0
	v_mfma_f32_16x16x16f16 v[54:57], v[58:59], v[2:3], v[54:57]
	s_nop 7
	s_nop 2
	v_cvt_f16_f32_e32 v2, v54
	v_cvt_f16_f32_e32 v3, v55
	;; [unrolled: 1-line block ×4, first 2 shown]
	v_pack_b32_f16 v2, v2, v3
	v_pack_b32_f16 v3, v21, v23
	ds_bpermute_b32 v21, v17, v7
	s_waitcnt lgkmcnt(0)
	v_add_f32_e32 v7, v7, v21
	ds_bpermute_b32 v21, v19, v7
	s_waitcnt lgkmcnt(0)
	v_add_f32_e32 v7, v7, v21
	s_and_saveexec_b64 s[34:35], s[30:31]
	s_xor_b64 s[30:31], exec, s[34:35]
	s_or_saveexec_b64 s[30:31], s[30:31]
	s_mov_b32 s71, s5
	s_xor_b64 exec, exec, s[30:31]
	s_cbranch_execz .LBB19_68
; %bb.67:                               ;   in Loop: Header=BB19_16 Depth=1
	global_load_dword v21, v160, s[84:85]
	v_max_f32_e32 v25, v6, v6
	s_waitcnt vmcnt(0)
	v_max_f32_e32 v23, v21, v21
	v_max_f32_e32 v54, v25, v23
	v_sub_f32_e32 v6, v6, v54
	v_mul_f32_e32 v23, 0x3fb8aa3b, v6
	v_fma_f32 v25, v6, s65, -v23
	v_rndne_f32_e32 v27, v23
	v_fmac_f32_e32 v25, 0x32a5705f, v6
	v_sub_f32_e32 v23, v23, v27
	v_add_f32_e32 v23, v23, v25
	v_exp_f32_e32 v23, v23
	v_cvt_i32_f32_e32 v25, v27
	v_cmp_ngt_f32_e32 vcc, s92, v6
	v_sub_f32_e32 v21, v21, v54
	v_ldexp_f32 v23, v23, v25
	v_cndmask_b32_e32 v23, 0, v23, vcc
	v_cmp_nlt_f32_e32 vcc, s27, v6
	v_cndmask_b32_e32 v23, v180, v23, vcc
	v_cmp_le_f32_e32 vcc, s93, v6
	v_cndmask_b32_e32 v6, 0, v23, vcc
	v_cvt_f16_f32_e32 v23, v6
	v_cmp_ngt_f32_e32 vcc, s92, v21
	v_pk_mul_f16 v4, v23, v4 op_sel_hi:[0,1]
	v_pk_mul_f16 v1, v23, v1 op_sel_hi:[0,1]
	v_pk_mul_f16 v8, v23, v8 op_sel_hi:[0,1]
	v_pk_mul_f16 v5, v23, v5 op_sel_hi:[0,1]
	v_pk_mul_f16 v10, v23, v10 op_sel_hi:[0,1]
	v_pk_mul_f16 v9, v23, v9 op_sel_hi:[0,1]
	v_pk_mul_f16 v12, v23, v12 op_sel_hi:[0,1]
	v_pk_mul_f16 v11, v23, v11 op_sel_hi:[0,1]
	v_pk_mul_f16 v14, v23, v14 op_sel_hi:[0,1]
	v_pk_mul_f16 v13, v23, v13 op_sel_hi:[0,1]
	v_pk_mul_f16 v16, v23, v16 op_sel_hi:[0,1]
	v_pk_mul_f16 v15, v23, v15 op_sel_hi:[0,1]
	v_pk_mul_f16 v2, v23, v2 op_sel_hi:[0,1]
	v_pk_mul_f16 v3, v23, v3 op_sel_hi:[0,1]
	v_mul_f32_e32 v23, 0x3fb8aa3b, v21
	v_fma_f32 v25, v21, s65, -v23
	v_rndne_f32_e32 v27, v23
	v_fmac_f32_e32 v25, 0x32a5705f, v21
	v_sub_f32_e32 v23, v23, v27
	v_add_f32_e32 v23, v23, v25
	v_exp_f32_e32 v23, v23
	v_cvt_i32_f32_e32 v25, v27
	v_ldexp_f32 v23, v23, v25
	v_cndmask_b32_e32 v23, 0, v23, vcc
	v_cmp_nlt_f32_e32 vcc, s27, v21
	v_cndmask_b32_e32 v55, v180, v23, vcc
	v_fmac_f32_e32 v55, v7, v6
	v_pk_mov_b32 v[6:7], v[54:55], v[54:55] op_sel:[0,1]
.LBB19_68:                              ;   in Loop: Header=BB19_16 Depth=1
	s_or_b64 exec, exec, s[30:31]
	s_mov_b64 s[30:31], exec
	v_readlane_b32 s34, v214, 61
	v_readlane_b32 s35, v214, 62
	s_and_b64 s[34:35], s[30:31], s[34:35]
	s_mov_b64 exec, s[34:35]
	s_cbranch_execz .LBB19_70
; %bb.69:                               ;   in Loop: Header=BB19_16 Depth=1
	v_add_u32_e32 v21, 0, v120
	ds_write2_b32 v21, v6, v7 offset0:56 offset1:57
.LBB19_70:                              ;   in Loop: Header=BB19_16 Depth=1
	s_or_b64 exec, exec, s[30:31]
	s_waitcnt lgkmcnt(0)
	s_barrier
	s_mov_b64 s[30:31], exec
	v_readlane_b32 s34, v214, 59
	v_readlane_b32 s35, v214, 60
	s_and_b64 s[34:35], s[30:31], s[34:35]
	s_xor_b64 s[30:31], s[34:35], s[30:31]
	s_mov_b64 exec, s[34:35]
	s_cbranch_execz .LBB19_72
; %bb.71:                               ;   in Loop: Header=BB19_16 Depth=1
	s_barrier
	s_waitcnt lgkmcnt(0)
                                        ; implicit-def: $vgpr17
                                        ; implicit-def: $vgpr19
.LBB19_72:                              ;   in Loop: Header=BB19_16 Depth=1
	s_andn2_saveexec_b64 s[30:31], s[30:31]
	s_cbranch_execz .LBB19_76
; %bb.73:                               ;   in Loop: Header=BB19_16 Depth=1
	v_add_u32_e32 v7, 0, v120
	ds_read_b64 v[54:55], v7 offset:224
	s_waitcnt lgkmcnt(0)
	s_barrier
	ds_bpermute_b32 v6, v17, v54
	v_max_f32_e32 v21, v54, v54
	s_waitcnt lgkmcnt(0)
	v_max_f32_e32 v6, v6, v6
	v_max_f32_e32 v6, v21, v6
	ds_bpermute_b32 v21, v19, v6
	s_waitcnt lgkmcnt(0)
	v_max_f32_e32 v21, v21, v21
	v_max_f32_e32 v6, v6, v21
	v_sub_f32_e32 v21, v54, v6
	v_mul_f32_e32 v23, 0x3fb8aa3b, v21
	v_fma_f32 v25, v21, s65, -v23
	v_rndne_f32_e32 v27, v23
	v_fmac_f32_e32 v25, 0x32a5705f, v21
	v_sub_f32_e32 v23, v23, v27
	v_add_f32_e32 v23, v23, v25
	v_cvt_i32_f32_e32 v27, v27
	v_exp_f32_e32 v23, v23
	v_cmp_ngt_f32_e32 vcc, s92, v21
	v_ldexp_f32 v23, v23, v27
	v_cndmask_b32_e32 v23, 0, v23, vcc
	v_cmp_nlt_f32_e32 vcc, s27, v21
	v_cndmask_b32_e32 v54, v180, v23, vcc
	v_mul_f32_e32 v21, v55, v54
	ds_bpermute_b32 v17, v17, v21
	s_waitcnt lgkmcnt(0)
	v_fmac_f32_e32 v17, v55, v54
	ds_bpermute_b32 v19, v19, v17
	s_waitcnt lgkmcnt(0)
	v_add_f32_e32 v55, v17, v19
	ds_write_b64 v7, v[54:55] offset:224
	s_mov_b64 s[34:35], exec
	v_readlane_b32 s36, v214, 61
	v_readlane_b32 s37, v214, 62
	s_and_b64 s[36:37], s[34:35], s[36:37]
	s_mov_b64 exec, s[36:37]
	s_cbranch_execz .LBB19_75
; %bb.74:                               ;   in Loop: Header=BB19_16 Depth=1
	v_mov_b32_e32 v7, v55
	global_store_dwordx2 v[28:29], v[6:7], off
.LBB19_75:                              ;   in Loop: Header=BB19_16 Depth=1
	s_or_b64 exec, exec, s[34:35]
.LBB19_76:                              ;   in Loop: Header=BB19_16 Depth=1
	s_or_b64 exec, exec, s[30:31]
	ds_write2_b32 v121, v4, v1 offset1:1
	ds_write2_b32 v121, v8, v5 offset0:8 offset1:9
	ds_write2_b32 v121, v10, v9 offset0:16 offset1:17
	;; [unrolled: 1-line block ×6, first 2 shown]
	s_waitcnt lgkmcnt(0)
	s_barrier
	s_mov_b64 s[30:31], exec
	v_readlane_b32 s34, v214, 57
	v_readlane_b32 s35, v214, 58
	s_and_b64 s[34:35], s[30:31], s[34:35]
	s_mov_b64 exec, s[34:35]
	s_cbranch_execz .LBB19_138
; %bb.77:                               ;   in Loop: Header=BB19_16 Depth=1
	v_add_u32_e32 v1, s80, v92
	v_cmp_gt_i32_e32 vcc, s64, v1
	v_mov_b32_e32 v2, 0x47
	s_and_saveexec_b64 s[34:35], vcc
	s_cbranch_execz .LBB19_79
; %bb.78:                               ;   in Loop: Header=BB19_16 Depth=1
	v_add_u32_e32 v2, 0, v123
	v_add_u32_e32 v6, 0xe0, v2
	ds_read2st64_b32 v[2:3], v6 offset1:15
	ds_read2st64_b32 v[4:5], v124 offset1:15
	ds_read2st64_b32 v[6:7], v6 offset0:30 offset1:45
	ds_read2st64_b32 v[8:9], v124 offset0:30 offset1:45
	v_readlane_b32 s36, v214, 45
	v_mad_u64_u32 v[10:11], s[36:37], v1, s36, v[50:51]
	s_waitcnt lgkmcnt(2)
	v_cvt_f32_f16_sdwa v13, v4 dst_sel:DWORD dst_unused:UNUSED_PAD src0_sel:WORD_1
	v_cvt_f32_f16_e32 v12, v4
	v_cvt_f32_f16_sdwa v15, v5 dst_sel:DWORD dst_unused:UNUSED_PAD src0_sel:WORD_1
	v_cvt_f32_f16_e32 v14, v5
	s_waitcnt lgkmcnt(0)
	v_cvt_f32_f16_sdwa v5, v8 dst_sel:DWORD dst_unused:UNUSED_PAD src0_sel:WORD_1
	v_cvt_f32_f16_e32 v4, v8
	v_pk_fma_f32 v[12:13], v[2:3], v[12:13], 0 op_sel_hi:[0,1,0]
	v_mov_b32_e32 v2, v3
	v_pk_fma_f32 v[2:3], v[2:3], v[14:15], v[12:13] op_sel_hi:[0,1,1]
	v_pk_fma_f32 v[2:3], v[6:7], v[4:5], v[2:3] op_sel_hi:[0,1,1]
	v_cvt_f32_f16_sdwa v5, v9 dst_sel:DWORD dst_unused:UNUSED_PAD src0_sel:WORD_1
	v_cvt_f32_f16_e32 v4, v9
	v_ashrrev_i32_e32 v11, 31, v10
	v_lshlrev_b64 v[10:11], 3, v[10:11]
	v_add_co_u32_e32 v10, vcc, s71, v10
	v_mov_b32_e32 v1, s4
	v_mov_b32_e32 v6, v7
	v_addc_co_u32_e32 v11, vcc, v1, v11, vcc
	v_pk_fma_f32 v[2:3], v[6:7], v[4:5], v[2:3] op_sel_hi:[0,1,1]
	global_store_dwordx2 v[10:11], v[2:3], off
	v_mov_b32_e32 v2, 0
.LBB19_79:                              ;   in Loop: Header=BB19_16 Depth=1
	s_or_b64 exec, exec, s[34:35]
	s_movk_i32 s34, 0x47
	v_cmp_gt_i32_e32 vcc, s34, v2
	s_mov_b64 s[36:37], -1
	s_and_saveexec_b64 s[34:35], vcc
; %bb.80:                               ;   in Loop: Header=BB19_16 Depth=1
	v_cmp_eq_u32_e32 vcc, 0, v2
	s_orn2_b64 s[36:37], vcc, exec
; %bb.81:                               ;   in Loop: Header=BB19_16 Depth=1
	s_or_b64 exec, exec, s[34:35]
	s_and_saveexec_b64 s[34:35], s[36:37]
	s_cbranch_execz .LBB19_114
; %bb.82:                               ;   in Loop: Header=BB19_16 Depth=1
	v_add_u32_e32 v1, s80, v95
	v_cmp_gt_i32_e32 vcc, s64, v1
	v_mov_b32_e32 v2, 0x47
	s_and_saveexec_b64 s[36:37], vcc
	s_cbranch_execz .LBB19_84
; %bb.83:                               ;   in Loop: Header=BB19_16 Depth=1
	v_add_u32_e32 v2, 0, v125
	v_add_u32_e32 v6, 0xe0, v2
	ds_read2st64_b32 v[2:3], v6 offset1:15
	ds_read2st64_b32 v[4:5], v126 offset1:15
	ds_read2st64_b32 v[6:7], v6 offset0:30 offset1:45
	ds_read2st64_b32 v[8:9], v126 offset0:30 offset1:45
	v_readlane_b32 s38, v214, 45
	v_mad_u64_u32 v[10:11], s[38:39], v1, s38, v[50:51]
	s_waitcnt lgkmcnt(2)
	v_cvt_f32_f16_sdwa v13, v4 dst_sel:DWORD dst_unused:UNUSED_PAD src0_sel:WORD_1
	v_cvt_f32_f16_e32 v12, v4
	v_cvt_f32_f16_sdwa v15, v5 dst_sel:DWORD dst_unused:UNUSED_PAD src0_sel:WORD_1
	v_cvt_f32_f16_e32 v14, v5
	s_waitcnt lgkmcnt(0)
	v_cvt_f32_f16_sdwa v5, v8 dst_sel:DWORD dst_unused:UNUSED_PAD src0_sel:WORD_1
	v_cvt_f32_f16_e32 v4, v8
	v_pk_fma_f32 v[12:13], v[2:3], v[12:13], 0 op_sel_hi:[0,1,0]
	v_mov_b32_e32 v2, v3
	v_pk_fma_f32 v[2:3], v[2:3], v[14:15], v[12:13] op_sel_hi:[0,1,1]
	v_pk_fma_f32 v[2:3], v[6:7], v[4:5], v[2:3] op_sel_hi:[0,1,1]
	v_cvt_f32_f16_sdwa v5, v9 dst_sel:DWORD dst_unused:UNUSED_PAD src0_sel:WORD_1
	v_cvt_f32_f16_e32 v4, v9
	v_ashrrev_i32_e32 v11, 31, v10
	v_lshlrev_b64 v[10:11], 3, v[10:11]
	v_add_co_u32_e32 v10, vcc, s71, v10
	v_mov_b32_e32 v1, s4
	v_mov_b32_e32 v6, v7
	v_addc_co_u32_e32 v11, vcc, v1, v11, vcc
	v_pk_fma_f32 v[2:3], v[6:7], v[4:5], v[2:3] op_sel_hi:[0,1,1]
	global_store_dwordx2 v[10:11], v[2:3], off
	v_mov_b32_e32 v2, 0
.LBB19_84:                              ;   in Loop: Header=BB19_16 Depth=1
	s_or_b64 exec, exec, s[36:37]
	s_movk_i32 s36, 0x47
	v_cmp_gt_i32_e32 vcc, s36, v2
	s_mov_b64 s[36:37], -1
	s_and_saveexec_b64 s[38:39], vcc
; %bb.85:                               ;   in Loop: Header=BB19_16 Depth=1
	v_cmp_eq_u32_e32 vcc, 0, v2
	s_orn2_b64 s[36:37], vcc, exec
; %bb.86:                               ;   in Loop: Header=BB19_16 Depth=1
	s_or_b64 exec, exec, s[38:39]
	s_and_b64 exec, exec, s[36:37]
	s_cbranch_execz .LBB19_114
; %bb.87:                               ;   in Loop: Header=BB19_16 Depth=1
	v_add_u32_e32 v1, s80, v96
	v_cmp_gt_i32_e32 vcc, s64, v1
	v_mov_b32_e32 v2, 0x47
	s_and_saveexec_b64 s[36:37], vcc
	s_cbranch_execz .LBB19_89
; %bb.88:                               ;   in Loop: Header=BB19_16 Depth=1
	v_add_u32_e32 v2, 0, v127
	v_add_u32_e32 v6, 0xe0, v2
	ds_read2st64_b32 v[2:3], v6 offset1:15
	ds_read2st64_b32 v[4:5], v128 offset1:15
	ds_read2st64_b32 v[6:7], v6 offset0:30 offset1:45
	ds_read2st64_b32 v[8:9], v128 offset0:30 offset1:45
	v_readlane_b32 s38, v214, 45
	v_mad_u64_u32 v[10:11], s[38:39], v1, s38, v[50:51]
	s_waitcnt lgkmcnt(2)
	v_cvt_f32_f16_sdwa v13, v4 dst_sel:DWORD dst_unused:UNUSED_PAD src0_sel:WORD_1
	v_cvt_f32_f16_e32 v12, v4
	v_cvt_f32_f16_sdwa v15, v5 dst_sel:DWORD dst_unused:UNUSED_PAD src0_sel:WORD_1
	v_cvt_f32_f16_e32 v14, v5
	s_waitcnt lgkmcnt(0)
	v_cvt_f32_f16_sdwa v5, v8 dst_sel:DWORD dst_unused:UNUSED_PAD src0_sel:WORD_1
	v_cvt_f32_f16_e32 v4, v8
	v_pk_fma_f32 v[12:13], v[2:3], v[12:13], 0 op_sel_hi:[0,1,0]
	v_mov_b32_e32 v2, v3
	v_pk_fma_f32 v[2:3], v[2:3], v[14:15], v[12:13] op_sel_hi:[0,1,1]
	v_pk_fma_f32 v[2:3], v[6:7], v[4:5], v[2:3] op_sel_hi:[0,1,1]
	v_cvt_f32_f16_sdwa v5, v9 dst_sel:DWORD dst_unused:UNUSED_PAD src0_sel:WORD_1
	v_cvt_f32_f16_e32 v4, v9
	v_ashrrev_i32_e32 v11, 31, v10
	v_lshlrev_b64 v[10:11], 3, v[10:11]
	v_add_co_u32_e32 v10, vcc, s71, v10
	v_mov_b32_e32 v1, s4
	v_mov_b32_e32 v6, v7
	v_addc_co_u32_e32 v11, vcc, v1, v11, vcc
	v_pk_fma_f32 v[2:3], v[6:7], v[4:5], v[2:3] op_sel_hi:[0,1,1]
	global_store_dwordx2 v[10:11], v[2:3], off
	v_mov_b32_e32 v2, 0
.LBB19_89:                              ;   in Loop: Header=BB19_16 Depth=1
	s_or_b64 exec, exec, s[36:37]
	s_movk_i32 s36, 0x47
	v_cmp_gt_i32_e32 vcc, s36, v2
	s_mov_b64 s[36:37], -1
	s_and_saveexec_b64 s[38:39], vcc
; %bb.90:                               ;   in Loop: Header=BB19_16 Depth=1
	v_cmp_eq_u32_e32 vcc, 0, v2
	s_orn2_b64 s[36:37], vcc, exec
; %bb.91:                               ;   in Loop: Header=BB19_16 Depth=1
	s_or_b64 exec, exec, s[38:39]
	s_and_b64 exec, exec, s[36:37]
	;; [unrolled: 51-line block ×3, first 2 shown]
	s_cbranch_execz .LBB19_114
; %bb.97:                               ;   in Loop: Header=BB19_16 Depth=1
	v_add_u32_e32 v1, s80, v98
	v_cmp_gt_i32_e32 vcc, s64, v1
	v_mov_b32_e32 v2, 0x47
	s_and_saveexec_b64 s[36:37], vcc
	s_cbranch_execz .LBB19_99
; %bb.98:                               ;   in Loop: Header=BB19_16 Depth=1
	v_add_u32_e32 v2, 0, v131
	v_add_u32_e32 v6, 0xe0, v2
	ds_read2st64_b32 v[2:3], v6 offset1:15
	ds_read2st64_b32 v[4:5], v132 offset1:15
	ds_read2st64_b32 v[6:7], v6 offset0:30 offset1:45
	ds_read2st64_b32 v[8:9], v132 offset0:30 offset1:45
	v_readlane_b32 s38, v214, 45
	v_mad_u64_u32 v[10:11], s[38:39], v1, s38, v[50:51]
	s_waitcnt lgkmcnt(2)
	v_cvt_f32_f16_sdwa v13, v4 dst_sel:DWORD dst_unused:UNUSED_PAD src0_sel:WORD_1
	v_cvt_f32_f16_e32 v12, v4
	v_cvt_f32_f16_sdwa v15, v5 dst_sel:DWORD dst_unused:UNUSED_PAD src0_sel:WORD_1
	v_cvt_f32_f16_e32 v14, v5
	s_waitcnt lgkmcnt(0)
	v_cvt_f32_f16_sdwa v5, v8 dst_sel:DWORD dst_unused:UNUSED_PAD src0_sel:WORD_1
	v_cvt_f32_f16_e32 v4, v8
	v_pk_fma_f32 v[12:13], v[2:3], v[12:13], 0 op_sel_hi:[0,1,0]
	v_mov_b32_e32 v2, v3
	v_pk_fma_f32 v[2:3], v[2:3], v[14:15], v[12:13] op_sel_hi:[0,1,1]
	v_pk_fma_f32 v[2:3], v[6:7], v[4:5], v[2:3] op_sel_hi:[0,1,1]
	v_cvt_f32_f16_sdwa v5, v9 dst_sel:DWORD dst_unused:UNUSED_PAD src0_sel:WORD_1
	v_cvt_f32_f16_e32 v4, v9
	v_ashrrev_i32_e32 v11, 31, v10
	v_lshlrev_b64 v[10:11], 3, v[10:11]
	v_add_co_u32_e32 v10, vcc, s71, v10
	v_mov_b32_e32 v1, s4
	v_mov_b32_e32 v6, v7
	v_addc_co_u32_e32 v11, vcc, v1, v11, vcc
	v_pk_fma_f32 v[2:3], v[6:7], v[4:5], v[2:3] op_sel_hi:[0,1,1]
	global_store_dwordx2 v[10:11], v[2:3], off
	v_mov_b32_e32 v2, 0
.LBB19_99:                              ;   in Loop: Header=BB19_16 Depth=1
	s_or_b64 exec, exec, s[36:37]
	s_movk_i32 s36, 0x47
	v_cmp_gt_i32_e32 vcc, s36, v2
	s_mov_b64 s[36:37], -1
	s_and_saveexec_b64 s[38:39], vcc
; %bb.100:                              ;   in Loop: Header=BB19_16 Depth=1
	v_cmp_eq_u32_e32 vcc, 0, v2
	s_orn2_b64 s[36:37], vcc, exec
; %bb.101:                              ;   in Loop: Header=BB19_16 Depth=1
	s_or_b64 exec, exec, s[38:39]
	s_and_b64 exec, exec, s[36:37]
	s_cbranch_execz .LBB19_114
; %bb.102:                              ;   in Loop: Header=BB19_16 Depth=1
	v_add_u32_e32 v1, s80, v99
	v_cmp_gt_i32_e32 vcc, s64, v1
	v_mov_b32_e32 v2, 0x47
	s_and_saveexec_b64 s[36:37], vcc
	s_cbranch_execz .LBB19_104
; %bb.103:                              ;   in Loop: Header=BB19_16 Depth=1
	v_add_u32_e32 v2, 0, v133
	v_add_u32_e32 v6, 0xe0, v2
	ds_read2st64_b32 v[2:3], v6 offset1:15
	ds_read2st64_b32 v[4:5], v134 offset1:15
	ds_read2st64_b32 v[6:7], v6 offset0:30 offset1:45
	ds_read2st64_b32 v[8:9], v134 offset0:30 offset1:45
	v_readlane_b32 s38, v214, 45
	v_mad_u64_u32 v[10:11], s[38:39], v1, s38, v[50:51]
	s_waitcnt lgkmcnt(2)
	v_cvt_f32_f16_sdwa v13, v4 dst_sel:DWORD dst_unused:UNUSED_PAD src0_sel:WORD_1
	v_cvt_f32_f16_e32 v12, v4
	v_cvt_f32_f16_sdwa v15, v5 dst_sel:DWORD dst_unused:UNUSED_PAD src0_sel:WORD_1
	v_cvt_f32_f16_e32 v14, v5
	s_waitcnt lgkmcnt(0)
	v_cvt_f32_f16_sdwa v5, v8 dst_sel:DWORD dst_unused:UNUSED_PAD src0_sel:WORD_1
	v_cvt_f32_f16_e32 v4, v8
	v_pk_fma_f32 v[12:13], v[2:3], v[12:13], 0 op_sel_hi:[0,1,0]
	v_mov_b32_e32 v2, v3
	v_pk_fma_f32 v[2:3], v[2:3], v[14:15], v[12:13] op_sel_hi:[0,1,1]
	v_pk_fma_f32 v[2:3], v[6:7], v[4:5], v[2:3] op_sel_hi:[0,1,1]
	v_cvt_f32_f16_sdwa v5, v9 dst_sel:DWORD dst_unused:UNUSED_PAD src0_sel:WORD_1
	v_cvt_f32_f16_e32 v4, v9
	v_ashrrev_i32_e32 v11, 31, v10
	v_lshlrev_b64 v[10:11], 3, v[10:11]
	v_add_co_u32_e32 v10, vcc, s71, v10
	v_mov_b32_e32 v1, s4
	v_mov_b32_e32 v6, v7
	v_addc_co_u32_e32 v11, vcc, v1, v11, vcc
	v_pk_fma_f32 v[2:3], v[6:7], v[4:5], v[2:3] op_sel_hi:[0,1,1]
	global_store_dwordx2 v[10:11], v[2:3], off
	v_mov_b32_e32 v2, 0
.LBB19_104:                             ;   in Loop: Header=BB19_16 Depth=1
	s_or_b64 exec, exec, s[36:37]
	s_movk_i32 s36, 0x47
	v_cmp_gt_i32_e32 vcc, s36, v2
	s_mov_b64 s[36:37], -1
	s_and_saveexec_b64 s[38:39], vcc
; %bb.105:                              ;   in Loop: Header=BB19_16 Depth=1
	v_cmp_eq_u32_e32 vcc, 0, v2
	s_orn2_b64 s[36:37], vcc, exec
; %bb.106:                              ;   in Loop: Header=BB19_16 Depth=1
	s_or_b64 exec, exec, s[38:39]
	s_and_b64 exec, exec, s[36:37]
	s_cbranch_execz .LBB19_114
; %bb.107:                              ;   in Loop: Header=BB19_16 Depth=1
	v_add_u32_e32 v1, s80, v100
	v_cmp_gt_i32_e32 vcc, s64, v1
	v_mov_b32_e32 v2, 0x47
	s_and_saveexec_b64 s[36:37], vcc
	s_cbranch_execz .LBB19_109
; %bb.108:                              ;   in Loop: Header=BB19_16 Depth=1
	v_add_u32_e32 v2, 0, v135
	v_add_u32_e32 v6, 0xe0, v2
	ds_read2st64_b32 v[2:3], v6 offset1:15
	ds_read2st64_b32 v[4:5], v136 offset1:15
	ds_read2st64_b32 v[6:7], v6 offset0:30 offset1:45
	ds_read2st64_b32 v[8:9], v136 offset0:30 offset1:45
	v_readlane_b32 s38, v214, 45
	v_mad_u64_u32 v[10:11], s[38:39], v1, s38, v[50:51]
	s_waitcnt lgkmcnt(2)
	v_cvt_f32_f16_sdwa v13, v4 dst_sel:DWORD dst_unused:UNUSED_PAD src0_sel:WORD_1
	v_cvt_f32_f16_e32 v12, v4
	v_cvt_f32_f16_sdwa v15, v5 dst_sel:DWORD dst_unused:UNUSED_PAD src0_sel:WORD_1
	v_cvt_f32_f16_e32 v14, v5
	s_waitcnt lgkmcnt(0)
	v_cvt_f32_f16_sdwa v5, v8 dst_sel:DWORD dst_unused:UNUSED_PAD src0_sel:WORD_1
	v_cvt_f32_f16_e32 v4, v8
	v_pk_fma_f32 v[12:13], v[2:3], v[12:13], 0 op_sel_hi:[0,1,0]
	v_mov_b32_e32 v2, v3
	v_pk_fma_f32 v[2:3], v[2:3], v[14:15], v[12:13] op_sel_hi:[0,1,1]
	v_pk_fma_f32 v[2:3], v[6:7], v[4:5], v[2:3] op_sel_hi:[0,1,1]
	v_cvt_f32_f16_sdwa v5, v9 dst_sel:DWORD dst_unused:UNUSED_PAD src0_sel:WORD_1
	v_cvt_f32_f16_e32 v4, v9
	v_ashrrev_i32_e32 v11, 31, v10
	v_lshlrev_b64 v[10:11], 3, v[10:11]
	v_add_co_u32_e32 v10, vcc, s71, v10
	v_mov_b32_e32 v1, s4
	v_mov_b32_e32 v6, v7
	v_addc_co_u32_e32 v11, vcc, v1, v11, vcc
	v_pk_fma_f32 v[2:3], v[6:7], v[4:5], v[2:3] op_sel_hi:[0,1,1]
	global_store_dwordx2 v[10:11], v[2:3], off
	v_mov_b32_e32 v2, 0
.LBB19_109:                             ;   in Loop: Header=BB19_16 Depth=1
	s_or_b64 exec, exec, s[36:37]
	s_movk_i32 s36, 0x47
	v_cmp_gt_i32_e32 vcc, s36, v2
	s_mov_b64 s[36:37], -1
	s_and_saveexec_b64 s[38:39], vcc
; %bb.110:                              ;   in Loop: Header=BB19_16 Depth=1
	v_cmp_eq_u32_e32 vcc, 0, v2
	s_orn2_b64 s[36:37], vcc, exec
; %bb.111:                              ;   in Loop: Header=BB19_16 Depth=1
	s_or_b64 exec, exec, s[38:39]
	s_and_b64 exec, exec, s[36:37]
	s_cbranch_execz .LBB19_114
; %bb.112:                              ;   in Loop: Header=BB19_16 Depth=1
	v_add_u32_e32 v1, s80, v101
	v_cmp_gt_i32_e32 vcc, s64, v1
	s_and_b64 exec, exec, vcc
	s_cbranch_execz .LBB19_114
; %bb.113:                              ;   in Loop: Header=BB19_16 Depth=1
	v_add_u32_e32 v2, 0, v137
	v_add_u32_e32 v6, 0xe0, v2
	ds_read2st64_b32 v[2:3], v6 offset1:15
	ds_read2st64_b32 v[4:5], v138 offset1:15
	ds_read2st64_b32 v[6:7], v6 offset0:30 offset1:45
	ds_read2st64_b32 v[8:9], v138 offset0:30 offset1:45
	v_readlane_b32 s36, v214, 45
	v_mad_u64_u32 v[10:11], s[36:37], v1, s36, v[50:51]
	s_waitcnt lgkmcnt(2)
	v_cvt_f32_f16_sdwa v13, v4 dst_sel:DWORD dst_unused:UNUSED_PAD src0_sel:WORD_1
	v_cvt_f32_f16_e32 v12, v4
	v_cvt_f32_f16_sdwa v15, v5 dst_sel:DWORD dst_unused:UNUSED_PAD src0_sel:WORD_1
	v_cvt_f32_f16_e32 v14, v5
	s_waitcnt lgkmcnt(0)
	v_cvt_f32_f16_sdwa v5, v8 dst_sel:DWORD dst_unused:UNUSED_PAD src0_sel:WORD_1
	v_cvt_f32_f16_e32 v4, v8
	v_pk_fma_f32 v[12:13], v[2:3], v[12:13], 0 op_sel_hi:[0,1,0]
	v_mov_b32_e32 v2, v3
	v_pk_fma_f32 v[2:3], v[2:3], v[14:15], v[12:13] op_sel_hi:[0,1,1]
	v_pk_fma_f32 v[2:3], v[6:7], v[4:5], v[2:3] op_sel_hi:[0,1,1]
	v_cvt_f32_f16_sdwa v5, v9 dst_sel:DWORD dst_unused:UNUSED_PAD src0_sel:WORD_1
	v_cvt_f32_f16_e32 v4, v9
	v_ashrrev_i32_e32 v11, 31, v10
	v_lshlrev_b64 v[10:11], 3, v[10:11]
	v_add_co_u32_e32 v10, vcc, s71, v10
	v_mov_b32_e32 v1, s4
	v_mov_b32_e32 v6, v7
	v_addc_co_u32_e32 v11, vcc, v1, v11, vcc
	v_pk_fma_f32 v[2:3], v[6:7], v[4:5], v[2:3] op_sel_hi:[0,1,1]
	global_store_dwordx2 v[10:11], v[2:3], off
.LBB19_114:                             ;   in Loop: Header=BB19_16 Depth=1
	s_or_b64 exec, exec, s[34:35]
	v_add_u32_e32 v2, s80, v93
	v_cmp_gt_i32_e32 vcc, s64, v2
	v_mov_b32_e32 v1, 0x47
	s_and_saveexec_b64 s[34:35], vcc
	s_cbranch_execz .LBB19_116
; %bb.115:                              ;   in Loop: Header=BB19_16 Depth=1
	v_readlane_b32 s36, v214, 45
	v_mul_lo_u32 v1, v2, s36
	v_add_u32_e32 v2, 0, v139
	v_add_u32_e32 v6, 0xe0, v2
	;; [unrolled: 1-line block ×3, first 2 shown]
	ds_read2st64_b32 v[2:3], v6 offset1:15
	ds_read2st64_b32 v[4:5], v8 offset1:15
	ds_read2st64_b32 v[6:7], v6 offset0:30 offset1:45
	ds_read2st64_b32 v[8:9], v8 offset0:30 offset1:45
	v_ashrrev_i32_e32 v11, 31, v1
	v_add_co_u32_e32 v10, vcc, v1, v20
	s_waitcnt lgkmcnt(2)
	v_cvt_f32_f16_sdwa v13, v4 dst_sel:DWORD dst_unused:UNUSED_PAD src0_sel:WORD_1
	v_cvt_f32_f16_e32 v12, v4
	v_cvt_f32_f16_sdwa v15, v5 dst_sel:DWORD dst_unused:UNUSED_PAD src0_sel:WORD_1
	v_cvt_f32_f16_e32 v14, v5
	s_waitcnt lgkmcnt(0)
	v_cvt_f32_f16_sdwa v5, v8 dst_sel:DWORD dst_unused:UNUSED_PAD src0_sel:WORD_1
	v_cvt_f32_f16_e32 v4, v8
	v_pk_fma_f32 v[12:13], v[2:3], v[12:13], 0 op_sel_hi:[0,1,0]
	v_mov_b32_e32 v2, v3
	v_pk_fma_f32 v[2:3], v[2:3], v[14:15], v[12:13] op_sel_hi:[0,1,1]
	v_pk_fma_f32 v[2:3], v[6:7], v[4:5], v[2:3] op_sel_hi:[0,1,1]
	v_cvt_f32_f16_sdwa v5, v9 dst_sel:DWORD dst_unused:UNUSED_PAD src0_sel:WORD_1
	v_cvt_f32_f16_e32 v4, v9
	v_addc_co_u32_e32 v11, vcc, 0, v11, vcc
	v_lshlrev_b64 v[10:11], 3, v[10:11]
	v_add_co_u32_e32 v10, vcc, s71, v10
	v_mov_b32_e32 v1, s4
	v_mov_b32_e32 v6, v7
	v_addc_co_u32_e32 v11, vcc, v1, v11, vcc
	v_pk_fma_f32 v[2:3], v[6:7], v[4:5], v[2:3] op_sel_hi:[0,1,1]
	v_mov_b32_e32 v1, 0
	global_store_dwordx2 v[10:11], v[2:3], off offset:256
.LBB19_116:                             ;   in Loop: Header=BB19_16 Depth=1
	s_or_b64 exec, exec, s[34:35]
	s_movk_i32 s34, 0x47
	v_cmp_gt_i32_e32 vcc, s34, v1
	s_mov_b64 s[36:37], -1
	s_and_saveexec_b64 s[34:35], vcc
; %bb.117:                              ;   in Loop: Header=BB19_16 Depth=1
	v_cmp_eq_u32_e32 vcc, 0, v1
	s_orn2_b64 s[36:37], vcc, exec
; %bb.118:                              ;   in Loop: Header=BB19_16 Depth=1
	s_or_b64 exec, exec, s[34:35]
	s_and_saveexec_b64 s[34:35], s[36:37]
	s_cbranch_execz .LBB19_131
; %bb.119:                              ;   in Loop: Header=BB19_16 Depth=1
	v_add_u32_e32 v2, s80, v102
	v_cmp_gt_i32_e32 vcc, s64, v2
	v_mov_b32_e32 v1, 0x47
	s_and_saveexec_b64 s[36:37], vcc
	s_cbranch_execz .LBB19_121
; %bb.120:                              ;   in Loop: Header=BB19_16 Depth=1
	v_readlane_b32 s38, v214, 45
	v_mul_lo_u32 v1, v2, s38
	v_add_u32_e32 v2, 0, v141
	v_add_u32_e32 v6, 0xe0, v2
	;; [unrolled: 1-line block ×3, first 2 shown]
	ds_read2st64_b32 v[2:3], v6 offset1:15
	ds_read2st64_b32 v[4:5], v8 offset1:15
	ds_read2st64_b32 v[6:7], v6 offset0:30 offset1:45
	ds_read2st64_b32 v[8:9], v8 offset0:30 offset1:45
	v_ashrrev_i32_e32 v11, 31, v1
	v_add_co_u32_e32 v10, vcc, v1, v20
	s_waitcnt lgkmcnt(2)
	v_cvt_f32_f16_sdwa v13, v4 dst_sel:DWORD dst_unused:UNUSED_PAD src0_sel:WORD_1
	v_cvt_f32_f16_e32 v12, v4
	v_cvt_f32_f16_sdwa v15, v5 dst_sel:DWORD dst_unused:UNUSED_PAD src0_sel:WORD_1
	v_cvt_f32_f16_e32 v14, v5
	s_waitcnt lgkmcnt(0)
	v_cvt_f32_f16_sdwa v5, v8 dst_sel:DWORD dst_unused:UNUSED_PAD src0_sel:WORD_1
	v_cvt_f32_f16_e32 v4, v8
	v_pk_fma_f32 v[12:13], v[2:3], v[12:13], 0 op_sel_hi:[0,1,0]
	v_mov_b32_e32 v2, v3
	v_pk_fma_f32 v[2:3], v[2:3], v[14:15], v[12:13] op_sel_hi:[0,1,1]
	v_pk_fma_f32 v[2:3], v[6:7], v[4:5], v[2:3] op_sel_hi:[0,1,1]
	v_cvt_f32_f16_sdwa v5, v9 dst_sel:DWORD dst_unused:UNUSED_PAD src0_sel:WORD_1
	v_cvt_f32_f16_e32 v4, v9
	v_addc_co_u32_e32 v11, vcc, 0, v11, vcc
	v_lshlrev_b64 v[10:11], 3, v[10:11]
	v_add_co_u32_e32 v10, vcc, s71, v10
	v_mov_b32_e32 v1, s4
	v_mov_b32_e32 v6, v7
	v_addc_co_u32_e32 v11, vcc, v1, v11, vcc
	v_pk_fma_f32 v[2:3], v[6:7], v[4:5], v[2:3] op_sel_hi:[0,1,1]
	v_mov_b32_e32 v1, 0
	global_store_dwordx2 v[10:11], v[2:3], off offset:256
.LBB19_121:                             ;   in Loop: Header=BB19_16 Depth=1
	s_or_b64 exec, exec, s[36:37]
	s_movk_i32 s36, 0x47
	v_cmp_gt_i32_e32 vcc, s36, v1
	s_mov_b64 s[36:37], -1
	s_and_saveexec_b64 s[38:39], vcc
; %bb.122:                              ;   in Loop: Header=BB19_16 Depth=1
	v_cmp_eq_u32_e32 vcc, 0, v1
	s_orn2_b64 s[36:37], vcc, exec
; %bb.123:                              ;   in Loop: Header=BB19_16 Depth=1
	s_or_b64 exec, exec, s[38:39]
	s_and_b64 exec, exec, s[36:37]
	s_cbranch_execz .LBB19_131
; %bb.124:                              ;   in Loop: Header=BB19_16 Depth=1
	v_add_u32_e32 v2, s80, v103
	v_cmp_gt_i32_e32 vcc, s64, v2
	v_mov_b32_e32 v1, 0x47
	s_and_saveexec_b64 s[36:37], vcc
	s_cbranch_execz .LBB19_126
; %bb.125:                              ;   in Loop: Header=BB19_16 Depth=1
	v_readlane_b32 s38, v214, 45
	v_mul_lo_u32 v1, v2, s38
	v_add_u32_e32 v2, 0, v143
	v_add_u32_e32 v6, 0xe0, v2
	;; [unrolled: 1-line block ×3, first 2 shown]
	ds_read2st64_b32 v[2:3], v6 offset1:15
	ds_read2st64_b32 v[4:5], v8 offset1:15
	ds_read2st64_b32 v[6:7], v6 offset0:30 offset1:45
	ds_read2st64_b32 v[8:9], v8 offset0:30 offset1:45
	v_ashrrev_i32_e32 v11, 31, v1
	v_add_co_u32_e32 v10, vcc, v1, v20
	s_waitcnt lgkmcnt(2)
	v_cvt_f32_f16_sdwa v13, v4 dst_sel:DWORD dst_unused:UNUSED_PAD src0_sel:WORD_1
	v_cvt_f32_f16_e32 v12, v4
	v_cvt_f32_f16_sdwa v15, v5 dst_sel:DWORD dst_unused:UNUSED_PAD src0_sel:WORD_1
	v_cvt_f32_f16_e32 v14, v5
	s_waitcnt lgkmcnt(0)
	v_cvt_f32_f16_sdwa v5, v8 dst_sel:DWORD dst_unused:UNUSED_PAD src0_sel:WORD_1
	v_cvt_f32_f16_e32 v4, v8
	v_pk_fma_f32 v[12:13], v[2:3], v[12:13], 0 op_sel_hi:[0,1,0]
	v_mov_b32_e32 v2, v3
	v_pk_fma_f32 v[2:3], v[2:3], v[14:15], v[12:13] op_sel_hi:[0,1,1]
	v_pk_fma_f32 v[2:3], v[6:7], v[4:5], v[2:3] op_sel_hi:[0,1,1]
	v_cvt_f32_f16_sdwa v5, v9 dst_sel:DWORD dst_unused:UNUSED_PAD src0_sel:WORD_1
	v_cvt_f32_f16_e32 v4, v9
	v_addc_co_u32_e32 v11, vcc, 0, v11, vcc
	v_lshlrev_b64 v[10:11], 3, v[10:11]
	v_add_co_u32_e32 v10, vcc, s71, v10
	v_mov_b32_e32 v1, s4
	v_mov_b32_e32 v6, v7
	v_addc_co_u32_e32 v11, vcc, v1, v11, vcc
	v_pk_fma_f32 v[2:3], v[6:7], v[4:5], v[2:3] op_sel_hi:[0,1,1]
	v_mov_b32_e32 v1, 0
	global_store_dwordx2 v[10:11], v[2:3], off offset:256
.LBB19_126:                             ;   in Loop: Header=BB19_16 Depth=1
	s_or_b64 exec, exec, s[36:37]
	s_movk_i32 s36, 0x47
	v_cmp_gt_i32_e32 vcc, s36, v1
	s_mov_b64 s[36:37], -1
	s_and_saveexec_b64 s[38:39], vcc
; %bb.127:                              ;   in Loop: Header=BB19_16 Depth=1
	v_cmp_eq_u32_e32 vcc, 0, v1
	s_orn2_b64 s[36:37], vcc, exec
; %bb.128:                              ;   in Loop: Header=BB19_16 Depth=1
	s_or_b64 exec, exec, s[38:39]
	s_and_b64 exec, exec, s[36:37]
	s_cbranch_execz .LBB19_131
; %bb.129:                              ;   in Loop: Header=BB19_16 Depth=1
	v_add_u32_e32 v1, s80, v104
	v_cmp_gt_i32_e32 vcc, s64, v1
	s_and_b64 exec, exec, vcc
	s_cbranch_execz .LBB19_131
; %bb.130:                              ;   in Loop: Header=BB19_16 Depth=1
	v_add_u32_e32 v2, 0, v145
	v_add_u32_e32 v6, 0xe0, v2
	;; [unrolled: 1-line block ×3, first 2 shown]
	ds_read2st64_b32 v[2:3], v6 offset1:15
	ds_read2st64_b32 v[4:5], v8 offset1:15
	ds_read2st64_b32 v[6:7], v6 offset0:30 offset1:45
	ds_read2st64_b32 v[8:9], v8 offset0:30 offset1:45
	v_readlane_b32 s36, v214, 45
	v_mul_lo_u32 v1, v1, s36
	s_waitcnt lgkmcnt(2)
	v_cvt_f32_f16_sdwa v13, v4 dst_sel:DWORD dst_unused:UNUSED_PAD src0_sel:WORD_1
	v_cvt_f32_f16_e32 v12, v4
	v_cvt_f32_f16_sdwa v15, v5 dst_sel:DWORD dst_unused:UNUSED_PAD src0_sel:WORD_1
	v_cvt_f32_f16_e32 v14, v5
	s_waitcnt lgkmcnt(0)
	v_cvt_f32_f16_sdwa v5, v8 dst_sel:DWORD dst_unused:UNUSED_PAD src0_sel:WORD_1
	v_cvt_f32_f16_e32 v4, v8
	v_pk_fma_f32 v[12:13], v[2:3], v[12:13], 0 op_sel_hi:[0,1,0]
	v_mov_b32_e32 v2, v3
	v_pk_fma_f32 v[2:3], v[2:3], v[14:15], v[12:13] op_sel_hi:[0,1,1]
	v_ashrrev_i32_e32 v11, 31, v1
	v_add_co_u32_e32 v10, vcc, v1, v20
	v_pk_fma_f32 v[2:3], v[6:7], v[4:5], v[2:3] op_sel_hi:[0,1,1]
	v_cvt_f32_f16_sdwa v5, v9 dst_sel:DWORD dst_unused:UNUSED_PAD src0_sel:WORD_1
	v_cvt_f32_f16_e32 v4, v9
	v_addc_co_u32_e32 v11, vcc, 0, v11, vcc
	v_lshlrev_b64 v[10:11], 3, v[10:11]
	v_add_co_u32_e32 v10, vcc, s71, v10
	v_mov_b32_e32 v1, s4
	v_mov_b32_e32 v6, v7
	v_addc_co_u32_e32 v11, vcc, v1, v11, vcc
	v_pk_fma_f32 v[2:3], v[6:7], v[4:5], v[2:3] op_sel_hi:[0,1,1]
	global_store_dwordx2 v[10:11], v[2:3], off offset:256
.LBB19_131:                             ;   in Loop: Header=BB19_16 Depth=1
	s_or_b64 exec, exec, s[34:35]
	v_add_u32_e32 v2, s80, v94
	v_cmp_gt_i32_e32 vcc, s64, v2
	v_mov_b32_e32 v1, 0x47
	s_and_saveexec_b64 s[34:35], vcc
	s_cbranch_execz .LBB19_133
; %bb.132:                              ;   in Loop: Header=BB19_16 Depth=1
	v_readlane_b32 s36, v214, 45
	v_mul_lo_u32 v1, v2, s36
	v_add_u32_e32 v2, 0, v147
	v_add_u32_e32 v6, 0xe0, v2
	;; [unrolled: 1-line block ×3, first 2 shown]
	ds_read2st64_b32 v[2:3], v6 offset1:15
	ds_read2st64_b32 v[4:5], v8 offset1:15
	ds_read2st64_b32 v[6:7], v6 offset0:30 offset1:45
	ds_read2st64_b32 v[8:9], v8 offset0:30 offset1:45
	v_ashrrev_i32_e32 v11, 31, v1
	v_add_co_u32_e32 v10, vcc, v1, v36
	s_waitcnt lgkmcnt(2)
	v_cvt_f32_f16_sdwa v13, v4 dst_sel:DWORD dst_unused:UNUSED_PAD src0_sel:WORD_1
	v_cvt_f32_f16_e32 v12, v4
	v_cvt_f32_f16_sdwa v15, v5 dst_sel:DWORD dst_unused:UNUSED_PAD src0_sel:WORD_1
	v_cvt_f32_f16_e32 v14, v5
	s_waitcnt lgkmcnt(0)
	v_cvt_f32_f16_sdwa v5, v8 dst_sel:DWORD dst_unused:UNUSED_PAD src0_sel:WORD_1
	v_cvt_f32_f16_e32 v4, v8
	v_pk_fma_f32 v[12:13], v[2:3], v[12:13], 0 op_sel_hi:[0,1,0]
	v_mov_b32_e32 v2, v3
	v_pk_fma_f32 v[2:3], v[2:3], v[14:15], v[12:13] op_sel_hi:[0,1,1]
	v_pk_fma_f32 v[2:3], v[6:7], v[4:5], v[2:3] op_sel_hi:[0,1,1]
	v_cvt_f32_f16_sdwa v5, v9 dst_sel:DWORD dst_unused:UNUSED_PAD src0_sel:WORD_1
	v_cvt_f32_f16_e32 v4, v9
	v_addc_co_u32_e32 v11, vcc, 0, v11, vcc
	v_lshlrev_b64 v[10:11], 3, v[10:11]
	v_add_co_u32_e32 v10, vcc, s71, v10
	v_mov_b32_e32 v1, s4
	v_mov_b32_e32 v6, v7
	v_addc_co_u32_e32 v11, vcc, v1, v11, vcc
	v_pk_fma_f32 v[2:3], v[6:7], v[4:5], v[2:3] op_sel_hi:[0,1,1]
	v_mov_b32_e32 v1, 0
	global_store_dwordx2 v[10:11], v[2:3], off offset:384
.LBB19_133:                             ;   in Loop: Header=BB19_16 Depth=1
	s_or_b64 exec, exec, s[34:35]
	s_movk_i32 s34, 0x47
	v_cmp_gt_i32_e32 vcc, s34, v1
	s_mov_b64 s[34:35], -1
	s_and_saveexec_b64 s[36:37], vcc
; %bb.134:                              ;   in Loop: Header=BB19_16 Depth=1
	v_cmp_eq_u32_e32 vcc, 0, v1
	s_orn2_b64 s[34:35], vcc, exec
; %bb.135:                              ;   in Loop: Header=BB19_16 Depth=1
	s_or_b64 exec, exec, s[36:37]
	s_and_b64 exec, exec, s[34:35]
	s_cbranch_execz .LBB19_138
; %bb.136:                              ;   in Loop: Header=BB19_16 Depth=1
	v_add_u32_e32 v1, s80, v105
	v_cmp_gt_i32_e32 vcc, s64, v1
	s_and_b64 exec, exec, vcc
	s_cbranch_execz .LBB19_138
; %bb.137:                              ;   in Loop: Header=BB19_16 Depth=1
	v_add_u32_e32 v2, 0, v149
	v_add_u32_e32 v6, 0xe0, v2
	;; [unrolled: 1-line block ×3, first 2 shown]
	ds_read2st64_b32 v[2:3], v6 offset1:15
	ds_read2st64_b32 v[4:5], v8 offset1:15
	ds_read2st64_b32 v[6:7], v6 offset0:30 offset1:45
	ds_read2st64_b32 v[8:9], v8 offset0:30 offset1:45
	v_readlane_b32 s34, v214, 45
	v_mul_lo_u32 v1, v1, s34
	s_waitcnt lgkmcnt(2)
	v_cvt_f32_f16_sdwa v13, v4 dst_sel:DWORD dst_unused:UNUSED_PAD src0_sel:WORD_1
	v_cvt_f32_f16_e32 v12, v4
	v_cvt_f32_f16_sdwa v15, v5 dst_sel:DWORD dst_unused:UNUSED_PAD src0_sel:WORD_1
	v_cvt_f32_f16_e32 v14, v5
	s_waitcnt lgkmcnt(0)
	v_cvt_f32_f16_sdwa v5, v8 dst_sel:DWORD dst_unused:UNUSED_PAD src0_sel:WORD_1
	v_cvt_f32_f16_e32 v4, v8
	v_pk_fma_f32 v[12:13], v[2:3], v[12:13], 0 op_sel_hi:[0,1,0]
	v_mov_b32_e32 v2, v3
	v_pk_fma_f32 v[2:3], v[2:3], v[14:15], v[12:13] op_sel_hi:[0,1,1]
	v_ashrrev_i32_e32 v11, 31, v1
	v_add_co_u32_e32 v10, vcc, v1, v36
	v_pk_fma_f32 v[2:3], v[6:7], v[4:5], v[2:3] op_sel_hi:[0,1,1]
	v_cvt_f32_f16_sdwa v5, v9 dst_sel:DWORD dst_unused:UNUSED_PAD src0_sel:WORD_1
	v_cvt_f32_f16_e32 v4, v9
	v_addc_co_u32_e32 v11, vcc, 0, v11, vcc
	v_lshlrev_b64 v[10:11], 3, v[10:11]
	v_add_co_u32_e32 v10, vcc, s71, v10
	v_mov_b32_e32 v1, s4
	v_mov_b32_e32 v6, v7
	v_addc_co_u32_e32 v11, vcc, v1, v11, vcc
	v_pk_fma_f32 v[2:3], v[6:7], v[4:5], v[2:3] op_sel_hi:[0,1,1]
	global_store_dwordx2 v[10:11], v[2:3], off offset:384
.LBB19_138:                             ;   in Loop: Header=BB19_16 Depth=1
	s_or_b64 exec, exec, s[30:31]
	s_barrier
	s_branch .LBB19_15
.LBB19_139:                             ;   in Loop: Header=BB19_16 Depth=1
	s_lshl_b32 s69, s69, 4
	v_add_u32_e32 v1, s69, v115
	v_cmp_le_i32_e32 vcc, s64, v1
	s_and_saveexec_b64 s[30:31], vcc
	s_xor_b64 s[30:31], exec, s[30:31]
	s_cbranch_execz .LBB19_141
; %bb.140:                              ;   in Loop: Header=BB19_16 Depth=1
	ds_write_b32 v122, v160
                                        ; implicit-def: $vgpr1
.LBB19_141:                             ;   in Loop: Header=BB19_16 Depth=1
	s_andn2_saveexec_b64 s[30:31], s[30:31]
	s_cbranch_execz .LBB19_143
; %bb.142:                              ;   in Loop: Header=BB19_16 Depth=1
	v_mad_u64_u32 v[2:3], s[34:35], v1, s82, v[50:51]
	v_ashrrev_i32_e32 v3, 31, v2
	v_lshlrev_b64 v[2:3], 3, v[2:3]
	v_mov_b32_e32 v1, s26
	v_add_co_u32_e32 v2, vcc, s76, v2
	v_addc_co_u32_e32 v3, vcc, v1, v3, vcc
	global_load_dwordx2 v[2:3], v[2:3], off
	s_waitcnt vmcnt(0)
	v_cvt_f16_f32_e32 v1, v2
	v_cvt_f16_f32_e32 v2, v3
	v_pack_b32_f16 v1, v1, v2
	v_pk_mul_f16 v1, v51, v1
	ds_write_b32 v122, v1
.LBB19_143:                             ;   in Loop: Header=BB19_16 Depth=1
	s_or_b64 exec, exec, s[30:31]
	v_add_u32_e32 v1, s69, v177
	v_cmp_le_i32_e32 vcc, s64, v1
	s_and_saveexec_b64 s[30:31], vcc
	s_xor_b64 s[30:31], exec, s[30:31]
	s_cbranch_execz .LBB19_145
; %bb.144:                              ;   in Loop: Header=BB19_16 Depth=1
	ds_write_b32 v122, v160 offset:1920
                                        ; implicit-def: $vgpr1
.LBB19_145:                             ;   in Loop: Header=BB19_16 Depth=1
	s_andn2_saveexec_b64 s[30:31], s[30:31]
	s_cbranch_execz .LBB19_147
; %bb.146:                              ;   in Loop: Header=BB19_16 Depth=1
	v_mad_u64_u32 v[2:3], s[34:35], v1, s82, v[50:51]
	v_ashrrev_i32_e32 v3, 31, v2
	v_lshlrev_b64 v[2:3], 3, v[2:3]
	v_mov_b32_e32 v1, s26
	v_add_co_u32_e32 v2, vcc, s76, v2
	v_addc_co_u32_e32 v3, vcc, v1, v3, vcc
	global_load_dwordx2 v[2:3], v[2:3], off
	s_waitcnt vmcnt(0)
	v_cvt_f16_f32_e32 v1, v2
	v_cvt_f16_f32_e32 v2, v3
	v_pack_b32_f16 v1, v1, v2
	v_pk_mul_f16 v1, v51, v1
	ds_write_b32 v122, v1 offset:1920
.LBB19_147:                             ;   in Loop: Header=BB19_16 Depth=1
	s_or_b64 exec, exec, s[30:31]
	v_add_u32_e32 v2, s69, v116
	v_cmp_gt_i32_e32 vcc, s64, v2
	v_mov_b32_e32 v1, 0
	s_and_saveexec_b64 s[30:31], vcc
	s_cbranch_execz .LBB19_149
; %bb.148:                              ;   in Loop: Header=BB19_16 Depth=1
	v_mul_lo_u32 v1, v2, s82
	v_ashrrev_i32_e32 v3, 31, v1
	v_add_co_u32_e32 v2, vcc, v1, v20
	v_addc_co_u32_e32 v3, vcc, 0, v3, vcc
	v_lshlrev_b64 v[2:3], 3, v[2:3]
	v_mov_b32_e32 v1, s26
	v_add_co_u32_e32 v2, vcc, s76, v2
	v_addc_co_u32_e32 v3, vcc, v1, v3, vcc
	global_load_dwordx2 v[2:3], v[2:3], off offset:256
	s_waitcnt vmcnt(0)
	v_cvt_f16_f32_e32 v1, v2
	v_cvt_f16_f32_e32 v2, v3
	v_pack_b32_f16 v1, v1, v2
	v_pk_mul_f16 v1, v51, v1
.LBB19_149:                             ;   in Loop: Header=BB19_16 Depth=1
	s_or_b64 exec, exec, s[30:31]
	ds_write_b32 v117, v1 offset:128
	s_mov_b64 s[30:31], exec
	v_readlane_b32 s34, v214, 43
	v_readlane_b32 s35, v214, 44
	s_and_b64 s[34:35], s[30:31], s[34:35]
	s_mov_b64 exec, s[34:35]
	s_cbranch_execz .LBB19_154
; %bb.150:                              ;   in Loop: Header=BB19_16 Depth=1
	v_or_b32_e32 v1, s69, v77
	v_cmp_le_i32_e32 vcc, s64, v1
	s_and_saveexec_b64 s[34:35], vcc
	s_xor_b64 s[34:35], exec, s[34:35]
	s_cbranch_execz .LBB19_152
; %bb.151:                              ;   in Loop: Header=BB19_16 Depth=1
	ds_write_b32 v118, v160 offset:192
                                        ; implicit-def: $vgpr1
.LBB19_152:                             ;   in Loop: Header=BB19_16 Depth=1
	s_andn2_saveexec_b64 s[34:35], s[34:35]
	s_cbranch_execz .LBB19_154
; %bb.153:                              ;   in Loop: Header=BB19_16 Depth=1
	v_mul_lo_u32 v1, v1, s82
	v_ashrrev_i32_e32 v3, 31, v1
	v_add_co_u32_e32 v2, vcc, v1, v36
	v_addc_co_u32_e32 v3, vcc, 0, v3, vcc
	v_lshlrev_b64 v[2:3], 3, v[2:3]
	v_mov_b32_e32 v1, s26
	v_add_co_u32_e32 v2, vcc, s76, v2
	v_addc_co_u32_e32 v3, vcc, v1, v3, vcc
	global_load_dwordx2 v[2:3], v[2:3], off offset:384
	s_waitcnt vmcnt(0)
	v_cvt_f16_f32_e32 v1, v2
	v_cvt_f16_f32_e32 v2, v3
	v_pack_b32_f16 v1, v1, v2
	v_pk_mul_f16 v1, v51, v1
	ds_write_b32 v118, v1 offset:192
.LBB19_154:                             ;   in Loop: Header=BB19_16 Depth=1
	s_or_b64 exec, exec, s[30:31]
	s_waitcnt lgkmcnt(0)
	s_barrier
	ds_read2_b64 v[10:13], v79 offset1:4
	ds_read2_b64 v[6:9], v79 offset0:8 offset1:12
	ds_read2_b64 v[2:5], v79 offset0:16 offset1:20
	ds_read_b64 v[54:55], v79 offset:192
	s_mov_b32 s26, 0
	s_cmp_lt_i32 s68, 2
	v_mov_b32_e32 v194, 0
	s_waitcnt lgkmcnt(0)
	s_barrier
	s_cbranch_scc1 .LBB19_167
; %bb.155:                              ;   in Loop: Header=BB19_16 Depth=1
	v_add_u32_e32 v1, s69, v69
	v_readlane_b32 s30, v214, 10
	v_mul_hi_u32 v14, s30, v1
	v_readlane_b32 s31, v214, 11
	v_add_u32_e32 v14, v1, v14
	v_lshrrev_b32_e32 v14, s31, v14
	v_mul_lo_u32 v14, v14, s64
	v_sub_u32_e32 v1, v1, v14
	v_add_u32_e32 v14, s69, v161
	v_mul_hi_u32 v15, s30, v14
	v_add_u32_e32 v15, v14, v15
	v_lshrrev_b32_e32 v15, s31, v15
	v_mul_lo_u32 v15, v15, s64
	v_sub_u32_e32 v16, v14, v15
	v_add_u32_e32 v14, s69, v163
	v_mul_hi_u32 v15, s30, v14
	;; [unrolled: 6-line block ×3, first 2 shown]
	v_add_u32_e32 v15, v14, v15
	v_lshrrev_b32_e32 v15, s31, v15
	v_mul_lo_u32 v15, v15, s64
	v_sub_u32_e32 v19, v14, v15
	v_and_b32_e32 v14, 64, v159
	v_add_u32_e32 v14, 64, v14
	v_xor_b32_e32 v15, 32, v159
	v_cmp_lt_i32_e32 vcc, v15, v14
	v_cndmask_b32_e32 v15, v159, v15, vcc
	v_lshlrev_b32_e32 v196, 2, v15
	v_xor_b32_e32 v15, 16, v159
	v_cmp_lt_i32_e32 vcc, v15, v14
	v_cndmask_b32_e32 v14, v159, v15, vcc
	v_readlane_b32 s30, v213, 1
	v_lshlrev_b32_e32 v197, 2, v14
	v_pk_mov_b32 v[14:15], s[8:9], s[8:9] op_sel:[0,1]
	v_readlane_b32 s31, v213, 2
	s_mov_b32 s36, s30
	v_readlane_b32 s5, v213, 5
	v_mad_i64_i32 v[58:59], s[30:31], s36, v19, v[14:15]
	v_mad_i64_i32 v[60:61], s[30:31], s36, v17, v[14:15]
	v_mad_i64_i32 v[62:63], s[30:31], s36, v16, v[14:15]
	v_mad_i64_i32 v[64:65], s[30:31], s36, v1, v[14:15]
	v_mov_b32_e32 v14, s33
	v_add_co_u32_e32 v66, vcc, s5, v151
	v_addc_co_u32_e32 v1, vcc, v152, v14, vcc
	v_add_co_u32_e32 v68, vcc, s5, v153
	v_addc_co_u32_e32 v19, vcc, v154, v14, vcc
	;; [unrolled: 2-line block ×4, first 2 shown]
	v_readlane_b32 s5, v213, 6
	v_mov_b32_e32 v14, s29
	v_add_co_u32_e32 v74, vcc, s5, v155
	v_addc_co_u32_e32 v25, vcc, v156, v14, vcc
	v_add_co_u32_e32 v76, vcc, s5, v157
	v_addc_co_u32_e32 v27, vcc, v158, v14, vcc
	v_add_co_u32_e32 v78, vcc, s5, v111
	s_add_i32 s26, s68, -1
	v_addc_co_u32_e32 v37, vcc, v112, v14, vcc
	s_cmp_lg_u64 s[8:9], 0
	v_add_co_u32_e32 v80, vcc, s5, v113
	s_cselect_b64 s[34:35], -1, 0
	v_mov_b32_e32 v182, 0
	v_mov_b32_e32 v56, v52
	;; [unrolled: 1-line block ×3, first 2 shown]
	v_addc_co_u32_e32 v49, vcc, v114, v14, vcc
	v_mov_b32_e32 v198, 0
	v_mov_b32_e32 v199, 0xfeffffff
	s_mov_b32 s29, s26
	v_mov_b32_e32 v193, 0
	v_mov_b32_e32 v192, 0
	;; [unrolled: 1-line block ×13, first 2 shown]
	v_cndmask_b32_e64 v14, 0, 1, s[34:35]
	v_cmp_ne_u32_e64 s[30:31], 1, v14
	s_andn2_b64 vcc, exec, s[34:35]
	s_cbranch_vccnz .LBB19_159
.LBB19_156:                             ;   in Loop: Header=BB19_16 Depth=1
	v_mov_b32_e32 v14, 0
	v_mov_b32_e32 v15, 0
	;; [unrolled: 1-line block ×4, first 2 shown]
	s_and_saveexec_b64 s[36:37], s[6:7]
	s_cbranch_execz .LBB19_158
; %bb.157:                              ;   in Loop: Header=BB19_16 Depth=1
	v_add_co_u32_e32 v14, vcc, v64, v48
	v_addc_co_u32_e32 v15, vcc, 0, v65, vcc
	v_add_co_u32_e32 v16, vcc, v62, v48
	v_addc_co_u32_e32 v17, vcc, 0, v63, vcc
	flat_load_ushort v14, v[14:15]
	s_nop 0
	flat_load_ushort v15, v[16:17]
	v_add_co_u32_e32 v16, vcc, v60, v48
	v_addc_co_u32_e32 v17, vcc, 0, v61, vcc
	v_add_co_u32_e32 v200, vcc, v58, v48
	v_addc_co_u32_e32 v201, vcc, 0, v59, vcc
	flat_load_ushort v16, v[16:17]
	s_nop 0
	flat_load_ushort v17, v[200:201]
.LBB19_158:                             ;   in Loop: Header=BB19_16 Depth=1
	s_or_b64 exec, exec, s[36:37]
	s_waitcnt vmcnt(0) lgkmcnt(0)
	ds_write_b16 v119, v14 offset:15360
	ds_write_b16 v162, v15 offset:15360
	;; [unrolled: 1-line block ×4, first 2 shown]
.LBB19_159:                             ;   Parent Loop BB19_16 Depth=1
                                        ; =>  This Inner Loop Header: Depth=2
	buffer_store_dword v160, off, s[0:3], 0
	buffer_store_dword v160, off, s[0:3], 0 offset:4
	buffer_store_dword v160, off, s[0:3], 0 offset:8
	;; [unrolled: 1-line block ×3, first 2 shown]
	s_and_saveexec_b64 s[36:37], s[46:47]
	s_cbranch_execz .LBB19_161
; %bb.160:                              ;   in Loop: Header=BB19_159 Depth=2
	v_mov_b32_e32 v15, s25
	v_add_co_u32_e32 v14, vcc, s24, v74
	v_addc_co_u32_e32 v15, vcc, v25, v15, vcc
	global_load_dwordx4 v[14:17], v[14:15], off
	s_waitcnt vmcnt(0)
	ds_write_b128 v82, v[14:17]
.LBB19_161:                             ;   in Loop: Header=BB19_159 Depth=2
	s_or_b64 exec, exec, s[36:37]
	v_mov_b32_e32 v53, s25
	v_add_co_u32_e32 v14, vcc, s24, v76
	v_addc_co_u32_e32 v15, vcc, v27, v53, vcc
	v_mov_b32_e32 v202, s75
	v_mov_b32_e32 v203, s74
	v_cndmask_b32_e64 v15, v202, v15, s[10:11]
	v_cndmask_b32_e64 v14, v203, v14, s[10:11]
	flat_load_dwordx4 v[14:17], v[14:15]
	v_add_co_u32_e32 v200, vcc, s24, v78
	v_addc_co_u32_e32 v201, vcc, v37, v53, vcc
	v_cndmask_b32_e64 v200, v203, v200, s[12:13]
	v_cndmask_b32_e64 v201, v202, v201, s[12:13]
	s_waitcnt vmcnt(0) lgkmcnt(0)
	ds_write_b128 v90, v[14:17]
	flat_load_dwordx4 v[14:17], v[200:201]
	v_add_co_u32_e32 v200, vcc, s24, v80
	v_addc_co_u32_e32 v53, vcc, v49, v53, vcc
	v_cndmask_b32_e64 v200, v203, v200, s[14:15]
	v_cndmask_b32_e64 v201, v202, v53, s[14:15]
	s_and_b64 vcc, exec, s[30:31]
	s_waitcnt vmcnt(0) lgkmcnt(0)
	ds_write_b128 v91, v[14:17]
	flat_load_dwordx4 v[14:17], v[200:201]
	s_waitcnt vmcnt(0) lgkmcnt(0)
	ds_write_b128 v173, v[14:17]
	s_waitcnt lgkmcnt(0)
	s_barrier
	ds_read2_b64 v[14:17], v84 offset1:4
	s_waitcnt lgkmcnt(0)
	v_mfma_f32_16x16x16f16 v[200:203], v[14:15], v[10:11], 0
	v_mfma_f32_16x16x16f16 v[14:17], v[16:17], v[12:13], v[200:203]
	s_nop 7
	s_nop 1
	ds_read2_b64 v[200:203], v84 offset0:8 offset1:12
	s_waitcnt lgkmcnt(0)
	v_mfma_f32_16x16x16f16 v[14:17], v[200:201], v[6:7], v[14:17]
	v_mfma_f32_16x16x16f16 v[14:17], v[202:203], v[8:9], v[14:17]
	ds_read2_b64 v[200:203], v84 offset0:16 offset1:20
	s_waitcnt lgkmcnt(0)
	v_mfma_f32_16x16x16f16 v[14:17], v[200:201], v[2:3], v[14:17]
	ds_read_b64 v[200:201], v84 offset:192
	s_waitcnt lgkmcnt(0)
	s_barrier
	v_mfma_f32_16x16x16f16 v[14:17], v[202:203], v[4:5], v[14:17]
	v_mfma_f32_16x16x16f16 v[14:17], v[200:201], v[54:55], v[14:17]
	s_cbranch_vccnz .LBB19_163
; %bb.162:                              ;   in Loop: Header=BB19_159 Depth=2
	v_add_u32_e32 v53, 0x3c00, v86
	ds_read2_b32 v[200:201], v53 offset1:1
	v_mov_b32_e32 v53, v52
	s_waitcnt lgkmcnt(0)
	v_cvt_f32_f16_e32 v202, v200
	v_cvt_f32_f16_e32 v204, v201
	v_cvt_f32_f16_sdwa v205, v201 dst_sel:DWORD dst_unused:UNUSED_PAD src0_sel:WORD_1
	v_cvt_f32_f16_sdwa v203, v200 dst_sel:DWORD dst_unused:UNUSED_PAD src0_sel:WORD_1
	s_nop 1
	v_pk_fma_f32 v[16:17], v[52:53], v[204:205], v[16:17]
	v_pk_fma_f32 v[14:15], v[56:57], v[202:203], v[14:15]
.LBB19_163:                             ;   in Loop: Header=BB19_159 Depth=2
	v_add_f32_e32 v53, 0x40051340, v14
	v_max_f32_e32 v200, v199, v199
	v_max_f32_e32 v53, v200, v53
	v_cndmask_b32_e64 v53, v199, v53, s[16:17]
	v_add_f32_e32 v200, 0x40051340, v15
	v_max_f32_e32 v201, v53, v53
	v_max_f32_e32 v200, v201, v200
	v_cndmask_b32_e64 v53, v53, v200, s[18:19]
	s_nop 1
	v_add_f32_e32 v200, 0x40051340, v16
	v_max_f32_e32 v201, v53, v53
	v_max_f32_e32 v200, v201, v200
	v_cndmask_b32_e64 v53, v53, v200, s[20:21]
	v_add_f32_e32 v200, 0x40051340, v17
	v_max_f32_e32 v201, v53, v53
	v_max_f32_e32 v200, v201, v200
	v_cndmask_b32_e64 v53, v53, v200, s[22:23]
	ds_bpermute_b32 v200, v196, v53
	v_max_f32_e32 v53, v53, v53
	buffer_store_dword v160, off, s[0:3], 0
	buffer_store_dword v160, off, s[0:3], 0 offset:4
	buffer_store_dword v160, off, s[0:3], 0 offset:8
	buffer_store_dword v160, off, s[0:3], 0 offset:12
	s_waitcnt lgkmcnt(0)
	v_max_f32_e32 v200, v200, v200
	v_max_f32_e32 v53, v53, v200
	ds_bpermute_b32 v200, v197, v53
	s_and_saveexec_b64 s[30:31], s[46:47]
	s_cbranch_execz .LBB19_165
; %bb.164:                              ;   in Loop: Header=BB19_159 Depth=2
	v_mov_b32_e32 v201, s96
	v_add_co_u32_e32 v202, vcc, s98, v66
	v_addc_co_u32_e32 v203, vcc, v1, v201, vcc
	global_load_dwordx4 v[202:205], v[202:203], off
	s_waitcnt vmcnt(0)
	ds_write_b128 v82, v[202:205]
.LBB19_165:                             ;   in Loop: Header=BB19_159 Depth=2
	s_or_b64 exec, exec, s[30:31]
	s_waitcnt lgkmcnt(0)
	v_max_f32_e32 v200, v200, v200
	v_max_f32_e32 v53, v53, v53
	;; [unrolled: 1-line block ×3, first 2 shown]
	v_sub_f32_e32 v14, v14, v53
	v_mul_f32_e32 v200, 0x3fb8aa3b, v14
	v_fma_f32 v201, v14, s65, -v200
	v_rndne_f32_e32 v202, v200
	v_fmac_f32_e32 v201, 0x32a5705f, v14
	v_sub_f32_e32 v200, v200, v202
	v_add_f32_e32 v200, v200, v201
	v_exp_f32_e32 v200, v200
	v_cvt_i32_f32_e32 v201, v202
	v_cmp_ngt_f32_e32 vcc, s92, v14
	v_sub_f32_e32 v15, v15, v53
	v_cndmask_b32_e64 v16, v16, v16, s[18:19]
	v_ldexp_f32 v200, v200, v201
	v_cndmask_b32_e32 v200, 0, v200, vcc
	v_cmp_nlt_f32_e32 vcc, s27, v14
	v_cndmask_b32_e32 v14, v180, v200, vcc
	v_mul_f32_e32 v200, 0x3fb8aa3b, v15
	v_fma_f32 v201, v15, s65, -v200
	v_rndne_f32_e32 v202, v200
	v_fmac_f32_e32 v201, 0x32a5705f, v15
	v_sub_f32_e32 v200, v200, v202
	v_add_f32_e32 v200, v200, v201
	v_exp_f32_e32 v200, v200
	v_cvt_i32_f32_e32 v201, v202
	v_cmp_ngt_f32_e32 vcc, s92, v15
	v_cndmask_b32_e64 v14, 0, v14, s[16:17]
	v_sub_f32_e32 v16, v16, v53
	v_ldexp_f32 v200, v200, v201
	v_cndmask_b32_e32 v200, 0, v200, vcc
	v_cmp_nlt_f32_e32 vcc, s27, v15
	v_cndmask_b32_e32 v200, v180, v200, vcc
	v_add_f32_e32 v201, v200, v14
	v_mov_b32_e32 v15, s99
	v_cndmask_b32_e64 v200, v15, v200, s[18:19]
	v_cndmask_b32_e64 v15, v14, v201, s[18:19]
	v_mul_f32_e32 v201, 0x3fb8aa3b, v16
	v_fma_f32 v202, v16, s65, -v201
	v_rndne_f32_e32 v203, v201
	v_fmac_f32_e32 v202, 0x32a5705f, v16
	v_sub_f32_e32 v201, v201, v203
	v_add_f32_e32 v201, v201, v202
	v_exp_f32_e32 v201, v201
	v_cvt_i32_f32_e32 v202, v203
	v_cmp_ngt_f32_e32 vcc, s92, v16
	v_cndmask_b32_e64 v17, v17, v17, s[18:19]
	v_cvt_f16_f32_e32 v14, v14
	v_ldexp_f32 v201, v201, v202
	v_cndmask_b32_e32 v201, 0, v201, vcc
	v_cmp_nlt_f32_e32 vcc, s27, v16
	v_cndmask_b32_e32 v201, v180, v201, vcc
	v_mov_b32_e32 v16, s99
	v_add_f32_e32 v202, v15, v201
	v_cndmask_b32_e64 v201, v16, v201, s[20:21]
	v_sub_f32_e32 v16, v17, v53
	v_mul_f32_e32 v17, 0x3fb8aa3b, v16
	v_cndmask_b32_e64 v15, v15, v202, s[20:21]
	v_fma_f32 v202, v16, s65, -v17
	v_rndne_f32_e32 v203, v17
	v_fmac_f32_e32 v202, 0x32a5705f, v16
	v_sub_f32_e32 v17, v17, v203
	v_add_f32_e32 v17, v17, v202
	v_exp_f32_e32 v17, v17
	v_cvt_i32_f32_e32 v202, v203
	v_cmp_ngt_f32_e32 vcc, s92, v16
	s_add_i32 s29, s29, -1
	s_cmp_lg_u32 s29, 0
	v_ldexp_f32 v17, v17, v202
	v_cndmask_b32_e32 v17, 0, v17, vcc
	v_cmp_nlt_f32_e32 vcc, s27, v16
	v_cndmask_b32_e32 v202, v180, v17, vcc
	v_add_f32_e32 v16, v15, v202
	v_cndmask_b32_e64 v16, v15, v16, s[22:23]
	v_sub_f32_e32 v15, v199, v53
	v_mul_f32_e32 v17, 0x3fb8aa3b, v15
	v_fma_f32 v199, v15, s65, -v17
	v_rndne_f32_e32 v203, v17
	v_fmac_f32_e32 v199, 0x32a5705f, v15
	v_sub_f32_e32 v17, v17, v203
	v_add_f32_e32 v17, v17, v199
	v_exp_f32_e32 v17, v17
	v_cvt_i32_f32_e32 v199, v203
	v_cmp_ngt_f32_e32 vcc, s92, v15
	v_ldexp_f32 v17, v17, v199
	v_cndmask_b32_e32 v17, 0, v17, vcc
	v_cmp_nlt_f32_e32 vcc, s27, v15
	v_cndmask_b32_e32 v17, v180, v17, vcc
	v_cmp_le_f32_e32 vcc, s93, v15
	v_cndmask_b32_e32 v15, 0, v17, vcc
	v_fmac_f32_e32 v16, v198, v15
	v_cvt_f16_f32_e32 v15, v15
	v_pk_mul_f16 v211, v15, v182 op_sel_hi:[0,1]
	v_cvt_f16_f32_e32 v182, v200
	v_pk_mul_f16 v198, v15, v184 op_sel_hi:[0,1]
	v_pk_mul_f16 v199, v15, v183 op_sel_hi:[0,1]
	;; [unrolled: 1-line block ×13, first 2 shown]
	v_mov_b32_e32 v15, s99
	v_cndmask_b32_e64 v15, v15, v202, s[22:23]
	v_pack_b32_f16 v14, v14, v182
	v_cvt_f16_f32_e32 v182, v201
	v_cvt_f16_f32_e32 v15, v15
	v_mov_b32_e32 v186, s96
	v_mov_b32_e32 v187, s75
	;; [unrolled: 1-line block ×3, first 2 shown]
	v_pack_b32_f16 v15, v182, v15
	v_add_co_u32_e32 v182, vcc, s98, v68
	v_addc_co_u32_e32 v183, vcc, v19, v186, vcc
	v_cndmask_b32_e64 v183, v187, v183, s[10:11]
	v_cndmask_b32_e64 v182, v188, v182, s[10:11]
	flat_load_dwordx4 v[182:185], v[182:183]
	v_cvt_f32_f16_sdwa v189, v204 dst_sel:DWORD dst_unused:UNUSED_PAD src0_sel:WORD_1
	v_cvt_f32_f16_e32 v200, v210
	v_cvt_f32_f16_sdwa v201, v210 dst_sel:DWORD dst_unused:UNUSED_PAD src0_sel:WORD_1
	s_waitcnt vmcnt(0) lgkmcnt(0)
	ds_write_b128 v90, v[182:185]
	v_add_co_u32_e32 v182, vcc, s98, v70
	v_addc_co_u32_e32 v183, vcc, v21, v186, vcc
	v_cndmask_b32_e64 v183, v187, v183, s[12:13]
	v_cndmask_b32_e64 v182, v188, v182, s[12:13]
	flat_load_dwordx4 v[182:185], v[182:183]
	s_waitcnt vmcnt(0) lgkmcnt(0)
	ds_write_b128 v91, v[182:185]
	v_add_co_u32_e32 v182, vcc, s98, v72
	v_addc_co_u32_e32 v183, vcc, v23, v186, vcc
	v_cndmask_b32_e64 v183, v187, v183, s[14:15]
	v_cndmask_b32_e64 v182, v188, v182, s[14:15]
	flat_load_dwordx4 v[182:185], v[182:183]
	v_add_co_u32_e32 v58, vcc, s70, v58
	v_addc_co_u32_e32 v59, vcc, 0, v59, vcc
	v_add_co_u32_e32 v60, vcc, s70, v60
	v_addc_co_u32_e32 v61, vcc, 0, v61, vcc
	v_add_co_u32_e32 v62, vcc, s70, v62
	v_addc_co_u32_e32 v63, vcc, 0, v63, vcc
	v_add_co_u32_e32 v64, vcc, s70, v64
	v_addc_co_u32_e32 v65, vcc, 0, v65, vcc
	v_add_co_u32_e32 v66, vcc, s86, v66
	s_waitcnt vmcnt(0) lgkmcnt(0)
	ds_write_b128 v173, v[182:185]
	s_waitcnt lgkmcnt(0)
	s_barrier
	ds_read_u16 v186, v88 offset:240
	ds_read_u16 v187, v88 offset:480
	ds_read_u16 v188, v89
	ds_read_u16 v190, v89 offset:32
	v_cvt_f32_f16_e32 v182, v198
	v_cvt_f32_f16_sdwa v183, v198 dst_sel:DWORD dst_unused:UNUSED_PAD src0_sel:WORD_1
	v_cvt_f32_f16_e32 v184, v199
	s_waitcnt lgkmcnt(1)
	v_perm_b32 v187, v188, v187, s28
	ds_read_u16 v188, v87
	ds_read_u16 v192, v87 offset:32
	v_cvt_f32_f16_sdwa v185, v199 dst_sel:DWORD dst_unused:UNUSED_PAD src0_sel:WORD_1
	s_waitcnt lgkmcnt(1)
	v_perm_b32 v186, v186, v188, s28
	s_nop 1
	v_mfma_f32_16x16x16f16 v[182:185], v[186:187], v[14:15], v[182:185]
	v_cvt_f32_f16_sdwa v187, v203 dst_sel:DWORD dst_unused:UNUSED_PAD src0_sel:WORD_1
	v_cvt_f32_f16_e32 v188, v204
	s_nop 7
	s_nop 0
	v_cvt_f16_f32_e32 v182, v182
	v_cvt_f16_f32_e32 v183, v183
	;; [unrolled: 1-line block ×4, first 2 shown]
	v_pack_b32_f16 v184, v182, v183
	v_pack_b32_f16 v183, v186, v185
	ds_read_u16 v182, v167 offset:240
	ds_read_u16 v185, v167 offset:480
	v_cvt_f32_f16_e32 v186, v203
	s_waitcnt lgkmcnt(0)
	v_perm_b32 v191, v190, v185, s28
	v_perm_b32 v190, v182, v192, s28
	s_nop 1
	v_mfma_f32_16x16x16f16 v[186:189], v[190:191], v[14:15], v[186:189]
	v_cvt_f32_f16_e32 v190, v206
	v_cvt_f32_f16_sdwa v191, v206 dst_sel:DWORD dst_unused:UNUSED_PAD src0_sel:WORD_1
	s_nop 7
	s_nop 0
	v_cvt_f16_f32_e32 v182, v186
	v_cvt_f16_f32_e32 v185, v187
	;; [unrolled: 1-line block ×4, first 2 shown]
	v_cvt_f32_f16_sdwa v189, v205 dst_sel:DWORD dst_unused:UNUSED_PAD src0_sel:WORD_1
	v_pack_b32_f16 v186, v182, v185
	v_pack_b32_f16 v185, v187, v188
	ds_read_u16 v182, v87 offset:64
	ds_read_u16 v187, v168 offset:240
	;; [unrolled: 1-line block ×4, first 2 shown]
	v_cvt_f32_f16_e32 v188, v205
	s_waitcnt lgkmcnt(0)
	v_perm_b32 v193, v193, v192, s28
	v_perm_b32 v192, v187, v182, s28
	s_nop 1
	v_mfma_f32_16x16x16f16 v[188:191], v[192:193], v[14:15], v[188:191]
	v_cvt_f32_f16_e32 v192, v208
	v_cvt_f32_f16_sdwa v193, v208 dst_sel:DWORD dst_unused:UNUSED_PAD src0_sel:WORD_1
	s_nop 7
	s_nop 0
	v_cvt_f16_f32_e32 v182, v188
	v_cvt_f16_f32_e32 v187, v189
	;; [unrolled: 1-line block ×4, first 2 shown]
	v_cvt_f32_f16_sdwa v191, v207 dst_sel:DWORD dst_unused:UNUSED_PAD src0_sel:WORD_1
	v_pack_b32_f16 v188, v182, v187
	v_pack_b32_f16 v187, v189, v190
	ds_read_u16 v182, v87 offset:96
	ds_read_u16 v189, v169 offset:240
	;; [unrolled: 1-line block ×4, first 2 shown]
	v_cvt_f32_f16_e32 v190, v207
	s_waitcnt lgkmcnt(0)
	v_perm_b32 v199, v198, v194, s28
	v_perm_b32 v198, v189, v182, s28
	s_nop 1
	v_mfma_f32_16x16x16f16 v[190:193], v[198:199], v[14:15], v[190:193]
	v_cvt_f32_f16_e32 v198, v209
	v_cvt_f32_f16_sdwa v199, v209 dst_sel:DWORD dst_unused:UNUSED_PAD src0_sel:WORD_1
	s_nop 7
	s_nop 0
	v_cvt_f16_f32_e32 v182, v190
	v_cvt_f16_f32_e32 v189, v191
	;; [unrolled: 1-line block ×4, first 2 shown]
	v_pack_b32_f16 v190, v182, v189
	v_pack_b32_f16 v189, v191, v192
	ds_read_u16 v182, v87 offset:128
	ds_read_u16 v191, v170 offset:240
	;; [unrolled: 1-line block ×4, first 2 shown]
	s_waitcnt lgkmcnt(0)
	v_perm_b32 v193, v193, v192, s28
	v_perm_b32 v192, v191, v182, s28
	s_nop 1
	v_mfma_f32_16x16x16f16 v[198:201], v[192:193], v[14:15], v[198:201]
	s_nop 7
	s_nop 2
	v_cvt_f16_f32_e32 v182, v198
	v_cvt_f16_f32_e32 v191, v199
	;; [unrolled: 1-line block ×4, first 2 shown]
	v_cvt_f32_f16_e32 v198, v211
	v_pack_b32_f16 v192, v182, v191
	v_cvt_f32_f16_sdwa v199, v211 dst_sel:DWORD dst_unused:UNUSED_PAD src0_sel:WORD_1
	v_pack_b32_f16 v191, v193, v194
	ds_read_u16 v182, v87 offset:160
	ds_read_u16 v193, v171 offset:240
	;; [unrolled: 1-line block ×4, first 2 shown]
	v_cvt_f32_f16_e32 v200, v212
	v_cvt_f32_f16_sdwa v201, v212 dst_sel:DWORD dst_unused:UNUSED_PAD src0_sel:WORD_1
	s_waitcnt lgkmcnt(0)
	v_perm_b32 v203, v202, v194, s28
	v_perm_b32 v202, v193, v182, s28
	s_nop 1
	v_mfma_f32_16x16x16f16 v[198:201], v[202:203], v[14:15], v[198:201]
	s_nop 7
	s_nop 2
	v_cvt_f16_f32_e32 v182, v198
	v_cvt_f16_f32_e32 v193, v199
	;; [unrolled: 1-line block ×4, first 2 shown]
	v_cvt_f32_f16_sdwa v199, v195 dst_sel:DWORD dst_unused:UNUSED_PAD src0_sel:WORD_1
	v_pack_b32_f16 v182, v182, v193
	v_cvt_f32_f16_e32 v200, v17
	v_pack_b32_f16 v193, v194, v198
	ds_read_u16 v194, v87 offset:192
	ds_read_u16 v202, v172 offset:240
	;; [unrolled: 1-line block ×4, first 2 shown]
	v_cvt_f32_f16_e32 v198, v195
	v_cvt_f32_f16_sdwa v201, v17 dst_sel:DWORD dst_unused:UNUSED_PAD src0_sel:WORD_1
	s_waitcnt lgkmcnt(2)
	v_perm_b32 v194, v202, v194, s28
	s_waitcnt lgkmcnt(0)
	v_perm_b32 v195, v204, v203, s28
	s_barrier
	s_nop 0
	v_mfma_f32_16x16x16f16 v[198:201], v[194:195], v[14:15], v[198:201]
	s_nop 7
	s_nop 2
	v_cvt_f16_f32_e32 v14, v198
	v_cvt_f16_f32_e32 v15, v199
	;; [unrolled: 1-line block ×4, first 2 shown]
	v_pack_b32_f16 v195, v14, v15
	v_mov_b32_e32 v14, s87
	v_addc_co_u32_e32 v1, vcc, v1, v14, vcc
	v_add_co_u32_e32 v68, vcc, s86, v68
	v_addc_co_u32_e32 v19, vcc, v19, v14, vcc
	v_add_co_u32_e32 v70, vcc, s86, v70
	;; [unrolled: 2-line block ×4, first 2 shown]
	v_mov_b32_e32 v14, s95
	v_addc_co_u32_e32 v25, vcc, v25, v14, vcc
	v_add_co_u32_e32 v76, vcc, s94, v76
	v_addc_co_u32_e32 v27, vcc, v27, v14, vcc
	v_add_co_u32_e32 v78, vcc, s94, v78
	;; [unrolled: 2-line block ×3, first 2 shown]
	v_pack_b32_f16 v194, v17, v194
	v_addc_co_u32_e32 v49, vcc, v49, v14, vcc
	s_cbranch_scc0 .LBB19_168
; %bb.166:                              ;   in Loop: Header=BB19_159 Depth=2
	v_mov_b32_e32 v198, v16
	v_mov_b32_e32 v199, v53
	v_cndmask_b32_e64 v14, 0, 1, s[34:35]
	v_cmp_ne_u32_e64 s[30:31], 1, v14
	s_andn2_b64 vcc, exec, s[34:35]
	s_cbranch_vccz .LBB19_156
	s_branch .LBB19_159
.LBB19_167:                             ;   in Loop: Header=BB19_16 Depth=1
	v_mov_b32_e32 v16, 0
	v_mov_b32_e32 v53, 0xfeffffff
	;; [unrolled: 1-line block ×15, first 2 shown]
.LBB19_168:                             ;   in Loop: Header=BB19_16 Depth=1
	s_lshl_b32 s98, s26, 6
	v_readlane_b32 s24, v214, 4
	s_sub_i32 s26, s24, s98
	s_cmp_lg_u64 s[8:9], 0
	s_cselect_b64 s[38:39], -1, 0
	s_cmp_eq_u64 s[8:9], 0
	v_readlane_b32 s25, v214, 5
	s_cbranch_scc1 .LBB19_174
; %bb.169:                              ;   in Loop: Header=BB19_16 Depth=1
	v_cmp_le_i32_e32 vcc, s26, v18
                                        ; implicit-def: $sgpr24
	s_and_saveexec_b64 s[30:31], vcc
	s_xor_b64 s[30:31], exec, s[30:31]
	s_cbranch_execz .LBB19_171
; %bb.170:                              ;   in Loop: Header=BB19_16 Depth=1
	ds_write_b16 v119, v160 offset:15360
	ds_write_b16 v162, v160 offset:15360
	s_mov_b32 s24, 0
.LBB19_171:                             ;   in Loop: Header=BB19_16 Depth=1
	s_or_saveexec_b64 s[30:31], s[30:31]
	v_mov_b32_e32 v1, s24
	v_mov_b32_e32 v14, s24
	s_xor_b64 exec, exec, s[30:31]
	s_cbranch_execz .LBB19_173
; %bb.172:                              ;   in Loop: Header=BB19_16 Depth=1
	s_lshl_b64 s[24:25], s[98:99], 1
	s_add_u32 s8, s8, s24
	s_addc_u32 s9, s9, s25
	v_lshlrev_b32_e32 v1, 1, v18
	v_add_co_u32_e32 v17, vcc, s8, v1
	v_mov_b32_e32 v1, s9
	v_addc_co_u32_e32 v19, vcc, 0, v1, vcc
	v_add_u32_e32 v1, s69, v69
	v_readlane_b32 s24, v214, 10
	v_mul_hi_u32 v14, s24, v1
	v_readlane_b32 s25, v214, 11
	v_add_u32_e32 v14, v1, v14
	v_lshrrev_b32_e32 v14, s25, v14
	v_mul_lo_u32 v14, v14, s64
	v_sub_u32_e32 v1, v1, v14
	v_readlane_b32 s34, v214, 63
	v_mad_i64_i32 v[14:15], s[8:9], v1, s34, 0
	v_lshlrev_b64 v[14:15], 1, v[14:15]
	v_add_co_u32_e32 v14, vcc, v17, v14
	v_addc_co_u32_e32 v15, vcc, v19, v15, vcc
	flat_load_ushort v1, v[14:15]
	v_add_u32_e32 v14, s69, v161
	v_mul_hi_u32 v15, s24, v14
	v_add_u32_e32 v15, v14, v15
	v_lshrrev_b32_e32 v15, s25, v15
	v_mul_lo_u32 v15, v15, s64
	v_sub_u32_e32 v14, v14, v15
	v_mad_i64_i32 v[14:15], s[8:9], v14, s34, 0
	v_lshlrev_b64 v[14:15], 1, v[14:15]
	v_add_co_u32_e32 v14, vcc, v17, v14
	v_addc_co_u32_e32 v15, vcc, v19, v15, vcc
	flat_load_ushort v14, v[14:15]
	v_readlane_b32 s35, v213, 0
	s_waitcnt vmcnt(0) lgkmcnt(0)
	ds_write_b16 v119, v1 offset:15360
	ds_write_b16 v162, v14 offset:15360
	v_add_u32_e32 v1, s69, v163
	v_mul_hi_u32 v14, s24, v1
	v_add_u32_e32 v14, v1, v14
	v_lshrrev_b32_e32 v14, s25, v14
	v_mul_lo_u32 v14, v14, s64
	v_sub_u32_e32 v1, v1, v14
	v_mad_i64_i32 v[14:15], s[8:9], v1, s34, 0
	v_lshlrev_b64 v[14:15], 1, v[14:15]
	v_add_co_u32_e32 v14, vcc, v17, v14
	v_addc_co_u32_e32 v15, vcc, v19, v15, vcc
	flat_load_ushort v1, v[14:15]
	v_add_u32_e32 v14, s69, v165
	v_mul_hi_u32 v15, s24, v14
	v_add_u32_e32 v15, v14, v15
	v_lshrrev_b32_e32 v15, s25, v15
	v_mul_lo_u32 v15, v15, s64
	v_sub_u32_e32 v14, v14, v15
	v_mad_i64_i32 v[14:15], s[8:9], v14, s34, 0
	v_lshlrev_b64 v[14:15], 1, v[14:15]
	v_add_co_u32_e32 v14, vcc, v17, v14
	v_addc_co_u32_e32 v15, vcc, v19, v15, vcc
	flat_load_ushort v14, v[14:15]
.LBB19_173:                             ;   in Loop: Header=BB19_16 Depth=1
	s_or_b64 exec, exec, s[30:31]
	s_waitcnt vmcnt(0) lgkmcnt(0)
	ds_write_b16 v164, v1 offset:15360
	ds_write_b16 v166, v14 offset:15360
.LBB19_174:                             ;   in Loop: Header=BB19_16 Depth=1
	s_mul_i32 s8, s98, s79
	s_mul_hi_u32 s9, s98, s78
	s_add_i32 s9, s9, s8
	s_mul_i32 s8, s98, s78
	s_lshl_b64 s[8:9], s[8:9], 2
	s_add_u32 s24, s89, s8
	s_addc_u32 s25, s77, s9
	buffer_store_dword v160, off, s[0:3], 0
	buffer_store_dword v160, off, s[0:3], 0 offset:4
	buffer_store_dword v160, off, s[0:3], 0 offset:8
	;; [unrolled: 1-line block ×3, first 2 shown]
	s_and_saveexec_b64 s[8:9], s[46:47]
	s_cbranch_execz .LBB19_176
; %bb.175:                              ;   in Loop: Header=BB19_16 Depth=1
	v_mov_b32_e32 v1, s25
	v_add_co_u32_e32 v14, vcc, s24, v40
	v_addc_co_u32_e32 v1, vcc, v1, v41, vcc
	v_lshlrev_b32_e32 v15, 2, v22
	v_add_co_u32_e32 v14, vcc, v14, v15
	v_addc_co_u32_e32 v1, vcc, 0, v1, vcc
	v_add_co_u32_e32 v14, vcc, 0xc0, v14
	v_addc_co_u32_e32 v1, vcc, 0, v1, vcc
	v_mov_b32_e32 v15, s75
	v_cmp_gt_i32_e32 vcc, s26, v81
	v_cndmask_b32_e32 v15, v15, v1, vcc
	v_mov_b32_e32 v1, s74
	v_cndmask_b32_e32 v14, v1, v14, vcc
	flat_load_dwordx4 v[56:59], v[14:15]
	s_waitcnt vmcnt(0) lgkmcnt(0)
	ds_write_b128 v82, v[56:59]
.LBB19_176:                             ;   in Loop: Header=BB19_16 Depth=1
	s_or_b64 exec, exec, s[8:9]
	v_mov_b32_e32 v1, s25
	v_add_co_u32_e32 v14, vcc, s24, v42
	v_addc_co_u32_e32 v1, vcc, v1, v43, vcc
	v_lshlrev_b32_e32 v27, 2, v24
	v_add_co_u32_e32 v14, vcc, v14, v27
	v_addc_co_u32_e32 v1, vcc, 0, v1, vcc
	v_add_co_u32_e32 v14, vcc, 0x80, v14
	v_addc_co_u32_e32 v1, vcc, 0, v1, vcc
	v_mov_b32_e32 v17, s75
	v_cmp_gt_i32_e64 s[36:37], s26, v83
	v_cndmask_b32_e64 v15, v17, v1, s[36:37]
	v_mov_b32_e32 v1, s74
	v_cndmask_b32_e64 v14, v1, v14, s[36:37]
	flat_load_dwordx4 v[56:59], v[14:15]
	v_mov_b32_e32 v14, s25
	v_add_co_u32_e32 v15, vcc, s24, v44
	v_lshlrev_b32_e32 v25, 2, v26
	v_addc_co_u32_e32 v14, vcc, v14, v45, vcc
	v_add_co_u32_e32 v19, vcc, v15, v25
	v_addc_co_u32_e32 v14, vcc, 0, v14, vcc
	v_cmp_gt_i32_e64 s[34:35], s26, v77
	v_cndmask_b32_e64 v15, v17, v14, s[34:35]
	v_cndmask_b32_e64 v14, v1, v19, s[34:35]
	v_cmp_gt_i32_e64 s[30:31], s26, v108
	s_waitcnt vmcnt(0) lgkmcnt(0)
	ds_write_b128 v90, v[56:59]
	flat_load_dwordx4 v[56:59], v[14:15]
	v_mov_b32_e32 v14, s25
	v_add_co_u32_e32 v15, vcc, s24, v46
	v_addc_co_u32_e32 v14, vcc, v14, v47, vcc
	v_add_co_u32_e32 v19, vcc, v15, v25
	v_addc_co_u32_e32 v14, vcc, 0, v14, vcc
	v_cndmask_b32_e64 v15, v17, v14, s[30:31]
	v_cndmask_b32_e64 v14, v1, v19, s[30:31]
	s_andn2_b64 vcc, exec, s[38:39]
	s_waitcnt vmcnt(0) lgkmcnt(0)
	ds_write_b128 v91, v[56:59]
	flat_load_dwordx4 v[56:59], v[14:15]
	s_waitcnt vmcnt(0) lgkmcnt(0)
	ds_write_b128 v173, v[56:59]
	s_waitcnt lgkmcnt(0)
	s_barrier
	ds_read2_b64 v[56:59], v84 offset1:4
	s_waitcnt lgkmcnt(0)
	v_mfma_f32_16x16x16f16 v[60:63], v[56:57], v[10:11], 0
	v_mfma_f32_16x16x16f16 v[10:13], v[58:59], v[12:13], v[60:63]
	ds_read2_b64 v[56:59], v84 offset0:8 offset1:12
	s_waitcnt lgkmcnt(0)
	v_mfma_f32_16x16x16f16 v[10:13], v[56:57], v[6:7], v[10:13]
	v_mfma_f32_16x16x16f16 v[6:9], v[58:59], v[8:9], v[10:13]
	s_nop 7
	s_nop 1
	ds_read2_b64 v[10:13], v84 offset0:16 offset1:20
	s_waitcnt lgkmcnt(0)
	v_mfma_f32_16x16x16f16 v[6:9], v[10:11], v[2:3], v[6:9]
	v_mfma_f32_16x16x16f16 v[2:5], v[12:13], v[4:5], v[6:9]
	s_nop 7
	s_nop 1
	ds_read_b64 v[6:7], v84 offset:192
	s_waitcnt lgkmcnt(0)
	v_mfma_f32_16x16x16f16 v[2:5], v[6:7], v[54:55], v[2:5]
	s_barrier
	s_cbranch_vccnz .LBB19_178
; %bb.177:                              ;   in Loop: Header=BB19_16 Depth=1
	v_add_u32_e32 v1, 0x3c00, v86
	ds_read2_b32 v[6:7], v1 offset1:1
	s_waitcnt lgkmcnt(0)
	v_cvt_f32_f16_e32 v8, v6
	v_cvt_f32_f16_e32 v10, v7
	v_cvt_f32_f16_sdwa v11, v7 dst_sel:DWORD dst_unused:UNUSED_PAD src0_sel:WORD_1
	v_cvt_f32_f16_sdwa v9, v6 dst_sel:DWORD dst_unused:UNUSED_PAD src0_sel:WORD_1
	s_nop 1
	v_pk_fma_f32 v[4:5], v[52:53], v[10:11], v[4:5] op_sel_hi:[0,1,1]
	v_pk_fma_f32 v[2:3], v[52:53], v[8:9], v[2:3] op_sel_hi:[0,1,1]
.LBB19_178:                             ;   in Loop: Header=BB19_16 Depth=1
	v_add_f32_e32 v1, 0x40051340, v2
	v_max_f32_e32 v6, v53, v53
	v_max_f32_e32 v1, v6, v1
	v_cmp_gt_u32_e64 s[44:45], s26, v85
	v_cndmask_b32_e64 v1, v53, v1, s[44:45]
	v_add_f32_e32 v6, 0x40051340, v3
	v_max_f32_e32 v7, v1, v1
	v_max_f32_e32 v6, v7, v6
	v_cmp_gt_u32_e64 s[42:43], s26, v174
	v_cndmask_b32_e64 v1, v1, v6, s[42:43]
	;; [unrolled: 5-line block ×4, first 2 shown]
	v_and_b32_e32 v6, 64, v159
	v_add_u32_e32 v6, 64, v6
	v_xor_b32_e32 v7, 32, v159
	v_cmp_lt_i32_e32 vcc, v7, v6
	v_cndmask_b32_e32 v7, v159, v7, vcc
	v_lshlrev_b32_e32 v17, 2, v7
	ds_bpermute_b32 v7, v17, v1
	v_max_f32_e32 v1, v1, v1
	s_mul_i32 s8, s98, s67
	s_mul_hi_u32 s9, s98, s66
	s_add_i32 s9, s9, s8
	s_waitcnt lgkmcnt(0)
	v_max_f32_e32 v7, v7, v7
	v_max_f32_e32 v1, v1, v7
	v_xor_b32_e32 v7, 16, v159
	v_cmp_lt_i32_e32 vcc, v7, v6
	v_cndmask_b32_e32 v6, v159, v7, vcc
	v_lshlrev_b32_e32 v19, 2, v6
	ds_bpermute_b32 v6, v19, v1
	s_mul_i32 s8, s98, s66
	s_lshl_b64 s[8:9], s[8:9], 2
	s_add_u32 s25, s91, s8
	s_addc_u32 s24, s88, s9
	buffer_store_dword v160, off, s[0:3], 0
	buffer_store_dword v160, off, s[0:3], 0 offset:4
	buffer_store_dword v160, off, s[0:3], 0 offset:8
	;; [unrolled: 1-line block ×3, first 2 shown]
	s_and_saveexec_b64 s[8:9], s[46:47]
	s_cbranch_execz .LBB19_180
; %bb.179:                              ;   in Loop: Header=BB19_16 Depth=1
	v_mov_b32_e32 v7, s24
	v_add_co_u32_e32 v8, vcc, s25, v30
	v_addc_co_u32_e32 v7, vcc, v7, v31, vcc
	v_lshlrev_b32_e32 v9, 2, v22
	v_add_co_u32_e32 v8, vcc, v8, v9
	v_addc_co_u32_e32 v7, vcc, 0, v7, vcc
	v_add_co_u32_e32 v8, vcc, 0xc0, v8
	v_addc_co_u32_e32 v7, vcc, 0, v7, vcc
	v_mov_b32_e32 v9, s75
	v_cmp_gt_i32_e32 vcc, s26, v81
	v_cndmask_b32_e32 v9, v9, v7, vcc
	v_mov_b32_e32 v7, s74
	v_cndmask_b32_e32 v8, v7, v8, vcc
	flat_load_dwordx4 v[8:11], v[8:9]
	s_waitcnt vmcnt(0) lgkmcnt(0)
	ds_write_b128 v82, v[8:11]
.LBB19_180:                             ;   in Loop: Header=BB19_16 Depth=1
	s_or_b64 exec, exec, s[8:9]
	s_waitcnt lgkmcnt(0)
	v_max_f32_e32 v6, v6, v6
	v_max_f32_e32 v1, v1, v1
	;; [unrolled: 1-line block ×3, first 2 shown]
	v_sub_f32_e32 v1, v2, v6
	v_mul_f32_e32 v2, 0x3fb8aa3b, v1
	v_fma_f32 v7, v1, s65, -v2
	v_rndne_f32_e32 v8, v2
	v_fmac_f32_e32 v7, 0x32a5705f, v1
	v_sub_f32_e32 v2, v2, v8
	v_add_f32_e32 v2, v2, v7
	v_exp_f32_e32 v2, v2
	v_cvt_i32_f32_e32 v7, v8
	v_cmp_ngt_f32_e32 vcc, s92, v1
	v_cndmask_b32_e64 v4, v4, v4, s[42:43]
	v_cndmask_b32_e64 v5, v5, v5, s[42:43]
	v_ldexp_f32 v2, v2, v7
	v_cndmask_b32_e32 v2, 0, v2, vcc
	v_cmp_nlt_f32_e32 vcc, s27, v1
	v_cndmask_b32_e32 v1, v180, v2, vcc
	v_cndmask_b32_e64 v2, 0, v1, s[44:45]
	v_sub_f32_e32 v1, v3, v6
	v_mul_f32_e32 v3, 0x3fb8aa3b, v1
	v_fma_f32 v7, v1, s65, -v3
	v_rndne_f32_e32 v8, v3
	v_fmac_f32_e32 v7, 0x32a5705f, v1
	v_sub_f32_e32 v3, v3, v8
	v_add_f32_e32 v3, v3, v7
	v_exp_f32_e32 v3, v3
	v_cvt_i32_f32_e32 v7, v8
	v_cmp_ngt_f32_e32 vcc, s92, v1
	s_cmp_eq_u64 s[84:85], 0
	s_cselect_b64 s[8:9], -1, 0
	v_ldexp_f32 v3, v3, v7
	v_cndmask_b32_e32 v3, 0, v3, vcc
	v_cmp_nlt_f32_e32 vcc, s27, v1
	v_cndmask_b32_e32 v3, v180, v3, vcc
	v_mov_b32_e32 v1, s99
	v_add_f32_e32 v7, v3, v2
	v_cndmask_b32_e64 v37, v1, v3, s[42:43]
	v_sub_f32_e32 v3, v4, v6
	v_mul_f32_e32 v4, 0x3fb8aa3b, v3
	v_cndmask_b32_e64 v1, v2, v7, s[42:43]
	v_fma_f32 v7, v3, s65, -v4
	v_rndne_f32_e32 v8, v4
	v_fmac_f32_e32 v7, 0x32a5705f, v3
	v_sub_f32_e32 v4, v4, v8
	v_add_f32_e32 v4, v4, v7
	v_exp_f32_e32 v4, v4
	v_cvt_i32_f32_e32 v7, v8
	v_cmp_ngt_f32_e32 vcc, s92, v3
	v_cvt_f16_f32_e32 v2, v2
	v_cvt_f16_f32_e32 v37, v37
	v_ldexp_f32 v4, v4, v7
	v_cndmask_b32_e32 v4, 0, v4, vcc
	v_cmp_nlt_f32_e32 vcc, s27, v3
	v_cndmask_b32_e32 v3, v180, v4, vcc
	v_mov_b32_e32 v4, s99
	v_add_f32_e32 v7, v1, v3
	v_cndmask_b32_e64 v49, v4, v3, s[40:41]
	v_sub_f32_e32 v3, v5, v6
	v_mul_f32_e32 v4, 0x3fb8aa3b, v3
	v_cndmask_b32_e64 v1, v1, v7, s[40:41]
	v_fma_f32 v5, v3, s65, -v4
	v_rndne_f32_e32 v7, v4
	v_fmac_f32_e32 v5, 0x32a5705f, v3
	v_sub_f32_e32 v4, v4, v7
	v_add_f32_e32 v4, v4, v5
	v_exp_f32_e32 v4, v4
	v_cvt_i32_f32_e32 v5, v7
	v_cmp_ngt_f32_e32 vcc, s92, v3
	v_pack_b32_f16 v2, v2, v37
	v_cvt_f16_f32_e32 v37, v49
	v_ldexp_f32 v4, v4, v5
	v_cndmask_b32_e32 v4, 0, v4, vcc
	v_cmp_nlt_f32_e32 vcc, s27, v3
	v_cndmask_b32_e32 v52, v180, v4, vcc
	v_add_f32_e32 v3, v1, v52
	v_cndmask_b32_e64 v7, v1, v3, s[38:39]
	v_sub_f32_e32 v1, v53, v6
	v_mul_f32_e32 v3, 0x3fb8aa3b, v1
	v_fma_f32 v4, v1, s65, -v3
	v_rndne_f32_e32 v5, v3
	v_fmac_f32_e32 v4, 0x32a5705f, v1
	v_sub_f32_e32 v3, v3, v5
	v_add_f32_e32 v3, v3, v4
	v_exp_f32_e32 v3, v3
	v_cvt_i32_f32_e32 v4, v5
	v_cmp_ngt_f32_e32 vcc, s92, v1
	v_mov_b32_e32 v49, s24
	v_ldexp_f32 v3, v3, v4
	v_cndmask_b32_e32 v3, 0, v3, vcc
	v_cmp_nlt_f32_e32 vcc, s27, v1
	v_cndmask_b32_e32 v3, v180, v3, vcc
	v_cmp_le_f32_e32 vcc, s93, v1
	v_cndmask_b32_e32 v1, 0, v3, vcc
	v_cvt_f16_f32_e32 v3, v1
	v_fmac_f32_e32 v7, v16, v1
	v_pk_mul_f16 v4, v3, v184 op_sel_hi:[0,1]
	v_pk_mul_f16 v1, v3, v183 op_sel_hi:[0,1]
	;; [unrolled: 1-line block ×14, first 2 shown]
	v_mov_b32_e32 v3, s99
	v_cndmask_b32_e64 v3, v3, v52, s[38:39]
	v_cvt_f16_f32_e32 v3, v3
	v_pack_b32_f16 v3, v37, v3
	v_add_co_u32_e32 v37, vcc, s25, v32
	v_addc_co_u32_e32 v49, vcc, v49, v33, vcc
	v_add_co_u32_e32 v27, vcc, v37, v27
	v_addc_co_u32_e32 v37, vcc, 0, v49, vcc
	;; [unrolled: 2-line block ×3, first 2 shown]
	v_mov_b32_e32 v49, s75
	v_cndmask_b32_e64 v53, v49, v37, s[36:37]
	v_mov_b32_e32 v37, s74
	v_cndmask_b32_e64 v52, v37, v27, s[36:37]
	flat_load_dwordx4 v[52:55], v[52:53]
	v_add_co_u32_e32 v27, vcc, s25, v34
	s_waitcnt vmcnt(0) lgkmcnt(0)
	ds_write_b128 v90, v[52:55]
	v_mov_b32_e32 v52, s24
	v_addc_co_u32_e32 v52, vcc, v52, v35, vcc
	v_add_co_u32_e32 v27, vcc, v27, v25
	v_addc_co_u32_e32 v52, vcc, 0, v52, vcc
	v_cndmask_b32_e64 v53, v49, v52, s[34:35]
	v_cndmask_b32_e64 v52, v37, v27, s[34:35]
	flat_load_dwordx4 v[52:55], v[52:53]
	v_add_co_u32_e32 v27, vcc, s25, v38
	s_waitcnt vmcnt(0) lgkmcnt(0)
	ds_write_b128 v91, v[52:55]
	v_mov_b32_e32 v52, s24
	v_addc_co_u32_e32 v52, vcc, v52, v39, vcc
	v_add_co_u32_e32 v25, vcc, v27, v25
	v_addc_co_u32_e32 v27, vcc, 0, v52, vcc
	v_cndmask_b32_e64 v53, v49, v27, s[30:31]
	v_cndmask_b32_e64 v52, v37, v25, s[30:31]
	flat_load_dwordx4 v[52:55], v[52:53]
	v_readlane_b32 s24, v214, 57
	v_readlane_b32 s25, v214, 58
	s_xor_b64 s[24:25], s[24:25], -1
	s_or_b64 s[8:9], s[24:25], s[8:9]
	s_waitcnt vmcnt(0) lgkmcnt(0)
	ds_write_b128 v173, v[52:55]
	s_waitcnt lgkmcnt(0)
	s_barrier
	ds_read_u16 v25, v88 offset:240
	ds_read_u16 v27, v88 offset:480
	v_cvt_f32_f16_e32 v54, v1
	v_cvt_f32_f16_sdwa v55, v1 dst_sel:DWORD dst_unused:UNUSED_PAD src0_sel:WORD_1
	ds_read_u16 v1, v89
	ds_read_u16 v37, v89 offset:32
	v_cvt_f32_f16_e32 v52, v4
	v_cvt_f32_f16_sdwa v53, v4 dst_sel:DWORD dst_unused:UNUSED_PAD src0_sel:WORD_1
	s_waitcnt lgkmcnt(1)
	v_perm_b32 v57, v1, v27, s28
	ds_read_u16 v1, v87
	ds_read_u16 v27, v87 offset:32
	s_waitcnt lgkmcnt(1)
	v_perm_b32 v56, v25, v1, s28
	s_nop 1
	v_mfma_f32_16x16x16f16 v[52:55], v[56:57], v[2:3], v[52:55]
	s_nop 7
	s_nop 2
	v_cvt_f16_f32_e32 v1, v52
	v_cvt_f16_f32_e32 v4, v53
	;; [unrolled: 1-line block ×4, first 2 shown]
	v_cvt_f32_f16_e32 v52, v8
	v_pack_b32_f16 v4, v1, v4
	v_cvt_f32_f16_sdwa v53, v8 dst_sel:DWORD dst_unused:UNUSED_PAD src0_sel:WORD_1
	v_pack_b32_f16 v1, v25, v49
	ds_read_u16 v25, v167 offset:240
	ds_read_u16 v49, v167 offset:480
	v_cvt_f32_f16_e32 v54, v5
	v_cvt_f32_f16_sdwa v55, v5 dst_sel:DWORD dst_unused:UNUSED_PAD src0_sel:WORD_1
	s_waitcnt lgkmcnt(1)
	v_perm_b32 v56, v25, v27, s28
	s_waitcnt lgkmcnt(0)
	v_perm_b32 v57, v37, v49, s28
	s_nop 1
	v_mfma_f32_16x16x16f16 v[52:55], v[56:57], v[2:3], v[52:55]
	s_nop 7
	s_nop 2
	v_cvt_f16_f32_e32 v5, v52
	v_cvt_f16_f32_e32 v8, v53
	v_cvt_f16_f32_e32 v25, v54
	v_cvt_f16_f32_e32 v27, v55
	v_cvt_f32_f16_e32 v52, v10
	v_pack_b32_f16 v8, v5, v8
	v_cvt_f32_f16_sdwa v53, v10 dst_sel:DWORD dst_unused:UNUSED_PAD src0_sel:WORD_1
	v_pack_b32_f16 v5, v25, v27
	ds_read_u16 v25, v87 offset:64
	ds_read_u16 v27, v168 offset:240
	ds_read_u16 v37, v168 offset:480
	ds_read_u16 v49, v89 offset:64
	v_cvt_f32_f16_e32 v54, v9
	v_cvt_f32_f16_sdwa v55, v9 dst_sel:DWORD dst_unused:UNUSED_PAD src0_sel:WORD_1
	s_waitcnt lgkmcnt(2)
	v_perm_b32 v56, v27, v25, s28
	s_waitcnt lgkmcnt(0)
	v_perm_b32 v57, v49, v37, s28
	s_nop 1
	v_mfma_f32_16x16x16f16 v[52:55], v[56:57], v[2:3], v[52:55]
	s_nop 7
	s_nop 2
	v_cvt_f16_f32_e32 v9, v52
	v_cvt_f16_f32_e32 v10, v53
	v_cvt_f16_f32_e32 v25, v54
	v_cvt_f16_f32_e32 v27, v55
	v_cvt_f32_f16_e32 v52, v12
	v_pack_b32_f16 v10, v9, v10
	v_cvt_f32_f16_sdwa v53, v12 dst_sel:DWORD dst_unused:UNUSED_PAD src0_sel:WORD_1
	v_pack_b32_f16 v9, v25, v27
	ds_read_u16 v25, v87 offset:96
	ds_read_u16 v27, v169 offset:240
	;; [unrolled: 22-line block ×5, first 2 shown]
	ds_read_u16 v37, v172 offset:480
	ds_read_u16 v49, v89 offset:192
	v_cvt_f32_f16_e32 v54, v21
	v_cvt_f32_f16_sdwa v55, v21 dst_sel:DWORD dst_unused:UNUSED_PAD src0_sel:WORD_1
	s_waitcnt lgkmcnt(2)
	v_perm_b32 v56, v27, v25, s28
	s_waitcnt lgkmcnt(0)
	v_perm_b32 v57, v49, v37, s28
	s_barrier
	s_nop 0
	v_mfma_f32_16x16x16f16 v[52:55], v[56:57], v[2:3], v[52:55]
	s_nop 7
	s_nop 2
	v_cvt_f16_f32_e32 v2, v52
	v_cvt_f16_f32_e32 v3, v53
	;; [unrolled: 1-line block ×4, first 2 shown]
	v_pack_b32_f16 v2, v2, v3
	v_pack_b32_f16 v3, v21, v23
	ds_bpermute_b32 v21, v17, v7
	s_waitcnt lgkmcnt(0)
	v_add_f32_e32 v7, v7, v21
	ds_bpermute_b32 v21, v19, v7
	s_waitcnt lgkmcnt(0)
	v_add_f32_e32 v7, v7, v21
	s_and_saveexec_b64 s[24:25], s[8:9]
	s_xor_b64 s[8:9], exec, s[24:25]
	s_andn2_saveexec_b64 s[8:9], s[8:9]
	s_cbranch_execz .LBB19_182
; %bb.181:                              ;   in Loop: Header=BB19_16 Depth=1
	global_load_dword v21, v160, s[84:85]
	v_max_f32_e32 v25, v6, v6
	s_waitcnt vmcnt(0)
	v_max_f32_e32 v23, v21, v21
	v_max_f32_e32 v52, v25, v23
	v_sub_f32_e32 v6, v6, v52
	v_mul_f32_e32 v23, 0x3fb8aa3b, v6
	v_fma_f32 v25, v6, s65, -v23
	v_rndne_f32_e32 v27, v23
	v_fmac_f32_e32 v25, 0x32a5705f, v6
	v_sub_f32_e32 v23, v23, v27
	v_add_f32_e32 v23, v23, v25
	v_exp_f32_e32 v23, v23
	v_cvt_i32_f32_e32 v25, v27
	v_cmp_ngt_f32_e32 vcc, s92, v6
	v_sub_f32_e32 v21, v21, v52
	v_ldexp_f32 v23, v23, v25
	v_cndmask_b32_e32 v23, 0, v23, vcc
	v_cmp_nlt_f32_e32 vcc, s27, v6
	v_cndmask_b32_e32 v23, v180, v23, vcc
	v_cmp_le_f32_e32 vcc, s93, v6
	v_cndmask_b32_e32 v6, 0, v23, vcc
	v_cvt_f16_f32_e32 v23, v6
	v_cmp_ngt_f32_e32 vcc, s92, v21
	v_pk_mul_f16 v4, v23, v4 op_sel_hi:[0,1]
	v_pk_mul_f16 v1, v23, v1 op_sel_hi:[0,1]
	;; [unrolled: 1-line block ×14, first 2 shown]
	v_mul_f32_e32 v23, 0x3fb8aa3b, v21
	v_fma_f32 v25, v21, s65, -v23
	v_rndne_f32_e32 v27, v23
	v_fmac_f32_e32 v25, 0x32a5705f, v21
	v_sub_f32_e32 v23, v23, v27
	v_add_f32_e32 v23, v23, v25
	v_exp_f32_e32 v23, v23
	v_cvt_i32_f32_e32 v25, v27
	v_ldexp_f32 v23, v23, v25
	v_cndmask_b32_e32 v23, 0, v23, vcc
	v_cmp_nlt_f32_e32 vcc, s27, v21
	v_cndmask_b32_e32 v53, v180, v23, vcc
	v_fmac_f32_e32 v53, v7, v6
	v_pk_mov_b32 v[6:7], v[52:53], v[52:53] op_sel:[0,1]
.LBB19_182:                             ;   in Loop: Header=BB19_16 Depth=1
	s_or_b64 exec, exec, s[8:9]
	s_mov_b64 s[8:9], exec
	v_readlane_b32 s24, v214, 61
	v_readlane_b32 s25, v214, 62
	s_and_b64 s[24:25], s[8:9], s[24:25]
	s_mov_b64 exec, s[24:25]
	s_cbranch_execz .LBB19_184
; %bb.183:                              ;   in Loop: Header=BB19_16 Depth=1
	v_add_u32_e32 v21, 0, v120
	ds_write2_b32 v21, v6, v7 offset0:56 offset1:57
.LBB19_184:                             ;   in Loop: Header=BB19_16 Depth=1
	s_or_b64 exec, exec, s[8:9]
	s_waitcnt lgkmcnt(0)
	s_barrier
	s_mov_b64 s[8:9], exec
	v_readlane_b32 s24, v214, 59
	v_readlane_b32 s25, v214, 60
	s_and_b64 s[24:25], s[8:9], s[24:25]
	s_xor_b64 s[8:9], s[24:25], s[8:9]
	s_mov_b64 exec, s[24:25]
	s_cbranch_execz .LBB19_186
; %bb.185:                              ;   in Loop: Header=BB19_16 Depth=1
	s_barrier
	s_waitcnt lgkmcnt(0)
                                        ; implicit-def: $vgpr17
                                        ; implicit-def: $vgpr19
.LBB19_186:                             ;   in Loop: Header=BB19_16 Depth=1
	s_andn2_saveexec_b64 s[8:9], s[8:9]
	s_cbranch_execz .LBB19_188
; %bb.187:                              ;   in Loop: Header=BB19_16 Depth=1
	v_add_u32_e32 v21, 0, v120
	ds_read_b64 v[6:7], v21 offset:224
	s_waitcnt lgkmcnt(0)
	s_barrier
	ds_bpermute_b32 v23, v17, v6
	v_max_f32_e32 v25, v6, v6
	s_waitcnt lgkmcnt(0)
	v_max_f32_e32 v23, v23, v23
	v_max_f32_e32 v23, v25, v23
	ds_bpermute_b32 v25, v19, v23
	s_waitcnt lgkmcnt(0)
	v_max_f32_e32 v25, v25, v25
	v_max_f32_e32 v23, v23, v25
	v_sub_f32_e32 v6, v6, v23
	v_mul_f32_e32 v23, 0x3fb8aa3b, v6
	v_fma_f32 v25, v6, s65, -v23
	v_rndne_f32_e32 v27, v23
	v_fmac_f32_e32 v25, 0x32a5705f, v6
	v_sub_f32_e32 v23, v23, v27
	v_add_f32_e32 v23, v23, v25
	v_cvt_i32_f32_e32 v27, v27
	v_exp_f32_e32 v23, v23
	v_cmp_ngt_f32_e32 vcc, s92, v6
	v_ldexp_f32 v23, v23, v27
	v_cndmask_b32_e32 v23, 0, v23, vcc
	v_cmp_nlt_f32_e32 vcc, s27, v6
	v_cndmask_b32_e32 v6, v180, v23, vcc
	v_mul_f32_e32 v23, v7, v6
	ds_bpermute_b32 v17, v17, v23
	s_waitcnt lgkmcnt(0)
	v_fmac_f32_e32 v17, v7, v6
	ds_bpermute_b32 v7, v19, v17
	s_waitcnt lgkmcnt(0)
	v_add_f32_e32 v7, v17, v7
	ds_write_b64 v21, v[6:7] offset:224
.LBB19_188:                             ;   in Loop: Header=BB19_16 Depth=1
	s_or_b64 exec, exec, s[8:9]
	ds_write2_b32 v121, v4, v1 offset1:1
	ds_write2_b32 v121, v8, v5 offset0:8 offset1:9
	ds_write2_b32 v121, v10, v9 offset0:16 offset1:17
	;; [unrolled: 1-line block ×6, first 2 shown]
	s_waitcnt lgkmcnt(0)
	s_barrier
	s_mov_b64 s[8:9], exec
	v_readlane_b32 s24, v214, 57
	v_readlane_b32 s25, v214, 58
	s_and_b64 s[24:25], s[8:9], s[24:25]
	s_mov_b64 exec, s[24:25]
	s_cbranch_execz .LBB19_14
; %bb.189:                              ;   in Loop: Header=BB19_16 Depth=1
	v_add_u32_e32 v1, s69, v92
	v_cmp_gt_i32_e32 vcc, s64, v1
	v_mov_b32_e32 v2, 0x47
	s_and_saveexec_b64 s[30:31], vcc
	s_cbranch_execz .LBB19_191
; %bb.190:                              ;   in Loop: Header=BB19_16 Depth=1
	v_add_u32_e32 v10, 0, v123
	ds_read2_b32 v[2:3], v10 offset0:56 offset1:57
	ds_read2st64_b32 v[4:5], v124 offset1:15
	v_add_u32_e32 v6, 0xe0, v10
	ds_read2st64_b32 v[6:7], v6 offset0:15 offset1:30
	ds_read2st64_b32 v[8:9], v124 offset0:30 offset1:45
	ds_read_b32 v10, v10 offset:11744
	v_readlane_b32 s24, v214, 45
	v_mad_u64_u32 v[12:13], s[24:25], v1, s24, v[50:51]
	s_waitcnt lgkmcnt(3)
	v_cvt_f32_f16_sdwa v15, v4 dst_sel:DWORD dst_unused:UNUSED_PAD src0_sel:WORD_1
	v_cvt_f32_f16_e32 v14, v4
	v_cvt_f32_f16_sdwa v17, v5 dst_sel:DWORD dst_unused:UNUSED_PAD src0_sel:WORD_1
	v_cvt_f32_f16_e32 v16, v5
	v_ashrrev_i32_e32 v13, 31, v12
	v_pk_fma_f32 v[14:15], v[2:3], v[14:15], 0 op_sel_hi:[0,1,0]
	s_waitcnt lgkmcnt(2)
	v_mov_b32_e32 v2, v7
	v_pk_fma_f32 v[4:5], v[6:7], v[16:17], v[14:15] op_sel_hi:[0,1,1]
	s_waitcnt lgkmcnt(1)
	v_cvt_f32_f16_sdwa v15, v8 dst_sel:DWORD dst_unused:UNUSED_PAD src0_sel:WORD_1
	v_cvt_f32_f16_e32 v14, v8
	v_cvt_f32_f16_sdwa v7, v9 dst_sel:DWORD dst_unused:UNUSED_PAD src0_sel:WORD_1
	v_cvt_f32_f16_e32 v6, v9
	v_lshlrev_b64 v[12:13], 3, v[12:13]
	v_pk_fma_f32 v[4:5], v[2:3], v[14:15], v[4:5] op_sel_hi:[0,1,1]
	v_add_co_u32_e32 v12, vcc, s71, v12
	v_mov_b32_e32 v1, s4
	s_waitcnt lgkmcnt(0)
	v_pk_fma_f32 v[4:5], v[10:11], v[6:7], v[4:5] op_sel_hi:[0,1,1]
	v_addc_co_u32_e32 v13, vcc, v1, v13, vcc
	v_div_scale_f32 v1, s[24:25], v3, v3, v5
	v_rcp_f32_e32 v2, v1
	v_fma_f32 v6, -v1, v2, 1.0
	v_fmac_f32_e32 v2, v6, v2
	v_div_scale_f32 v6, vcc, v5, v3, v5
	v_mul_f32_e32 v7, v6, v2
	v_fma_f32 v8, -v1, v7, v6
	v_fmac_f32_e32 v7, v8, v2
	v_fma_f32 v1, -v1, v7, v6
	v_div_fmas_f32 v1, v1, v2, v7
	v_div_fixup_f32 v5, v1, v3, v5
	v_div_scale_f32 v1, s[24:25], v3, v3, v4
	v_rcp_f32_e32 v2, v1
	v_fma_f32 v6, -v1, v2, 1.0
	v_fmac_f32_e32 v2, v6, v2
	v_div_scale_f32 v6, vcc, v4, v3, v4
	v_mul_f32_e32 v7, v6, v2
	v_fma_f32 v8, -v1, v7, v6
	v_fmac_f32_e32 v7, v8, v2
	v_fma_f32 v1, -v1, v7, v6
	v_div_fmas_f32 v1, v1, v2, v7
	v_div_fixup_f32 v4, v1, v3, v4
	v_mov_b32_e32 v2, 0
	global_store_dwordx2 v[12:13], v[4:5], off
.LBB19_191:                             ;   in Loop: Header=BB19_16 Depth=1
	s_or_b64 exec, exec, s[30:31]
	s_movk_i32 s24, 0x47
	v_cmp_gt_i32_e32 vcc, s24, v2
	s_mov_b64 s[34:35], -1
	s_and_saveexec_b64 s[30:31], vcc
; %bb.192:                              ;   in Loop: Header=BB19_16 Depth=1
	v_cmp_eq_u32_e32 vcc, 0, v2
	s_orn2_b64 s[34:35], vcc, exec
; %bb.193:                              ;   in Loop: Header=BB19_16 Depth=1
	s_or_b64 exec, exec, s[30:31]
	s_and_saveexec_b64 s[30:31], s[34:35]
	s_cbranch_execz .LBB19_226
; %bb.194:                              ;   in Loop: Header=BB19_16 Depth=1
	v_add_u32_e32 v1, s69, v95
	v_cmp_gt_i32_e32 vcc, s64, v1
	v_mov_b32_e32 v2, 0x47
	s_and_saveexec_b64 s[34:35], vcc
	s_cbranch_execz .LBB19_196
; %bb.195:                              ;   in Loop: Header=BB19_16 Depth=1
	v_add_u32_e32 v10, 0, v125
	ds_read2_b32 v[2:3], v10 offset0:56 offset1:57
	ds_read2st64_b32 v[4:5], v126 offset1:15
	v_add_u32_e32 v6, 0xe0, v10
	ds_read2st64_b32 v[6:7], v6 offset0:15 offset1:30
	ds_read2st64_b32 v[8:9], v126 offset0:30 offset1:45
	ds_read_b32 v10, v10 offset:11744
	v_readlane_b32 s24, v214, 45
	v_mad_u64_u32 v[12:13], s[24:25], v1, s24, v[50:51]
	s_waitcnt lgkmcnt(3)
	v_cvt_f32_f16_sdwa v15, v4 dst_sel:DWORD dst_unused:UNUSED_PAD src0_sel:WORD_1
	v_cvt_f32_f16_e32 v14, v4
	v_cvt_f32_f16_sdwa v17, v5 dst_sel:DWORD dst_unused:UNUSED_PAD src0_sel:WORD_1
	v_cvt_f32_f16_e32 v16, v5
	v_ashrrev_i32_e32 v13, 31, v12
	v_pk_fma_f32 v[14:15], v[2:3], v[14:15], 0 op_sel_hi:[0,1,0]
	s_waitcnt lgkmcnt(2)
	v_mov_b32_e32 v2, v7
	v_pk_fma_f32 v[4:5], v[6:7], v[16:17], v[14:15] op_sel_hi:[0,1,1]
	s_waitcnt lgkmcnt(1)
	v_cvt_f32_f16_sdwa v15, v8 dst_sel:DWORD dst_unused:UNUSED_PAD src0_sel:WORD_1
	v_cvt_f32_f16_e32 v14, v8
	v_cvt_f32_f16_sdwa v7, v9 dst_sel:DWORD dst_unused:UNUSED_PAD src0_sel:WORD_1
	v_cvt_f32_f16_e32 v6, v9
	v_lshlrev_b64 v[12:13], 3, v[12:13]
	v_pk_fma_f32 v[4:5], v[2:3], v[14:15], v[4:5] op_sel_hi:[0,1,1]
	v_add_co_u32_e32 v12, vcc, s71, v12
	v_mov_b32_e32 v1, s4
	s_waitcnt lgkmcnt(0)
	v_pk_fma_f32 v[4:5], v[10:11], v[6:7], v[4:5] op_sel_hi:[0,1,1]
	v_addc_co_u32_e32 v13, vcc, v1, v13, vcc
	v_div_scale_f32 v1, s[24:25], v3, v3, v5
	v_rcp_f32_e32 v2, v1
	v_fma_f32 v6, -v1, v2, 1.0
	v_fmac_f32_e32 v2, v6, v2
	v_div_scale_f32 v6, vcc, v5, v3, v5
	v_mul_f32_e32 v7, v6, v2
	v_fma_f32 v8, -v1, v7, v6
	v_fmac_f32_e32 v7, v8, v2
	v_fma_f32 v1, -v1, v7, v6
	v_div_fmas_f32 v1, v1, v2, v7
	v_div_fixup_f32 v5, v1, v3, v5
	v_div_scale_f32 v1, s[24:25], v3, v3, v4
	v_rcp_f32_e32 v2, v1
	v_fma_f32 v6, -v1, v2, 1.0
	v_fmac_f32_e32 v2, v6, v2
	v_div_scale_f32 v6, vcc, v4, v3, v4
	v_mul_f32_e32 v7, v6, v2
	v_fma_f32 v8, -v1, v7, v6
	v_fmac_f32_e32 v7, v8, v2
	v_fma_f32 v1, -v1, v7, v6
	v_div_fmas_f32 v1, v1, v2, v7
	v_div_fixup_f32 v4, v1, v3, v4
	v_mov_b32_e32 v2, 0
	global_store_dwordx2 v[12:13], v[4:5], off
.LBB19_196:                             ;   in Loop: Header=BB19_16 Depth=1
	s_or_b64 exec, exec, s[34:35]
	s_movk_i32 s24, 0x47
	v_cmp_gt_i32_e32 vcc, s24, v2
	s_mov_b64 s[34:35], -1
	s_and_saveexec_b64 s[36:37], vcc
; %bb.197:                              ;   in Loop: Header=BB19_16 Depth=1
	v_cmp_eq_u32_e32 vcc, 0, v2
	s_orn2_b64 s[34:35], vcc, exec
; %bb.198:                              ;   in Loop: Header=BB19_16 Depth=1
	s_or_b64 exec, exec, s[36:37]
	s_and_b64 exec, exec, s[34:35]
	s_cbranch_execz .LBB19_226
; %bb.199:                              ;   in Loop: Header=BB19_16 Depth=1
	v_add_u32_e32 v1, s69, v96
	v_cmp_gt_i32_e32 vcc, s64, v1
	v_mov_b32_e32 v2, 0x47
	s_and_saveexec_b64 s[34:35], vcc
	s_cbranch_execz .LBB19_201
; %bb.200:                              ;   in Loop: Header=BB19_16 Depth=1
	v_add_u32_e32 v10, 0, v127
	ds_read2_b32 v[2:3], v10 offset0:56 offset1:57
	ds_read2st64_b32 v[4:5], v128 offset1:15
	v_add_u32_e32 v6, 0xe0, v10
	ds_read2st64_b32 v[6:7], v6 offset0:15 offset1:30
	ds_read2st64_b32 v[8:9], v128 offset0:30 offset1:45
	ds_read_b32 v10, v10 offset:11744
	v_readlane_b32 s24, v214, 45
	v_mad_u64_u32 v[12:13], s[24:25], v1, s24, v[50:51]
	s_waitcnt lgkmcnt(3)
	v_cvt_f32_f16_sdwa v15, v4 dst_sel:DWORD dst_unused:UNUSED_PAD src0_sel:WORD_1
	v_cvt_f32_f16_e32 v14, v4
	v_cvt_f32_f16_sdwa v17, v5 dst_sel:DWORD dst_unused:UNUSED_PAD src0_sel:WORD_1
	v_cvt_f32_f16_e32 v16, v5
	v_ashrrev_i32_e32 v13, 31, v12
	v_pk_fma_f32 v[14:15], v[2:3], v[14:15], 0 op_sel_hi:[0,1,0]
	s_waitcnt lgkmcnt(2)
	v_mov_b32_e32 v2, v7
	v_pk_fma_f32 v[4:5], v[6:7], v[16:17], v[14:15] op_sel_hi:[0,1,1]
	s_waitcnt lgkmcnt(1)
	v_cvt_f32_f16_sdwa v15, v8 dst_sel:DWORD dst_unused:UNUSED_PAD src0_sel:WORD_1
	v_cvt_f32_f16_e32 v14, v8
	v_cvt_f32_f16_sdwa v7, v9 dst_sel:DWORD dst_unused:UNUSED_PAD src0_sel:WORD_1
	v_cvt_f32_f16_e32 v6, v9
	v_lshlrev_b64 v[12:13], 3, v[12:13]
	v_pk_fma_f32 v[4:5], v[2:3], v[14:15], v[4:5] op_sel_hi:[0,1,1]
	v_add_co_u32_e32 v12, vcc, s71, v12
	v_mov_b32_e32 v1, s4
	s_waitcnt lgkmcnt(0)
	v_pk_fma_f32 v[4:5], v[10:11], v[6:7], v[4:5] op_sel_hi:[0,1,1]
	v_addc_co_u32_e32 v13, vcc, v1, v13, vcc
	v_div_scale_f32 v1, s[24:25], v3, v3, v5
	v_rcp_f32_e32 v2, v1
	v_fma_f32 v6, -v1, v2, 1.0
	v_fmac_f32_e32 v2, v6, v2
	v_div_scale_f32 v6, vcc, v5, v3, v5
	v_mul_f32_e32 v7, v6, v2
	v_fma_f32 v8, -v1, v7, v6
	v_fmac_f32_e32 v7, v8, v2
	v_fma_f32 v1, -v1, v7, v6
	v_div_fmas_f32 v1, v1, v2, v7
	v_div_fixup_f32 v5, v1, v3, v5
	v_div_scale_f32 v1, s[24:25], v3, v3, v4
	v_rcp_f32_e32 v2, v1
	v_fma_f32 v6, -v1, v2, 1.0
	v_fmac_f32_e32 v2, v6, v2
	v_div_scale_f32 v6, vcc, v4, v3, v4
	v_mul_f32_e32 v7, v6, v2
	v_fma_f32 v8, -v1, v7, v6
	v_fmac_f32_e32 v7, v8, v2
	v_fma_f32 v1, -v1, v7, v6
	v_div_fmas_f32 v1, v1, v2, v7
	v_div_fixup_f32 v4, v1, v3, v4
	v_mov_b32_e32 v2, 0
	global_store_dwordx2 v[12:13], v[4:5], off
.LBB19_201:                             ;   in Loop: Header=BB19_16 Depth=1
	s_or_b64 exec, exec, s[34:35]
	s_movk_i32 s24, 0x47
	v_cmp_gt_i32_e32 vcc, s24, v2
	s_mov_b64 s[34:35], -1
	s_and_saveexec_b64 s[36:37], vcc
; %bb.202:                              ;   in Loop: Header=BB19_16 Depth=1
	v_cmp_eq_u32_e32 vcc, 0, v2
	s_orn2_b64 s[34:35], vcc, exec
; %bb.203:                              ;   in Loop: Header=BB19_16 Depth=1
	s_or_b64 exec, exec, s[36:37]
	s_and_b64 exec, exec, s[34:35]
	s_cbranch_execz .LBB19_226
; %bb.204:                              ;   in Loop: Header=BB19_16 Depth=1
	v_add_u32_e32 v1, s69, v97
	v_cmp_gt_i32_e32 vcc, s64, v1
	v_mov_b32_e32 v2, 0x47
	s_and_saveexec_b64 s[34:35], vcc
	s_cbranch_execz .LBB19_206
; %bb.205:                              ;   in Loop: Header=BB19_16 Depth=1
	v_add_u32_e32 v10, 0, v129
	ds_read2_b32 v[2:3], v10 offset0:56 offset1:57
	ds_read2st64_b32 v[4:5], v130 offset1:15
	v_add_u32_e32 v6, 0xe0, v10
	ds_read2st64_b32 v[6:7], v6 offset0:15 offset1:30
	ds_read2st64_b32 v[8:9], v130 offset0:30 offset1:45
	ds_read_b32 v10, v10 offset:11744
	v_readlane_b32 s24, v214, 45
	v_mad_u64_u32 v[12:13], s[24:25], v1, s24, v[50:51]
	s_waitcnt lgkmcnt(3)
	v_cvt_f32_f16_sdwa v15, v4 dst_sel:DWORD dst_unused:UNUSED_PAD src0_sel:WORD_1
	v_cvt_f32_f16_e32 v14, v4
	v_cvt_f32_f16_sdwa v17, v5 dst_sel:DWORD dst_unused:UNUSED_PAD src0_sel:WORD_1
	v_cvt_f32_f16_e32 v16, v5
	v_ashrrev_i32_e32 v13, 31, v12
	v_pk_fma_f32 v[14:15], v[2:3], v[14:15], 0 op_sel_hi:[0,1,0]
	s_waitcnt lgkmcnt(2)
	v_mov_b32_e32 v2, v7
	v_pk_fma_f32 v[4:5], v[6:7], v[16:17], v[14:15] op_sel_hi:[0,1,1]
	s_waitcnt lgkmcnt(1)
	v_cvt_f32_f16_sdwa v15, v8 dst_sel:DWORD dst_unused:UNUSED_PAD src0_sel:WORD_1
	v_cvt_f32_f16_e32 v14, v8
	v_cvt_f32_f16_sdwa v7, v9 dst_sel:DWORD dst_unused:UNUSED_PAD src0_sel:WORD_1
	v_cvt_f32_f16_e32 v6, v9
	v_lshlrev_b64 v[12:13], 3, v[12:13]
	v_pk_fma_f32 v[4:5], v[2:3], v[14:15], v[4:5] op_sel_hi:[0,1,1]
	v_add_co_u32_e32 v12, vcc, s71, v12
	v_mov_b32_e32 v1, s4
	s_waitcnt lgkmcnt(0)
	v_pk_fma_f32 v[4:5], v[10:11], v[6:7], v[4:5] op_sel_hi:[0,1,1]
	v_addc_co_u32_e32 v13, vcc, v1, v13, vcc
	v_div_scale_f32 v1, s[24:25], v3, v3, v5
	v_rcp_f32_e32 v2, v1
	v_fma_f32 v6, -v1, v2, 1.0
	v_fmac_f32_e32 v2, v6, v2
	v_div_scale_f32 v6, vcc, v5, v3, v5
	v_mul_f32_e32 v7, v6, v2
	v_fma_f32 v8, -v1, v7, v6
	v_fmac_f32_e32 v7, v8, v2
	v_fma_f32 v1, -v1, v7, v6
	v_div_fmas_f32 v1, v1, v2, v7
	v_div_fixup_f32 v5, v1, v3, v5
	v_div_scale_f32 v1, s[24:25], v3, v3, v4
	v_rcp_f32_e32 v2, v1
	v_fma_f32 v6, -v1, v2, 1.0
	v_fmac_f32_e32 v2, v6, v2
	v_div_scale_f32 v6, vcc, v4, v3, v4
	v_mul_f32_e32 v7, v6, v2
	v_fma_f32 v8, -v1, v7, v6
	v_fmac_f32_e32 v7, v8, v2
	v_fma_f32 v1, -v1, v7, v6
	v_div_fmas_f32 v1, v1, v2, v7
	v_div_fixup_f32 v4, v1, v3, v4
	v_mov_b32_e32 v2, 0
	global_store_dwordx2 v[12:13], v[4:5], off
.LBB19_206:                             ;   in Loop: Header=BB19_16 Depth=1
	s_or_b64 exec, exec, s[34:35]
	s_movk_i32 s24, 0x47
	v_cmp_gt_i32_e32 vcc, s24, v2
	s_mov_b64 s[34:35], -1
	s_and_saveexec_b64 s[36:37], vcc
; %bb.207:                              ;   in Loop: Header=BB19_16 Depth=1
	v_cmp_eq_u32_e32 vcc, 0, v2
	s_orn2_b64 s[34:35], vcc, exec
; %bb.208:                              ;   in Loop: Header=BB19_16 Depth=1
	s_or_b64 exec, exec, s[36:37]
	s_and_b64 exec, exec, s[34:35]
	s_cbranch_execz .LBB19_226
; %bb.209:                              ;   in Loop: Header=BB19_16 Depth=1
	v_add_u32_e32 v1, s69, v98
	v_cmp_gt_i32_e32 vcc, s64, v1
	v_mov_b32_e32 v2, 0x47
	s_and_saveexec_b64 s[34:35], vcc
	s_cbranch_execz .LBB19_211
; %bb.210:                              ;   in Loop: Header=BB19_16 Depth=1
	v_add_u32_e32 v10, 0, v131
	ds_read2_b32 v[2:3], v10 offset0:56 offset1:57
	ds_read2st64_b32 v[4:5], v132 offset1:15
	v_add_u32_e32 v6, 0xe0, v10
	ds_read2st64_b32 v[6:7], v6 offset0:15 offset1:30
	ds_read2st64_b32 v[8:9], v132 offset0:30 offset1:45
	ds_read_b32 v10, v10 offset:11744
	v_readlane_b32 s24, v214, 45
	v_mad_u64_u32 v[12:13], s[24:25], v1, s24, v[50:51]
	s_waitcnt lgkmcnt(3)
	v_cvt_f32_f16_sdwa v15, v4 dst_sel:DWORD dst_unused:UNUSED_PAD src0_sel:WORD_1
	v_cvt_f32_f16_e32 v14, v4
	v_cvt_f32_f16_sdwa v17, v5 dst_sel:DWORD dst_unused:UNUSED_PAD src0_sel:WORD_1
	v_cvt_f32_f16_e32 v16, v5
	v_ashrrev_i32_e32 v13, 31, v12
	v_pk_fma_f32 v[14:15], v[2:3], v[14:15], 0 op_sel_hi:[0,1,0]
	s_waitcnt lgkmcnt(2)
	v_mov_b32_e32 v2, v7
	v_pk_fma_f32 v[4:5], v[6:7], v[16:17], v[14:15] op_sel_hi:[0,1,1]
	s_waitcnt lgkmcnt(1)
	v_cvt_f32_f16_sdwa v15, v8 dst_sel:DWORD dst_unused:UNUSED_PAD src0_sel:WORD_1
	v_cvt_f32_f16_e32 v14, v8
	v_cvt_f32_f16_sdwa v7, v9 dst_sel:DWORD dst_unused:UNUSED_PAD src0_sel:WORD_1
	v_cvt_f32_f16_e32 v6, v9
	v_lshlrev_b64 v[12:13], 3, v[12:13]
	v_pk_fma_f32 v[4:5], v[2:3], v[14:15], v[4:5] op_sel_hi:[0,1,1]
	v_add_co_u32_e32 v12, vcc, s71, v12
	v_mov_b32_e32 v1, s4
	s_waitcnt lgkmcnt(0)
	v_pk_fma_f32 v[4:5], v[10:11], v[6:7], v[4:5] op_sel_hi:[0,1,1]
	v_addc_co_u32_e32 v13, vcc, v1, v13, vcc
	v_div_scale_f32 v1, s[24:25], v3, v3, v5
	v_rcp_f32_e32 v2, v1
	v_fma_f32 v6, -v1, v2, 1.0
	v_fmac_f32_e32 v2, v6, v2
	v_div_scale_f32 v6, vcc, v5, v3, v5
	v_mul_f32_e32 v7, v6, v2
	v_fma_f32 v8, -v1, v7, v6
	v_fmac_f32_e32 v7, v8, v2
	v_fma_f32 v1, -v1, v7, v6
	v_div_fmas_f32 v1, v1, v2, v7
	v_div_fixup_f32 v5, v1, v3, v5
	v_div_scale_f32 v1, s[24:25], v3, v3, v4
	v_rcp_f32_e32 v2, v1
	v_fma_f32 v6, -v1, v2, 1.0
	v_fmac_f32_e32 v2, v6, v2
	v_div_scale_f32 v6, vcc, v4, v3, v4
	v_mul_f32_e32 v7, v6, v2
	v_fma_f32 v8, -v1, v7, v6
	v_fmac_f32_e32 v7, v8, v2
	v_fma_f32 v1, -v1, v7, v6
	v_div_fmas_f32 v1, v1, v2, v7
	v_div_fixup_f32 v4, v1, v3, v4
	v_mov_b32_e32 v2, 0
	global_store_dwordx2 v[12:13], v[4:5], off
.LBB19_211:                             ;   in Loop: Header=BB19_16 Depth=1
	s_or_b64 exec, exec, s[34:35]
	s_movk_i32 s24, 0x47
	v_cmp_gt_i32_e32 vcc, s24, v2
	s_mov_b64 s[34:35], -1
	s_and_saveexec_b64 s[36:37], vcc
; %bb.212:                              ;   in Loop: Header=BB19_16 Depth=1
	v_cmp_eq_u32_e32 vcc, 0, v2
	s_orn2_b64 s[34:35], vcc, exec
; %bb.213:                              ;   in Loop: Header=BB19_16 Depth=1
	s_or_b64 exec, exec, s[36:37]
	s_and_b64 exec, exec, s[34:35]
	s_cbranch_execz .LBB19_226
; %bb.214:                              ;   in Loop: Header=BB19_16 Depth=1
	v_add_u32_e32 v1, s69, v99
	v_cmp_gt_i32_e32 vcc, s64, v1
	v_mov_b32_e32 v2, 0x47
	s_and_saveexec_b64 s[34:35], vcc
	s_cbranch_execz .LBB19_216
; %bb.215:                              ;   in Loop: Header=BB19_16 Depth=1
	v_add_u32_e32 v10, 0, v133
	ds_read2_b32 v[2:3], v10 offset0:56 offset1:57
	ds_read2st64_b32 v[4:5], v134 offset1:15
	v_add_u32_e32 v6, 0xe0, v10
	ds_read2st64_b32 v[6:7], v6 offset0:15 offset1:30
	ds_read2st64_b32 v[8:9], v134 offset0:30 offset1:45
	ds_read_b32 v10, v10 offset:11744
	v_readlane_b32 s24, v214, 45
	v_mad_u64_u32 v[12:13], s[24:25], v1, s24, v[50:51]
	s_waitcnt lgkmcnt(3)
	v_cvt_f32_f16_sdwa v15, v4 dst_sel:DWORD dst_unused:UNUSED_PAD src0_sel:WORD_1
	v_cvt_f32_f16_e32 v14, v4
	v_cvt_f32_f16_sdwa v17, v5 dst_sel:DWORD dst_unused:UNUSED_PAD src0_sel:WORD_1
	v_cvt_f32_f16_e32 v16, v5
	v_ashrrev_i32_e32 v13, 31, v12
	v_pk_fma_f32 v[14:15], v[2:3], v[14:15], 0 op_sel_hi:[0,1,0]
	s_waitcnt lgkmcnt(2)
	v_mov_b32_e32 v2, v7
	v_pk_fma_f32 v[4:5], v[6:7], v[16:17], v[14:15] op_sel_hi:[0,1,1]
	s_waitcnt lgkmcnt(1)
	v_cvt_f32_f16_sdwa v15, v8 dst_sel:DWORD dst_unused:UNUSED_PAD src0_sel:WORD_1
	v_cvt_f32_f16_e32 v14, v8
	v_cvt_f32_f16_sdwa v7, v9 dst_sel:DWORD dst_unused:UNUSED_PAD src0_sel:WORD_1
	v_cvt_f32_f16_e32 v6, v9
	v_lshlrev_b64 v[12:13], 3, v[12:13]
	v_pk_fma_f32 v[4:5], v[2:3], v[14:15], v[4:5] op_sel_hi:[0,1,1]
	v_add_co_u32_e32 v12, vcc, s71, v12
	v_mov_b32_e32 v1, s4
	s_waitcnt lgkmcnt(0)
	v_pk_fma_f32 v[4:5], v[10:11], v[6:7], v[4:5] op_sel_hi:[0,1,1]
	v_addc_co_u32_e32 v13, vcc, v1, v13, vcc
	v_div_scale_f32 v1, s[24:25], v3, v3, v5
	v_rcp_f32_e32 v2, v1
	v_fma_f32 v6, -v1, v2, 1.0
	v_fmac_f32_e32 v2, v6, v2
	v_div_scale_f32 v6, vcc, v5, v3, v5
	v_mul_f32_e32 v7, v6, v2
	v_fma_f32 v8, -v1, v7, v6
	v_fmac_f32_e32 v7, v8, v2
	v_fma_f32 v1, -v1, v7, v6
	v_div_fmas_f32 v1, v1, v2, v7
	v_div_fixup_f32 v5, v1, v3, v5
	v_div_scale_f32 v1, s[24:25], v3, v3, v4
	v_rcp_f32_e32 v2, v1
	v_fma_f32 v6, -v1, v2, 1.0
	v_fmac_f32_e32 v2, v6, v2
	v_div_scale_f32 v6, vcc, v4, v3, v4
	v_mul_f32_e32 v7, v6, v2
	v_fma_f32 v8, -v1, v7, v6
	v_fmac_f32_e32 v7, v8, v2
	v_fma_f32 v1, -v1, v7, v6
	v_div_fmas_f32 v1, v1, v2, v7
	v_div_fixup_f32 v4, v1, v3, v4
	v_mov_b32_e32 v2, 0
	global_store_dwordx2 v[12:13], v[4:5], off
.LBB19_216:                             ;   in Loop: Header=BB19_16 Depth=1
	s_or_b64 exec, exec, s[34:35]
	s_movk_i32 s24, 0x47
	v_cmp_gt_i32_e32 vcc, s24, v2
	s_mov_b64 s[34:35], -1
	s_and_saveexec_b64 s[36:37], vcc
; %bb.217:                              ;   in Loop: Header=BB19_16 Depth=1
	v_cmp_eq_u32_e32 vcc, 0, v2
	s_orn2_b64 s[34:35], vcc, exec
; %bb.218:                              ;   in Loop: Header=BB19_16 Depth=1
	s_or_b64 exec, exec, s[36:37]
	s_and_b64 exec, exec, s[34:35]
	s_cbranch_execz .LBB19_226
; %bb.219:                              ;   in Loop: Header=BB19_16 Depth=1
	v_add_u32_e32 v1, s69, v100
	v_cmp_gt_i32_e32 vcc, s64, v1
	v_mov_b32_e32 v2, 0x47
	s_and_saveexec_b64 s[34:35], vcc
	s_cbranch_execz .LBB19_221
; %bb.220:                              ;   in Loop: Header=BB19_16 Depth=1
	v_add_u32_e32 v10, 0, v135
	ds_read2_b32 v[2:3], v10 offset0:56 offset1:57
	ds_read2st64_b32 v[4:5], v136 offset1:15
	v_add_u32_e32 v6, 0xe0, v10
	ds_read2st64_b32 v[6:7], v6 offset0:15 offset1:30
	ds_read2st64_b32 v[8:9], v136 offset0:30 offset1:45
	ds_read_b32 v10, v10 offset:11744
	v_readlane_b32 s24, v214, 45
	v_mad_u64_u32 v[12:13], s[24:25], v1, s24, v[50:51]
	s_waitcnt lgkmcnt(3)
	v_cvt_f32_f16_sdwa v15, v4 dst_sel:DWORD dst_unused:UNUSED_PAD src0_sel:WORD_1
	v_cvt_f32_f16_e32 v14, v4
	v_cvt_f32_f16_sdwa v17, v5 dst_sel:DWORD dst_unused:UNUSED_PAD src0_sel:WORD_1
	v_cvt_f32_f16_e32 v16, v5
	v_ashrrev_i32_e32 v13, 31, v12
	v_pk_fma_f32 v[14:15], v[2:3], v[14:15], 0 op_sel_hi:[0,1,0]
	s_waitcnt lgkmcnt(2)
	v_mov_b32_e32 v2, v7
	v_pk_fma_f32 v[4:5], v[6:7], v[16:17], v[14:15] op_sel_hi:[0,1,1]
	s_waitcnt lgkmcnt(1)
	v_cvt_f32_f16_sdwa v15, v8 dst_sel:DWORD dst_unused:UNUSED_PAD src0_sel:WORD_1
	v_cvt_f32_f16_e32 v14, v8
	v_cvt_f32_f16_sdwa v7, v9 dst_sel:DWORD dst_unused:UNUSED_PAD src0_sel:WORD_1
	v_cvt_f32_f16_e32 v6, v9
	v_lshlrev_b64 v[12:13], 3, v[12:13]
	v_pk_fma_f32 v[4:5], v[2:3], v[14:15], v[4:5] op_sel_hi:[0,1,1]
	v_add_co_u32_e32 v12, vcc, s71, v12
	v_mov_b32_e32 v1, s4
	s_waitcnt lgkmcnt(0)
	v_pk_fma_f32 v[4:5], v[10:11], v[6:7], v[4:5] op_sel_hi:[0,1,1]
	v_addc_co_u32_e32 v13, vcc, v1, v13, vcc
	v_div_scale_f32 v1, s[24:25], v3, v3, v5
	v_rcp_f32_e32 v2, v1
	v_fma_f32 v6, -v1, v2, 1.0
	v_fmac_f32_e32 v2, v6, v2
	v_div_scale_f32 v6, vcc, v5, v3, v5
	v_mul_f32_e32 v7, v6, v2
	v_fma_f32 v8, -v1, v7, v6
	v_fmac_f32_e32 v7, v8, v2
	v_fma_f32 v1, -v1, v7, v6
	v_div_fmas_f32 v1, v1, v2, v7
	v_div_fixup_f32 v5, v1, v3, v5
	v_div_scale_f32 v1, s[24:25], v3, v3, v4
	v_rcp_f32_e32 v2, v1
	v_fma_f32 v6, -v1, v2, 1.0
	v_fmac_f32_e32 v2, v6, v2
	v_div_scale_f32 v6, vcc, v4, v3, v4
	v_mul_f32_e32 v7, v6, v2
	v_fma_f32 v8, -v1, v7, v6
	v_fmac_f32_e32 v7, v8, v2
	v_fma_f32 v1, -v1, v7, v6
	v_div_fmas_f32 v1, v1, v2, v7
	v_div_fixup_f32 v4, v1, v3, v4
	v_mov_b32_e32 v2, 0
	global_store_dwordx2 v[12:13], v[4:5], off
.LBB19_221:                             ;   in Loop: Header=BB19_16 Depth=1
	s_or_b64 exec, exec, s[34:35]
	s_movk_i32 s24, 0x47
	v_cmp_gt_i32_e32 vcc, s24, v2
	s_mov_b64 s[34:35], -1
	s_and_saveexec_b64 s[36:37], vcc
; %bb.222:                              ;   in Loop: Header=BB19_16 Depth=1
	v_cmp_eq_u32_e32 vcc, 0, v2
	s_orn2_b64 s[34:35], vcc, exec
; %bb.223:                              ;   in Loop: Header=BB19_16 Depth=1
	s_or_b64 exec, exec, s[36:37]
	s_and_b64 exec, exec, s[34:35]
	s_cbranch_execz .LBB19_226
; %bb.224:                              ;   in Loop: Header=BB19_16 Depth=1
	v_add_u32_e32 v1, s69, v101
	v_cmp_gt_i32_e32 vcc, s64, v1
	s_and_b64 exec, exec, vcc
	s_cbranch_execz .LBB19_226
; %bb.225:                              ;   in Loop: Header=BB19_16 Depth=1
	v_add_u32_e32 v10, 0, v137
	ds_read2_b32 v[2:3], v10 offset0:56 offset1:57
	ds_read2st64_b32 v[4:5], v138 offset1:15
	v_add_u32_e32 v6, 0xe0, v10
	ds_read2st64_b32 v[6:7], v6 offset0:15 offset1:30
	ds_read2st64_b32 v[8:9], v138 offset0:30 offset1:45
	ds_read_b32 v10, v10 offset:11744
	v_readlane_b32 s24, v214, 45
	v_mad_u64_u32 v[12:13], s[24:25], v1, s24, v[50:51]
	s_waitcnt lgkmcnt(3)
	v_cvt_f32_f16_sdwa v15, v4 dst_sel:DWORD dst_unused:UNUSED_PAD src0_sel:WORD_1
	v_cvt_f32_f16_e32 v14, v4
	v_cvt_f32_f16_sdwa v17, v5 dst_sel:DWORD dst_unused:UNUSED_PAD src0_sel:WORD_1
	v_cvt_f32_f16_e32 v16, v5
	v_ashrrev_i32_e32 v13, 31, v12
	v_pk_fma_f32 v[14:15], v[2:3], v[14:15], 0 op_sel_hi:[0,1,0]
	s_waitcnt lgkmcnt(2)
	v_mov_b32_e32 v2, v7
	v_pk_fma_f32 v[4:5], v[6:7], v[16:17], v[14:15] op_sel_hi:[0,1,1]
	s_waitcnt lgkmcnt(1)
	v_cvt_f32_f16_sdwa v15, v8 dst_sel:DWORD dst_unused:UNUSED_PAD src0_sel:WORD_1
	v_cvt_f32_f16_e32 v14, v8
	v_cvt_f32_f16_sdwa v7, v9 dst_sel:DWORD dst_unused:UNUSED_PAD src0_sel:WORD_1
	v_cvt_f32_f16_e32 v6, v9
	v_lshlrev_b64 v[12:13], 3, v[12:13]
	v_pk_fma_f32 v[4:5], v[2:3], v[14:15], v[4:5] op_sel_hi:[0,1,1]
	v_add_co_u32_e32 v12, vcc, s71, v12
	v_mov_b32_e32 v1, s4
	s_waitcnt lgkmcnt(0)
	v_pk_fma_f32 v[4:5], v[10:11], v[6:7], v[4:5] op_sel_hi:[0,1,1]
	v_addc_co_u32_e32 v13, vcc, v1, v13, vcc
	v_div_scale_f32 v1, s[24:25], v3, v3, v5
	v_rcp_f32_e32 v2, v1
	v_fma_f32 v6, -v1, v2, 1.0
	v_fmac_f32_e32 v2, v6, v2
	v_div_scale_f32 v6, vcc, v5, v3, v5
	v_mul_f32_e32 v7, v6, v2
	v_fma_f32 v8, -v1, v7, v6
	v_fmac_f32_e32 v7, v8, v2
	v_fma_f32 v1, -v1, v7, v6
	v_div_fmas_f32 v1, v1, v2, v7
	v_div_fixup_f32 v5, v1, v3, v5
	v_div_scale_f32 v1, s[24:25], v3, v3, v4
	v_rcp_f32_e32 v2, v1
	v_fma_f32 v6, -v1, v2, 1.0
	v_fmac_f32_e32 v2, v6, v2
	v_div_scale_f32 v6, vcc, v4, v3, v4
	v_mul_f32_e32 v7, v6, v2
	v_fma_f32 v8, -v1, v7, v6
	v_fmac_f32_e32 v7, v8, v2
	v_fma_f32 v1, -v1, v7, v6
	v_div_fmas_f32 v1, v1, v2, v7
	v_div_fixup_f32 v4, v1, v3, v4
	global_store_dwordx2 v[12:13], v[4:5], off
.LBB19_226:                             ;   in Loop: Header=BB19_16 Depth=1
	s_or_b64 exec, exec, s[30:31]
	v_add_u32_e32 v2, s69, v93
	v_cmp_gt_i32_e32 vcc, s64, v2
	v_mov_b32_e32 v1, 0x47
	s_and_saveexec_b64 s[30:31], vcc
	s_cbranch_execz .LBB19_228
; %bb.227:                              ;   in Loop: Header=BB19_16 Depth=1
	v_add_u32_e32 v8, 0x80, v140
	ds_read2st64_b32 v[4:5], v8 offset1:15
	v_readlane_b32 s24, v214, 45
	v_add_u32_e32 v10, 0, v139
	v_mul_lo_u32 v1, v2, s24
	ds_read2_b32 v[2:3], v10 offset0:56 offset1:57
	v_add_u32_e32 v6, 0xe0, v10
	s_waitcnt lgkmcnt(1)
	v_cvt_f32_f16_sdwa v15, v4 dst_sel:DWORD dst_unused:UNUSED_PAD src0_sel:WORD_1
	v_cvt_f32_f16_e32 v14, v4
	ds_read2st64_b32 v[6:7], v6 offset0:15 offset1:30
	ds_read2st64_b32 v[8:9], v8 offset0:30 offset1:45
	ds_read_b32 v10, v10 offset:11744
	v_cvt_f32_f16_sdwa v17, v5 dst_sel:DWORD dst_unused:UNUSED_PAD src0_sel:WORD_1
	v_cvt_f32_f16_e32 v16, v5
	s_waitcnt lgkmcnt(3)
	v_pk_fma_f32 v[14:15], v[2:3], v[14:15], 0 op_sel_hi:[0,1,0]
	s_waitcnt lgkmcnt(2)
	v_mov_b32_e32 v2, v7
	v_ashrrev_i32_e32 v11, 31, v1
	v_pk_fma_f32 v[4:5], v[6:7], v[16:17], v[14:15] op_sel_hi:[0,1,1]
	s_waitcnt lgkmcnt(1)
	v_cvt_f32_f16_sdwa v15, v8 dst_sel:DWORD dst_unused:UNUSED_PAD src0_sel:WORD_1
	v_cvt_f32_f16_e32 v14, v8
	v_cvt_f32_f16_sdwa v7, v9 dst_sel:DWORD dst_unused:UNUSED_PAD src0_sel:WORD_1
	v_cvt_f32_f16_e32 v6, v9
	v_add_co_u32_e32 v12, vcc, v1, v20
	v_addc_co_u32_e32 v13, vcc, 0, v11, vcc
	v_lshlrev_b64 v[12:13], 3, v[12:13]
	v_pk_fma_f32 v[4:5], v[2:3], v[14:15], v[4:5] op_sel_hi:[0,1,1]
	v_add_co_u32_e32 v12, vcc, s71, v12
	v_mov_b32_e32 v1, s4
	s_waitcnt lgkmcnt(0)
	v_pk_fma_f32 v[4:5], v[10:11], v[6:7], v[4:5] op_sel_hi:[0,1,1]
	v_addc_co_u32_e32 v13, vcc, v1, v13, vcc
	v_div_scale_f32 v1, s[24:25], v3, v3, v5
	v_rcp_f32_e32 v2, v1
	v_fma_f32 v6, -v1, v2, 1.0
	v_fmac_f32_e32 v2, v6, v2
	v_div_scale_f32 v6, vcc, v5, v3, v5
	v_mul_f32_e32 v7, v6, v2
	v_fma_f32 v8, -v1, v7, v6
	v_fmac_f32_e32 v7, v8, v2
	v_fma_f32 v1, -v1, v7, v6
	v_div_fmas_f32 v1, v1, v2, v7
	v_div_fixup_f32 v5, v1, v3, v5
	v_div_scale_f32 v1, s[24:25], v3, v3, v4
	v_rcp_f32_e32 v2, v1
	v_fma_f32 v6, -v1, v2, 1.0
	v_fmac_f32_e32 v2, v6, v2
	v_div_scale_f32 v6, vcc, v4, v3, v4
	v_mul_f32_e32 v7, v6, v2
	v_fma_f32 v8, -v1, v7, v6
	v_fmac_f32_e32 v7, v8, v2
	v_fma_f32 v1, -v1, v7, v6
	v_div_fmas_f32 v1, v1, v2, v7
	v_div_fixup_f32 v4, v1, v3, v4
	v_mov_b32_e32 v1, 0
	global_store_dwordx2 v[12:13], v[4:5], off offset:256
.LBB19_228:                             ;   in Loop: Header=BB19_16 Depth=1
	s_or_b64 exec, exec, s[30:31]
	s_movk_i32 s24, 0x47
	v_cmp_gt_i32_e32 vcc, s24, v1
	s_mov_b64 s[34:35], -1
	s_and_saveexec_b64 s[30:31], vcc
; %bb.229:                              ;   in Loop: Header=BB19_16 Depth=1
	v_cmp_eq_u32_e32 vcc, 0, v1
	s_orn2_b64 s[34:35], vcc, exec
; %bb.230:                              ;   in Loop: Header=BB19_16 Depth=1
	s_or_b64 exec, exec, s[30:31]
	s_and_saveexec_b64 s[30:31], s[34:35]
	s_cbranch_execz .LBB19_243
; %bb.231:                              ;   in Loop: Header=BB19_16 Depth=1
	v_add_u32_e32 v2, s69, v102
	v_cmp_gt_i32_e32 vcc, s64, v2
	v_mov_b32_e32 v1, 0x47
	s_and_saveexec_b64 s[34:35], vcc
	s_cbranch_execz .LBB19_233
; %bb.232:                              ;   in Loop: Header=BB19_16 Depth=1
	v_add_u32_e32 v8, 0x80, v142
	ds_read2st64_b32 v[4:5], v8 offset1:15
	v_readlane_b32 s24, v214, 45
	v_add_u32_e32 v10, 0, v141
	v_mul_lo_u32 v1, v2, s24
	ds_read2_b32 v[2:3], v10 offset0:56 offset1:57
	v_add_u32_e32 v6, 0xe0, v10
	s_waitcnt lgkmcnt(1)
	v_cvt_f32_f16_sdwa v15, v4 dst_sel:DWORD dst_unused:UNUSED_PAD src0_sel:WORD_1
	v_cvt_f32_f16_e32 v14, v4
	ds_read2st64_b32 v[6:7], v6 offset0:15 offset1:30
	ds_read2st64_b32 v[8:9], v8 offset0:30 offset1:45
	ds_read_b32 v10, v10 offset:11744
	v_cvt_f32_f16_sdwa v17, v5 dst_sel:DWORD dst_unused:UNUSED_PAD src0_sel:WORD_1
	v_cvt_f32_f16_e32 v16, v5
	s_waitcnt lgkmcnt(3)
	v_pk_fma_f32 v[14:15], v[2:3], v[14:15], 0 op_sel_hi:[0,1,0]
	s_waitcnt lgkmcnt(2)
	v_mov_b32_e32 v2, v7
	v_ashrrev_i32_e32 v11, 31, v1
	v_pk_fma_f32 v[4:5], v[6:7], v[16:17], v[14:15] op_sel_hi:[0,1,1]
	s_waitcnt lgkmcnt(1)
	v_cvt_f32_f16_sdwa v15, v8 dst_sel:DWORD dst_unused:UNUSED_PAD src0_sel:WORD_1
	v_cvt_f32_f16_e32 v14, v8
	v_cvt_f32_f16_sdwa v7, v9 dst_sel:DWORD dst_unused:UNUSED_PAD src0_sel:WORD_1
	v_cvt_f32_f16_e32 v6, v9
	v_add_co_u32_e32 v12, vcc, v1, v20
	v_addc_co_u32_e32 v13, vcc, 0, v11, vcc
	v_lshlrev_b64 v[12:13], 3, v[12:13]
	v_pk_fma_f32 v[4:5], v[2:3], v[14:15], v[4:5] op_sel_hi:[0,1,1]
	v_add_co_u32_e32 v12, vcc, s71, v12
	v_mov_b32_e32 v1, s4
	s_waitcnt lgkmcnt(0)
	v_pk_fma_f32 v[4:5], v[10:11], v[6:7], v[4:5] op_sel_hi:[0,1,1]
	v_addc_co_u32_e32 v13, vcc, v1, v13, vcc
	v_div_scale_f32 v1, s[24:25], v3, v3, v5
	v_rcp_f32_e32 v2, v1
	v_fma_f32 v6, -v1, v2, 1.0
	v_fmac_f32_e32 v2, v6, v2
	v_div_scale_f32 v6, vcc, v5, v3, v5
	v_mul_f32_e32 v7, v6, v2
	v_fma_f32 v8, -v1, v7, v6
	v_fmac_f32_e32 v7, v8, v2
	v_fma_f32 v1, -v1, v7, v6
	v_div_fmas_f32 v1, v1, v2, v7
	v_div_fixup_f32 v5, v1, v3, v5
	v_div_scale_f32 v1, s[24:25], v3, v3, v4
	v_rcp_f32_e32 v2, v1
	v_fma_f32 v6, -v1, v2, 1.0
	v_fmac_f32_e32 v2, v6, v2
	v_div_scale_f32 v6, vcc, v4, v3, v4
	v_mul_f32_e32 v7, v6, v2
	v_fma_f32 v8, -v1, v7, v6
	v_fmac_f32_e32 v7, v8, v2
	v_fma_f32 v1, -v1, v7, v6
	v_div_fmas_f32 v1, v1, v2, v7
	v_div_fixup_f32 v4, v1, v3, v4
	v_mov_b32_e32 v1, 0
	global_store_dwordx2 v[12:13], v[4:5], off offset:256
.LBB19_233:                             ;   in Loop: Header=BB19_16 Depth=1
	s_or_b64 exec, exec, s[34:35]
	s_movk_i32 s24, 0x47
	v_cmp_gt_i32_e32 vcc, s24, v1
	s_mov_b64 s[34:35], -1
	s_and_saveexec_b64 s[36:37], vcc
; %bb.234:                              ;   in Loop: Header=BB19_16 Depth=1
	v_cmp_eq_u32_e32 vcc, 0, v1
	s_orn2_b64 s[34:35], vcc, exec
; %bb.235:                              ;   in Loop: Header=BB19_16 Depth=1
	s_or_b64 exec, exec, s[36:37]
	s_and_b64 exec, exec, s[34:35]
	s_cbranch_execz .LBB19_243
; %bb.236:                              ;   in Loop: Header=BB19_16 Depth=1
	v_add_u32_e32 v2, s69, v103
	v_cmp_gt_i32_e32 vcc, s64, v2
	v_mov_b32_e32 v1, 0x47
	s_and_saveexec_b64 s[34:35], vcc
	s_cbranch_execz .LBB19_238
; %bb.237:                              ;   in Loop: Header=BB19_16 Depth=1
	v_add_u32_e32 v8, 0x80, v144
	ds_read2st64_b32 v[4:5], v8 offset1:15
	v_readlane_b32 s24, v214, 45
	v_add_u32_e32 v10, 0, v143
	v_mul_lo_u32 v1, v2, s24
	ds_read2_b32 v[2:3], v10 offset0:56 offset1:57
	v_add_u32_e32 v6, 0xe0, v10
	s_waitcnt lgkmcnt(1)
	v_cvt_f32_f16_sdwa v15, v4 dst_sel:DWORD dst_unused:UNUSED_PAD src0_sel:WORD_1
	v_cvt_f32_f16_e32 v14, v4
	ds_read2st64_b32 v[6:7], v6 offset0:15 offset1:30
	ds_read2st64_b32 v[8:9], v8 offset0:30 offset1:45
	ds_read_b32 v10, v10 offset:11744
	v_cvt_f32_f16_sdwa v17, v5 dst_sel:DWORD dst_unused:UNUSED_PAD src0_sel:WORD_1
	v_cvt_f32_f16_e32 v16, v5
	s_waitcnt lgkmcnt(3)
	v_pk_fma_f32 v[14:15], v[2:3], v[14:15], 0 op_sel_hi:[0,1,0]
	s_waitcnt lgkmcnt(2)
	v_mov_b32_e32 v2, v7
	v_ashrrev_i32_e32 v11, 31, v1
	v_pk_fma_f32 v[4:5], v[6:7], v[16:17], v[14:15] op_sel_hi:[0,1,1]
	s_waitcnt lgkmcnt(1)
	v_cvt_f32_f16_sdwa v15, v8 dst_sel:DWORD dst_unused:UNUSED_PAD src0_sel:WORD_1
	v_cvt_f32_f16_e32 v14, v8
	v_cvt_f32_f16_sdwa v7, v9 dst_sel:DWORD dst_unused:UNUSED_PAD src0_sel:WORD_1
	v_cvt_f32_f16_e32 v6, v9
	v_add_co_u32_e32 v12, vcc, v1, v20
	v_addc_co_u32_e32 v13, vcc, 0, v11, vcc
	v_lshlrev_b64 v[12:13], 3, v[12:13]
	v_pk_fma_f32 v[4:5], v[2:3], v[14:15], v[4:5] op_sel_hi:[0,1,1]
	v_add_co_u32_e32 v12, vcc, s71, v12
	v_mov_b32_e32 v1, s4
	s_waitcnt lgkmcnt(0)
	v_pk_fma_f32 v[4:5], v[10:11], v[6:7], v[4:5] op_sel_hi:[0,1,1]
	v_addc_co_u32_e32 v13, vcc, v1, v13, vcc
	v_div_scale_f32 v1, s[24:25], v3, v3, v5
	v_rcp_f32_e32 v2, v1
	v_fma_f32 v6, -v1, v2, 1.0
	v_fmac_f32_e32 v2, v6, v2
	v_div_scale_f32 v6, vcc, v5, v3, v5
	v_mul_f32_e32 v7, v6, v2
	v_fma_f32 v8, -v1, v7, v6
	v_fmac_f32_e32 v7, v8, v2
	v_fma_f32 v1, -v1, v7, v6
	v_div_fmas_f32 v1, v1, v2, v7
	v_div_fixup_f32 v5, v1, v3, v5
	v_div_scale_f32 v1, s[24:25], v3, v3, v4
	v_rcp_f32_e32 v2, v1
	v_fma_f32 v6, -v1, v2, 1.0
	v_fmac_f32_e32 v2, v6, v2
	v_div_scale_f32 v6, vcc, v4, v3, v4
	v_mul_f32_e32 v7, v6, v2
	v_fma_f32 v8, -v1, v7, v6
	v_fmac_f32_e32 v7, v8, v2
	v_fma_f32 v1, -v1, v7, v6
	v_div_fmas_f32 v1, v1, v2, v7
	v_div_fixup_f32 v4, v1, v3, v4
	v_mov_b32_e32 v1, 0
	global_store_dwordx2 v[12:13], v[4:5], off offset:256
.LBB19_238:                             ;   in Loop: Header=BB19_16 Depth=1
	s_or_b64 exec, exec, s[34:35]
	s_movk_i32 s24, 0x47
	v_cmp_gt_i32_e32 vcc, s24, v1
	s_mov_b64 s[34:35], -1
	s_and_saveexec_b64 s[36:37], vcc
; %bb.239:                              ;   in Loop: Header=BB19_16 Depth=1
	v_cmp_eq_u32_e32 vcc, 0, v1
	s_orn2_b64 s[34:35], vcc, exec
; %bb.240:                              ;   in Loop: Header=BB19_16 Depth=1
	s_or_b64 exec, exec, s[36:37]
	s_and_b64 exec, exec, s[34:35]
	s_cbranch_execz .LBB19_243
; %bb.241:                              ;   in Loop: Header=BB19_16 Depth=1
	v_add_u32_e32 v1, s69, v104
	v_cmp_gt_i32_e32 vcc, s64, v1
	s_and_b64 exec, exec, vcc
	s_cbranch_execz .LBB19_243
; %bb.242:                              ;   in Loop: Header=BB19_16 Depth=1
	v_add_u32_e32 v8, 0x80, v146
	ds_read2st64_b32 v[4:5], v8 offset1:15
	v_add_u32_e32 v10, 0, v145
	ds_read2_b32 v[2:3], v10 offset0:56 offset1:57
	v_add_u32_e32 v6, 0xe0, v10
	ds_read2st64_b32 v[6:7], v6 offset0:15 offset1:30
	ds_read2st64_b32 v[8:9], v8 offset0:30 offset1:45
	ds_read_b32 v10, v10 offset:11744
	s_waitcnt lgkmcnt(4)
	v_cvt_f32_f16_sdwa v15, v4 dst_sel:DWORD dst_unused:UNUSED_PAD src0_sel:WORD_1
	v_cvt_f32_f16_e32 v14, v4
	v_cvt_f32_f16_sdwa v17, v5 dst_sel:DWORD dst_unused:UNUSED_PAD src0_sel:WORD_1
	v_cvt_f32_f16_e32 v16, v5
	v_readlane_b32 s24, v214, 45
	s_waitcnt lgkmcnt(3)
	v_pk_fma_f32 v[14:15], v[2:3], v[14:15], 0 op_sel_hi:[0,1,0]
	v_mul_lo_u32 v1, v1, s24
	s_waitcnt lgkmcnt(2)
	v_pk_fma_f32 v[4:5], v[6:7], v[16:17], v[14:15] op_sel_hi:[0,1,1]
	s_waitcnt lgkmcnt(1)
	v_cvt_f32_f16_sdwa v15, v8 dst_sel:DWORD dst_unused:UNUSED_PAD src0_sel:WORD_1
	v_cvt_f32_f16_e32 v14, v8
	v_mov_b32_e32 v2, v7
	v_cvt_f32_f16_sdwa v7, v9 dst_sel:DWORD dst_unused:UNUSED_PAD src0_sel:WORD_1
	v_cvt_f32_f16_e32 v6, v9
	v_ashrrev_i32_e32 v11, 31, v1
	v_add_co_u32_e32 v12, vcc, v1, v20
	v_addc_co_u32_e32 v13, vcc, 0, v11, vcc
	v_lshlrev_b64 v[12:13], 3, v[12:13]
	v_pk_fma_f32 v[4:5], v[2:3], v[14:15], v[4:5] op_sel_hi:[0,1,1]
	v_add_co_u32_e32 v12, vcc, s71, v12
	v_mov_b32_e32 v1, s4
	s_waitcnt lgkmcnt(0)
	v_pk_fma_f32 v[4:5], v[10:11], v[6:7], v[4:5] op_sel_hi:[0,1,1]
	v_addc_co_u32_e32 v13, vcc, v1, v13, vcc
	v_div_scale_f32 v1, s[24:25], v3, v3, v5
	v_rcp_f32_e32 v2, v1
	v_fma_f32 v6, -v1, v2, 1.0
	v_fmac_f32_e32 v2, v6, v2
	v_div_scale_f32 v6, vcc, v5, v3, v5
	v_mul_f32_e32 v7, v6, v2
	v_fma_f32 v8, -v1, v7, v6
	v_fmac_f32_e32 v7, v8, v2
	v_fma_f32 v1, -v1, v7, v6
	v_div_fmas_f32 v1, v1, v2, v7
	v_div_fixup_f32 v5, v1, v3, v5
	v_div_scale_f32 v1, s[24:25], v3, v3, v4
	v_rcp_f32_e32 v2, v1
	v_fma_f32 v6, -v1, v2, 1.0
	v_fmac_f32_e32 v2, v6, v2
	v_div_scale_f32 v6, vcc, v4, v3, v4
	v_mul_f32_e32 v7, v6, v2
	v_fma_f32 v8, -v1, v7, v6
	v_fmac_f32_e32 v7, v8, v2
	v_fma_f32 v1, -v1, v7, v6
	v_div_fmas_f32 v1, v1, v2, v7
	v_div_fixup_f32 v4, v1, v3, v4
	global_store_dwordx2 v[12:13], v[4:5], off offset:256
.LBB19_243:                             ;   in Loop: Header=BB19_16 Depth=1
	s_or_b64 exec, exec, s[30:31]
	v_add_u32_e32 v2, s69, v94
	v_cmp_gt_i32_e32 vcc, s64, v2
	v_mov_b32_e32 v1, 0x47
	s_and_saveexec_b64 s[30:31], vcc
	s_cbranch_execz .LBB19_245
; %bb.244:                              ;   in Loop: Header=BB19_16 Depth=1
	v_add_u32_e32 v8, 0xc0, v148
	ds_read2st64_b32 v[4:5], v8 offset1:15
	v_readlane_b32 s24, v214, 45
	v_add_u32_e32 v10, 0, v147
	v_mul_lo_u32 v1, v2, s24
	ds_read2_b32 v[2:3], v10 offset0:56 offset1:57
	v_add_u32_e32 v6, 0xe0, v10
	s_waitcnt lgkmcnt(1)
	v_cvt_f32_f16_sdwa v15, v4 dst_sel:DWORD dst_unused:UNUSED_PAD src0_sel:WORD_1
	v_cvt_f32_f16_e32 v14, v4
	ds_read2st64_b32 v[6:7], v6 offset0:15 offset1:30
	ds_read2st64_b32 v[8:9], v8 offset0:30 offset1:45
	ds_read_b32 v10, v10 offset:11744
	v_cvt_f32_f16_sdwa v17, v5 dst_sel:DWORD dst_unused:UNUSED_PAD src0_sel:WORD_1
	v_cvt_f32_f16_e32 v16, v5
	s_waitcnt lgkmcnt(3)
	v_pk_fma_f32 v[14:15], v[2:3], v[14:15], 0 op_sel_hi:[0,1,0]
	s_waitcnt lgkmcnt(2)
	v_mov_b32_e32 v2, v7
	v_ashrrev_i32_e32 v11, 31, v1
	v_pk_fma_f32 v[4:5], v[6:7], v[16:17], v[14:15] op_sel_hi:[0,1,1]
	s_waitcnt lgkmcnt(1)
	v_cvt_f32_f16_sdwa v15, v8 dst_sel:DWORD dst_unused:UNUSED_PAD src0_sel:WORD_1
	v_cvt_f32_f16_e32 v14, v8
	v_cvt_f32_f16_sdwa v7, v9 dst_sel:DWORD dst_unused:UNUSED_PAD src0_sel:WORD_1
	v_cvt_f32_f16_e32 v6, v9
	v_add_co_u32_e32 v12, vcc, v1, v36
	v_addc_co_u32_e32 v13, vcc, 0, v11, vcc
	v_lshlrev_b64 v[12:13], 3, v[12:13]
	v_pk_fma_f32 v[4:5], v[2:3], v[14:15], v[4:5] op_sel_hi:[0,1,1]
	v_add_co_u32_e32 v12, vcc, s71, v12
	v_mov_b32_e32 v1, s4
	s_waitcnt lgkmcnt(0)
	v_pk_fma_f32 v[4:5], v[10:11], v[6:7], v[4:5] op_sel_hi:[0,1,1]
	v_addc_co_u32_e32 v13, vcc, v1, v13, vcc
	v_div_scale_f32 v1, s[24:25], v3, v3, v5
	v_rcp_f32_e32 v2, v1
	v_fma_f32 v6, -v1, v2, 1.0
	v_fmac_f32_e32 v2, v6, v2
	v_div_scale_f32 v6, vcc, v5, v3, v5
	v_mul_f32_e32 v7, v6, v2
	v_fma_f32 v8, -v1, v7, v6
	v_fmac_f32_e32 v7, v8, v2
	v_fma_f32 v1, -v1, v7, v6
	v_div_fmas_f32 v1, v1, v2, v7
	v_div_fixup_f32 v5, v1, v3, v5
	v_div_scale_f32 v1, s[24:25], v3, v3, v4
	v_rcp_f32_e32 v2, v1
	v_fma_f32 v6, -v1, v2, 1.0
	v_fmac_f32_e32 v2, v6, v2
	v_div_scale_f32 v6, vcc, v4, v3, v4
	v_mul_f32_e32 v7, v6, v2
	v_fma_f32 v8, -v1, v7, v6
	v_fmac_f32_e32 v7, v8, v2
	v_fma_f32 v1, -v1, v7, v6
	v_div_fmas_f32 v1, v1, v2, v7
	v_div_fixup_f32 v4, v1, v3, v4
	v_mov_b32_e32 v1, 0
	global_store_dwordx2 v[12:13], v[4:5], off offset:384
.LBB19_245:                             ;   in Loop: Header=BB19_16 Depth=1
	s_or_b64 exec, exec, s[30:31]
	s_movk_i32 s24, 0x47
	v_cmp_gt_i32_e32 vcc, s24, v1
	s_mov_b64 s[30:31], -1
	s_and_saveexec_b64 s[34:35], vcc
; %bb.246:                              ;   in Loop: Header=BB19_16 Depth=1
	v_cmp_eq_u32_e32 vcc, 0, v1
	s_orn2_b64 s[30:31], vcc, exec
; %bb.247:                              ;   in Loop: Header=BB19_16 Depth=1
	s_or_b64 exec, exec, s[34:35]
	s_and_b64 exec, exec, s[30:31]
	s_cbranch_execz .LBB19_14
; %bb.248:                              ;   in Loop: Header=BB19_16 Depth=1
	v_add_u32_e32 v1, s69, v105
	v_cmp_gt_i32_e32 vcc, s64, v1
	s_and_b64 exec, exec, vcc
	s_cbranch_execz .LBB19_14
; %bb.249:                              ;   in Loop: Header=BB19_16 Depth=1
	v_add_u32_e32 v8, 0xc0, v150
	ds_read2st64_b32 v[4:5], v8 offset1:15
	v_add_u32_e32 v10, 0, v149
	ds_read2_b32 v[2:3], v10 offset0:56 offset1:57
	v_add_u32_e32 v6, 0xe0, v10
	ds_read2st64_b32 v[6:7], v6 offset0:15 offset1:30
	ds_read2st64_b32 v[8:9], v8 offset0:30 offset1:45
	ds_read_b32 v10, v10 offset:11744
	s_waitcnt lgkmcnt(4)
	v_cvt_f32_f16_sdwa v15, v4 dst_sel:DWORD dst_unused:UNUSED_PAD src0_sel:WORD_1
	v_cvt_f32_f16_e32 v14, v4
	v_cvt_f32_f16_sdwa v17, v5 dst_sel:DWORD dst_unused:UNUSED_PAD src0_sel:WORD_1
	v_cvt_f32_f16_e32 v16, v5
	v_readlane_b32 s24, v214, 45
	s_waitcnt lgkmcnt(3)
	v_pk_fma_f32 v[14:15], v[2:3], v[14:15], 0 op_sel_hi:[0,1,0]
	v_mul_lo_u32 v1, v1, s24
	s_waitcnt lgkmcnt(2)
	v_pk_fma_f32 v[4:5], v[6:7], v[16:17], v[14:15] op_sel_hi:[0,1,1]
	s_waitcnt lgkmcnt(1)
	v_cvt_f32_f16_sdwa v15, v8 dst_sel:DWORD dst_unused:UNUSED_PAD src0_sel:WORD_1
	v_cvt_f32_f16_e32 v14, v8
	v_mov_b32_e32 v2, v7
	v_cvt_f32_f16_sdwa v7, v9 dst_sel:DWORD dst_unused:UNUSED_PAD src0_sel:WORD_1
	v_cvt_f32_f16_e32 v6, v9
	v_ashrrev_i32_e32 v11, 31, v1
	v_add_co_u32_e32 v12, vcc, v1, v36
	v_addc_co_u32_e32 v13, vcc, 0, v11, vcc
	v_lshlrev_b64 v[12:13], 3, v[12:13]
	v_pk_fma_f32 v[4:5], v[2:3], v[14:15], v[4:5] op_sel_hi:[0,1,1]
	v_add_co_u32_e32 v12, vcc, s71, v12
	v_mov_b32_e32 v1, s4
	s_waitcnt lgkmcnt(0)
	v_pk_fma_f32 v[4:5], v[10:11], v[6:7], v[4:5] op_sel_hi:[0,1,1]
	v_addc_co_u32_e32 v13, vcc, v1, v13, vcc
	v_div_scale_f32 v1, s[24:25], v3, v3, v5
	v_rcp_f32_e32 v2, v1
	v_fma_f32 v6, -v1, v2, 1.0
	v_fmac_f32_e32 v2, v6, v2
	v_div_scale_f32 v6, vcc, v5, v3, v5
	v_mul_f32_e32 v7, v6, v2
	v_fma_f32 v8, -v1, v7, v6
	v_fmac_f32_e32 v7, v8, v2
	v_fma_f32 v1, -v1, v7, v6
	v_div_fmas_f32 v1, v1, v2, v7
	v_div_fixup_f32 v5, v1, v3, v5
	v_div_scale_f32 v1, s[24:25], v3, v3, v4
	v_rcp_f32_e32 v2, v1
	v_fma_f32 v6, -v1, v2, 1.0
	v_fmac_f32_e32 v2, v6, v2
	v_div_scale_f32 v6, vcc, v4, v3, v4
	v_mul_f32_e32 v7, v6, v2
	v_fma_f32 v8, -v1, v7, v6
	v_fmac_f32_e32 v7, v8, v2
	v_fma_f32 v1, -v1, v7, v6
	v_div_fmas_f32 v1, v1, v2, v7
	v_div_fixup_f32 v4, v1, v3, v4
	global_store_dwordx2 v[12:13], v[4:5], off offset:384
	s_branch .LBB19_14
.LBB19_250:
	v_readlane_b32 s20, v214, 37
	v_readlane_b32 s69, v214, 33
	;; [unrolled: 1-line block ×10, first 2 shown]
	s_andn2_b64 vcc, exec, s[8:9]
	s_cbranch_vccnz .LBB19_12
.LBB19_251:
	v_readlane_b32 s10, v214, 7
	s_abs_i32 s4, s10
	v_cvt_f32_u32_e32 v1, s4
	s_sub_i32 s7, 0, s4
	s_abs_i32 s6, s90
	s_xor_b32 s5, s90, s10
	v_rcp_iflag_f32_e32 v1, v1
	s_ashr_i32 s5, s5, 31
	v_readlane_b32 s14, v214, 6
	v_readlane_b32 s11, v214, 3
	v_mul_f32_e32 v1, 0x4f7ffffe, v1
	v_cvt_u32_f32_e32 v1, v1
	v_readfirstlane_b32 s8, v1
	s_mul_i32 s7, s7, s8
	s_mul_hi_u32 s7, s8, s7
	s_add_i32 s8, s8, s7
	s_mul_hi_u32 s7, s6, s8
	s_mul_i32 s8, s7, s4
	s_sub_i32 s6, s6, s8
	s_add_i32 s9, s7, 1
	s_sub_i32 s8, s6, s4
	s_cmp_ge_u32 s6, s4
	s_cselect_b32 s7, s9, s7
	s_cselect_b32 s6, s8, s6
	s_add_i32 s8, s7, 1
	s_cmp_ge_u32 s6, s4
	s_cselect_b32 s4, s8, s7
	s_abs_i32 s6, s14
	v_cvt_f32_u32_e32 v1, s6
	s_xor_b32 s4, s4, s5
	s_sub_i32 s7, 0, s6
	s_sub_i32 s12, s4, s5
	v_rcp_iflag_f32_e32 v1, v1
	s_mul_i32 s4, s12, s10
	s_sub_i32 s4, s90, s4
	s_abs_i32 s8, s4
	v_mul_f32_e32 v1, 0x4f7ffffe, v1
	v_cvt_u32_f32_e32 v1, v1
	s_xor_b32 s5, s4, s14
	s_ashr_i32 s5, s5, 31
	v_readfirstlane_b32 s9, v1
	s_mul_i32 s7, s7, s9
	s_mul_hi_u32 s7, s9, s7
	s_add_i32 s9, s9, s7
	s_mul_hi_u32 s7, s8, s9
	s_mul_i32 s9, s7, s6
	s_sub_i32 s8, s8, s9
	s_add_i32 s10, s7, 1
	s_sub_i32 s9, s8, s6
	s_cmp_ge_u32 s8, s6
	s_cselect_b32 s7, s10, s7
	s_cselect_b32 s8, s9, s8
	s_add_i32 s9, s7, 1
	s_cmp_ge_u32 s8, s6
	s_cselect_b32 s6, s9, s7
	s_abs_i32 s7, s11
	v_cvt_f32_u32_e32 v1, s7
	s_xor_b32 s6, s6, s5
	s_sub_i32 s8, 0, s7
	s_sub_i32 s13, s6, s5
	v_rcp_iflag_f32_e32 v1, v1
	s_mul_i32 s5, s13, s14
	s_sub_i32 s5, s4, s5
	s_abs_i32 s6, s5
	v_mul_f32_e32 v1, 0x4f7ffffe, v1
	v_cvt_u32_f32_e32 v1, v1
	s_xor_b32 s4, s5, s11
	s_ashr_i32 s4, s4, 31
	v_readfirstlane_b32 s9, v1
	s_mul_i32 s8, s8, s9
	s_mul_hi_u32 s8, s9, s8
	s_add_i32 s9, s9, s8
	s_mul_hi_u32 s8, s6, s9
	s_mul_i32 s9, s8, s7
	s_sub_i32 s6, s6, s9
	s_add_i32 s10, s8, 1
	s_sub_i32 s9, s6, s7
	s_cmp_ge_u32 s6, s7
	s_cselect_b32 s8, s10, s8
	s_cselect_b32 s6, s9, s6
	s_add_i32 s9, s8, 1
	s_cmp_ge_u32 s6, s7
	s_cselect_b32 s6, s9, s8
	s_xor_b32 s6, s6, s4
	s_sub_i32 s4, s6, s4
	s_mul_i32 s6, s4, s11
	s_sub_i32 s5, s5, s6
	s_abs_i32 s16, s5
	s_ashr_i32 s14, s12, 31
	s_mul_hi_u32 s15, s16, s33
	s_cmp_eq_u64 s[54:55], 0
	s_mov_b64 s[8:9], 0
	s_cbranch_scc1 .LBB19_253
; %bb.252:
	s_abs_i32 s6, s24
	v_cvt_f32_u32_e32 v1, s6
	s_sub_i32 s8, 0, s6
	s_abs_i32 s7, s12
	v_readlane_b32 s10, v214, 17
	v_rcp_iflag_f32_e32 v1, v1
	v_readlane_b32 s11, v214, 18
	v_mul_f32_e32 v1, 0x4f7ffffe, v1
	v_cvt_u32_f32_e32 v1, v1
	v_readfirstlane_b32 s9, v1
	s_mul_i32 s8, s8, s9
	s_mul_hi_u32 s8, s9, s8
	s_add_i32 s9, s9, s8
	s_mul_hi_u32 s8, s7, s9
	s_mul_i32 s8, s8, s6
	s_sub_i32 s7, s7, s8
	s_sub_i32 s8, s7, s6
	s_cmp_ge_u32 s7, s6
	s_cselect_b32 s7, s8, s7
	s_sub_i32 s8, s7, s6
	s_cmp_ge_u32 s7, s6
	s_cselect_b32 s6, s8, s7
	s_xor_b32 s6, s6, s14
	s_sub_i32 s6, s6, s14
	s_ashr_i32 s7, s6, 31
	s_mul_i32 s8, s6, s11
	s_mul_hi_u32 s9, s6, s10
	s_add_i32 s8, s9, s8
	s_mul_i32 s7, s7, s10
	s_add_i32 s7, s8, s7
	s_mul_i32 s6, s6, s10
	s_add_u32 s8, s54, s6
	s_addc_u32 s9, s55, s7
.LBB19_253:
	s_ashr_i32 s18, s5, 31
	v_readlane_b32 s5, v214, 2
	s_mul_i32 s17, s13, s5
	s_add_i32 s17, s17, s4
	v_cmp_le_f32_e64 s[4:5], s21, 0
	s_and_b64 vcc, exec, s[4:5]
	v_mov_b32_e32 v16, 1.0
	s_cbranch_vccnz .LBB19_255
; %bb.254:
	v_readlane_b32 s5, v214, 14
	s_sub_i32 s4, s17, s5
	s_lshl_b32 s4, s4, 1
	s_add_i32 s6, s17, 1
	s_or_b32 s7, s4, 1
	s_cmp_lt_u32 s17, s5
	s_cselect_b64 vcc, -1, 0
	s_and_b64 s[4:5], vcc, exec
	v_mov_b32_e32 v1, s23
	v_mov_b32_e32 v2, s22
	s_cselect_b32 s4, s6, s7
	v_cndmask_b32_e32 v18, v1, v2, vcc
	v_cvt_f32_i32_e32 v1, s4
	v_cmp_neq_f32_e32 vcc, 1.0, v18
	s_mov_b32 s4, 0x3f2aaaab
	s_movk_i32 s6, 0x204
	v_cndmask_b32_e32 v19, 1.0, v1, vcc
	v_cmp_eq_f32_e32 vcc, 0, v19
	v_cndmask_b32_e64 v20, |v18|, 1.0, vcc
	v_frexp_mant_f32_e32 v1, v20
	v_cmp_gt_f32_e64 s[4:5], s4, v1
	v_cndmask_b32_e64 v2, 1.0, 2.0, s[4:5]
	v_mul_f32_e32 v1, v1, v2
	v_add_f32_e32 v2, 1.0, v1
	v_rcp_f32_e32 v10, v2
	v_add_f32_e32 v3, -1.0, v2
	v_sub_f32_e32 v5, v1, v3
	v_add_f32_e32 v3, -1.0, v1
	v_mul_f32_e32 v1, v3, v10
	v_mul_f32_e32 v4, v2, v1
	v_fma_f32 v6, v1, v2, -v4
	v_fmac_f32_e32 v6, v1, v5
	v_add_f32_e32 v2, v4, v6
	v_sub_f32_e32 v5, v3, v2
	v_pk_add_f32 v[8:9], v[2:3], v[4:5] neg_lo:[0,1] neg_hi:[0,1]
	v_mov_b32_e32 v7, v2
	v_pk_add_f32 v[2:3], v[8:9], v[6:7] neg_lo:[0,1] neg_hi:[0,1]
	v_add_f32_e32 v2, v2, v3
	v_add_f32_e32 v2, v5, v2
	v_mul_f32_e32 v3, v10, v2
	v_add_f32_e32 v2, v1, v3
	v_sub_f32_e32 v1, v2, v1
	v_sub_f32_e32 v1, v3, v1
	v_mul_f32_e32 v3, v2, v2
	v_fma_f32 v5, v2, v2, -v3
	v_add_f32_e32 v4, v1, v1
	v_fmac_f32_e32 v5, v2, v4
	v_add_f32_e32 v4, v3, v5
	v_mov_b32_e32 v6, 0x3e91f4c4
	v_fmac_f32_e32 v6, 0x3e76c4e1, v4
	v_mov_b32_e32 v7, 0x3ecccdef
	v_fmac_f32_e32 v7, v4, v6
	v_sub_f32_e32 v3, v4, v3
	v_sub_f32_e32 v12, v5, v3
	v_mul_f32_e32 v3, v4, v7
	v_fma_f32 v5, v4, v7, -v3
	v_fmac_f32_e32 v5, v12, v7
	v_add_f32_e32 v6, v3, v5
	v_add_f32_e32 v7, 0x3f2aaaaa, v6
	v_sub_f32_e32 v3, v6, v3
	v_sub_f32_e32 v3, v5, v3
	v_add_f32_e32 v5, 0xbf2aaaaa, v7
	v_add_f32_e32 v3, 0x31739010, v3
	v_sub_f32_e32 v5, v6, v5
	v_pk_mul_f32 v[8:9], v[2:3], v[4:5]
	v_fma_f32 v6, v4, v2, -v8
	v_pk_add_f32 v[10:11], v[2:3], v[4:5]
	v_fmac_f32_e32 v6, v4, v1
	v_mov_b32_e32 v9, v11
	v_fmac_f32_e32 v6, v12, v2
	v_pk_add_f32 v[4:5], v[8:9], v[6:7]
	v_sub_f32_e32 v3, v4, v8
	v_sub_f32_e32 v3, v6, v3
	;; [unrolled: 1-line block ×3, first 2 shown]
	v_add_f32_e32 v9, v11, v6
	v_mov_b32_e32 v6, v5
	v_pk_mul_f32 v[6:7], v[4:5], v[6:7]
	v_cvt_f64_f32_e32 v[10:11], v20
	v_frexp_exp_i32_f64_e32 v7, v[10:11]
	v_subbrev_co_u32_e64 v7, s[4:5], 0, v7, s[4:5]
	v_cvt_f32_i32_e32 v7, v7
	v_fma_f32 v8, v4, v5, -v6
	v_fmac_f32_e32 v8, v4, v9
	s_mov_b32 s4, 0x3f317218
	v_mul_f32_e32 v4, 0x3f317218, v7
	v_fmac_f32_e32 v8, v3, v5
	v_fma_f32 v10, v7, s4, -v4
	v_fmac_f32_e32 v10, 0xb102e308, v7
	v_ldexp_f32 v11, v2, 1
	v_add_f32_e32 v5, v6, v8
	v_pk_add_f32 v[2:3], v[4:5], v[10:11]
	v_mov_b32_e32 v12, v5
	v_mov_b32_e32 v13, v3
	;; [unrolled: 1-line block ×3, first 2 shown]
	v_pk_add_f32 v[6:7], v[12:13], v[6:7] neg_lo:[0,1] neg_hi:[0,1]
	v_mov_b32_e32 v9, v5
	v_ldexp_f32 v1, v1, 1
	v_pk_add_f32 v[6:7], v[8:9], v[6:7] neg_lo:[0,1] neg_hi:[0,1]
	v_add_f32_e32 v1, v1, v6
	v_add_f32_e32 v5, v1, v7
	v_pk_add_f32 v[6:7], v[2:3], v[4:5] neg_lo:[0,1] neg_hi:[0,1]
	v_pk_add_f32 v[8:9], v[2:3], v[4:5]
	v_mov_b32_e32 v12, v6
	v_mov_b32_e32 v13, v9
	;; [unrolled: 1-line block ×3, first 2 shown]
	v_pk_add_f32 v[12:13], v[10:11], v[12:13]
	v_mov_b32_e32 v4, v13
	v_pk_add_f32 v[14:15], v[4:5], v[2:3] neg_lo:[0,1] neg_hi:[0,1]
	v_mov_b32_e32 v1, v14
	v_mov_b32_e32 v12, v9
	;; [unrolled: 1-line block ×4, first 2 shown]
	v_pk_add_f32 v[6:7], v[10:11], v[6:7] neg_lo:[0,1] neg_hi:[0,1]
	v_pk_add_f32 v[16:17], v[8:9], v[0:1] neg_lo:[0,1] neg_hi:[0,1]
	;; [unrolled: 1-line block ×3, first 2 shown]
	v_mov_b32_e32 v10, v5
	v_pk_add_f32 v[2:3], v[10:11], v[2:3] neg_lo:[0,1] neg_hi:[0,1]
	v_mov_b32_e32 v16, v6
	v_pk_add_f32 v[8:9], v[16:17], v[2:3]
	v_mov_b32_e32 v10, v9
	v_pk_add_f32 v[10:11], v[8:9], v[10:11]
	v_pk_add_f32 v[4:5], v[4:5], v[10:11]
	v_mov_b32_e32 v7, v13
	v_mov_b32_e32 v9, v4
	v_pk_add_f32 v[12:13], v[8:9], v[6:7] neg_lo:[0,1] neg_hi:[0,1]
	v_mov_b32_e32 v3, v10
	v_sub_f32_e32 v1, v8, v12
	v_pk_add_f32 v[2:3], v[2:3], v[12:13] neg_lo:[0,1] neg_hi:[0,1]
	v_sub_f32_e32 v1, v6, v1
	v_add_f32_e32 v1, v2, v1
	v_add_f32_e32 v1, v1, v3
	;; [unrolled: 1-line block ×3, first 2 shown]
	v_sub_f32_e32 v3, v2, v4
	v_sub_f32_e32 v1, v1, v3
	v_mul_f32_e32 v3, v19, v2
	v_fma_f32 v2, v19, v2, -v3
	v_fmac_f32_e32 v2, v19, v1
	v_add_f32_e32 v1, v3, v2
	v_cmp_class_f32_e64 s[4:5], v3, s6
	v_sub_f32_e32 v4, v1, v3
	v_cndmask_b32_e64 v1, v1, v3, s[4:5]
	s_mov_b32 s10, 0x42b17218
	v_mov_b32_e32 v3, 0x37000000
	v_cmp_eq_f32_e64 s[4:5], s10, v1
	v_cndmask_b32_e64 v3, 0, v3, s[4:5]
	v_sub_f32_e32 v2, v2, v4
	v_sub_f32_e32 v4, v1, v3
	s_mov_b32 s4, 0x3fb8aa3b
	v_mul_f32_e32 v5, 0x3fb8aa3b, v4
	v_fma_f32 v6, v4, s4, -v5
	v_rndne_f32_e32 v7, v5
	v_fmac_f32_e32 v6, 0x32a5705f, v4
	v_sub_f32_e32 v5, v5, v7
	v_add_f32_e32 v5, v5, v6
	v_exp_f32_e32 v5, v5
	v_cvt_i32_f32_e32 v6, v7
	s_mov_b32 s7, 0x7f800000
	v_cmp_neq_f32_e64 s[4:5], |v1|, s7
	v_cndmask_b32_e64 v1, 0, v2, s[4:5]
	s_mov_b32 s4, 0xc2ce8ed0
	v_ldexp_f32 v2, v5, v6
	v_cmp_ngt_f32_e64 s[4:5], s4, v4
	v_add_f32_e32 v1, v3, v1
	v_cndmask_b32_e64 v2, 0, v2, s[4:5]
	v_mov_b32_e32 v3, 0x7f800000
	v_cmp_nlt_f32_e64 s[4:5], s10, v4
	v_cndmask_b32_e64 v2, v3, v2, s[4:5]
	v_fma_f32 v1, v2, v1, v2
	v_cmp_class_f32_e64 s[4:5], v2, s6
	v_trunc_f32_e32 v4, v19
	v_cndmask_b32_e64 v1, v1, v2, s[4:5]
	v_cndmask_b32_e64 v2, v18, 1.0, vcc
	v_cmp_eq_f32_e32 vcc, v4, v19
	v_mul_f32_e32 v4, 0.5, v19
	v_trunc_f32_e32 v6, v4
	v_cmp_neq_f32_e64 s[4:5], v6, v4
	s_and_b64 s[4:5], vcc, s[4:5]
	v_cndmask_b32_e64 v4, 1.0, v2, s[4:5]
	s_brev_b32 s19, -2
	v_mov_b32_e32 v5, 0x7fc00000
	v_bfi_b32 v1, s19, v1, v4
	v_cndmask_b32_e32 v4, v5, v1, vcc
	v_cmp_gt_f32_e32 vcc, 0, v2
	v_cndmask_b32_e32 v1, v1, v4, vcc
	v_cmp_eq_f32_e32 vcc, s7, v20
	v_cmp_eq_f32_e64 s[6:7], 0, v2
	v_cmp_gt_f32_e64 s[10:11], 0, v19
	s_xor_b64 s[10:11], s[10:11], s[6:7]
	v_cndmask_b32_e64 v3, v3, 0, s[10:11]
	v_cndmask_b32_e64 v4, 0, v2, s[4:5]
	v_bfi_b32 v3, s19, v3, v4
	s_or_b64 vcc, vcc, s[6:7]
	v_cndmask_b32_e32 v1, v1, v3, vcc
	v_cmp_o_f32_e32 vcc, v2, v2
	v_cndmask_b32_e32 v16, v5, v1, vcc
.LBB19_255:
	s_mul_i32 s5, s15, s97
	v_readlane_b32 s4, v214, 25
	s_sub_i32 s5, s16, s5
	s_xor_b32 s4, s18, s4
	s_add_i32 s6, s15, 1
	s_sub_i32 s7, s5, s97
	s_cmp_ge_u32 s5, s97
	s_cselect_b32 s6, s6, s15
	s_cselect_b32 s5, s7, s5
	s_add_i32 s7, s6, 1
	s_cmp_ge_u32 s5, s97
	s_cselect_b32 s5, s7, s6
	s_xor_b32 s5, s5, s4
	s_sub_i32 s4, s5, s4
	s_cmp_eq_u64 s[58:59], 0
	v_mov_b32_e32 v12, s68
	s_cbranch_scc1 .LBB19_257
; %bb.256:
	v_readlane_b32 s5, v214, 0
	s_mul_i32 s5, s12, s5
	s_add_i32 s6, s4, s5
	s_ashr_i32 s7, s6, 31
	s_lshl_b64 s[6:7], s[6:7], 2
	s_add_u32 s6, s58, s6
	s_addc_u32 s7, s59, s7
	v_mov_b32_e32 v1, 0
	global_load_dword v1, v1, s[6:7]
	s_waitcnt vmcnt(0)
	v_ashrrev_i32_e32 v2, 31, v1
	v_lshrrev_b32_e32 v2, 26, v2
	v_add_u32_e32 v1, v1, v2
	v_ashrrev_i32_e32 v1, 6, v1
	v_min_i32_e32 v12, s68, v1
.LBB19_257:
	v_readlane_b32 s10, v214, 8
	v_readlane_b32 s11, v214, 9
	s_mul_i32 s5, s12, s11
	s_ashr_i32 s6, s5, 31
	s_add_u32 s5, s48, s5
	s_mul_i32 s17, s17, s10
	s_addc_u32 s6, s49, s6
	s_ashr_i32 s7, s17, 31
	v_and_b32_e32 v29, 0x3ff, v0
	s_add_u32 s10, s5, s17
	v_lshrrev_b32_e32 v59, 5, v29
	s_addc_u32 s11, s6, s7
	s_lshl_b32 s37, s4, 4
	v_add_u32_e32 v0, v59, v67
	v_add_u32_e32 v1, s37, v0
	v_and_b32_e32 v28, 31, v29
	v_cmp_le_i32_e32 vcc, s64, v1
	s_and_saveexec_b64 s[4:5], vcc
	s_xor_b64 s[4:5], exec, s[4:5]
	s_cbranch_execz .LBB19_259
; %bb.258:
	v_mad_u32_u24 v1, v0, 60, v28
	v_lshl_add_u32 v1, v1, 2, 0
	v_mov_b32_e32 v2, 0
	ds_write_b32 v1, v2
                                        ; implicit-def: $vgpr1
.LBB19_259:
	s_andn2_saveexec_b64 s[4:5], s[4:5]
	s_cbranch_execz .LBB19_261
; %bb.260:
	v_mad_u64_u32 v[2:3], s[6:7], v1, s82, v[28:29]
	v_ashrrev_i32_e32 v3, 31, v2
	v_lshlrev_b64 v[2:3], 3, v[2:3]
	v_mov_b32_e32 v1, s11
	v_add_co_u32_e32 v2, vcc, s10, v2
	v_addc_co_u32_e32 v3, vcc, v1, v3, vcc
	global_load_dwordx2 v[2:3], v[2:3], off
	s_waitcnt vmcnt(0)
	v_cvt_f16_f32_e32 v1, v2
	v_cvt_f16_f32_e32 v2, v3
	v_mad_u32_u24 v3, v0, 60, v28
	v_pack_b32_f16 v1, v1, v2
	v_pk_mul_f16 v1, v51, v1
	v_lshl_add_u32 v2, v3, 2, 0
	ds_write_b32 v2, v1
.LBB19_261:
	s_or_b64 exec, exec, s[4:5]
	v_add_u32_e32 v0, 8, v0
	v_add_u32_e32 v1, s37, v0
	v_cmp_le_i32_e32 vcc, s64, v1
	s_and_saveexec_b64 s[4:5], vcc
	s_xor_b64 s[4:5], exec, s[4:5]
	s_cbranch_execz .LBB19_263
; %bb.262:
	v_mad_u32_u24 v0, v0, 60, v28
	v_lshl_add_u32 v0, v0, 2, 0
	v_mov_b32_e32 v1, 0
	ds_write_b32 v0, v1
                                        ; implicit-def: $vgpr1
                                        ; implicit-def: $vgpr0
.LBB19_263:
	s_andn2_saveexec_b64 s[4:5], s[4:5]
	s_cbranch_execz .LBB19_265
; %bb.264:
	v_mad_u64_u32 v[2:3], s[6:7], v1, s82, v[28:29]
	v_ashrrev_i32_e32 v3, 31, v2
	v_lshlrev_b64 v[2:3], 3, v[2:3]
	v_mov_b32_e32 v1, s11
	v_add_co_u32_e32 v2, vcc, s10, v2
	v_addc_co_u32_e32 v3, vcc, v1, v3, vcc
	global_load_dwordx2 v[2:3], v[2:3], off
	v_mad_u32_u24 v0, v0, 60, v28
	v_lshl_add_u32 v0, v0, 2, 0
	s_waitcnt vmcnt(0)
	v_cvt_f16_f32_e32 v1, v2
	v_cvt_f16_f32_e32 v2, v3
	v_pack_b32_f16 v1, v1, v2
	v_pk_mul_f16 v1, v51, v1
	ds_write_b32 v0, v1
.LBB19_265:
	s_or_b64 exec, exec, s[4:5]
	v_lshrrev_b32_e32 v58, 4, v29
	v_add_u32_e32 v0, v73, v58
	v_add_u32_e32 v1, s37, v0
	v_cmp_le_i32_e32 vcc, s64, v1
	v_and_b32_e32 v56, 15, v29
	s_and_saveexec_b64 s[4:5], vcc
	s_xor_b64 s[4:5], exec, s[4:5]
	s_cbranch_execz .LBB19_267
; %bb.266:
	v_mad_u32_u24 v0, v0, 60, v56
	v_lshl_add_u32 v0, v0, 2, 0
	v_mov_b32_e32 v1, 0
	ds_write_b32 v0, v1 offset:128
                                        ; implicit-def: $vgpr1
                                        ; implicit-def: $vgpr0
.LBB19_267:
	s_andn2_saveexec_b64 s[4:5], s[4:5]
	s_cbranch_execz .LBB19_269
; %bb.268:
	v_mul_lo_u32 v1, v1, s82
	v_ashrrev_i32_e32 v3, 31, v1
	v_add_co_u32_e32 v2, vcc, v1, v56
	v_addc_co_u32_e32 v3, vcc, 0, v3, vcc
	v_lshlrev_b64 v[2:3], 3, v[2:3]
	v_mov_b32_e32 v1, s11
	v_add_co_u32_e32 v2, vcc, s10, v2
	v_addc_co_u32_e32 v3, vcc, v1, v3, vcc
	global_load_dwordx2 v[2:3], v[2:3], off offset:256
	v_mad_u32_u24 v0, v0, 60, v56
	v_lshl_add_u32 v0, v0, 2, 0
	s_waitcnt vmcnt(0)
	v_cvt_f16_f32_e32 v1, v2
	v_cvt_f16_f32_e32 v2, v3
	v_pack_b32_f16 v1, v1, v2
	v_pk_mul_f16 v1, v51, v1
	ds_write_b32 v0, v1 offset:128
.LBB19_269:
	s_or_b64 exec, exec, s[4:5]
	v_lshrrev_b32_e32 v57, 3, v29
	v_lshl_add_u32 v65, v69, 3, v57
	v_cmp_gt_u32_e32 vcc, 16, v65
	s_and_saveexec_b64 s[4:5], vcc
	s_cbranch_execz .LBB19_274
; %bb.270:
	v_or_b32_e32 v0, s37, v65
	v_cmp_le_i32_e32 vcc, s64, v0
	s_and_saveexec_b64 s[6:7], vcc
	s_xor_b64 s[6:7], exec, s[6:7]
	s_cbranch_execz .LBB19_272
; %bb.271:
	v_and_b32_e32 v0, 7, v29
	v_mad_u32_u24 v0, v65, 60, v0
	v_lshl_add_u32 v0, v0, 2, 0
	v_mov_b32_e32 v1, 0
	ds_write_b32 v0, v1 offset:192
                                        ; implicit-def: $vgpr0
                                        ; implicit-def: $vgpr51
.LBB19_272:
	s_andn2_saveexec_b64 s[6:7], s[6:7]
	s_cbranch_execz .LBB19_274
; %bb.273:
	v_mul_lo_u32 v0, v0, s82
	v_and_b32_e32 v2, 7, v29
	v_ashrrev_i32_e32 v1, 31, v0
	v_add_co_u32_e32 v0, vcc, v0, v2
	v_addc_co_u32_e32 v1, vcc, 0, v1, vcc
	v_lshlrev_b64 v[0:1], 3, v[0:1]
	v_mov_b32_e32 v3, s11
	v_add_co_u32_e32 v0, vcc, s10, v0
	v_addc_co_u32_e32 v1, vcc, v3, v1, vcc
	global_load_dwordx2 v[0:1], v[0:1], off offset:384
	v_mad_u32_u24 v2, v65, 60, v2
	s_waitcnt vmcnt(0)
	v_cvt_f16_f32_e32 v0, v0
	v_cvt_f16_f32_e32 v1, v1
	v_pack_b32_f16 v0, v0, v1
	v_pk_mul_f16 v0, v51, v0
	v_lshl_add_u32 v1, v2, 2, 0
	ds_write_b32 v1, v0 offset:192
.LBB19_274:
	s_or_b64 exec, exec, s[4:5]
	v_readlane_b32 s6, v214, 15
	v_readlane_b32 s7, v214, 16
	s_mul_i32 s4, s12, s7
	s_mul_hi_u32 s5, s12, s6
	s_add_i32 s4, s5, s4
	s_mul_i32 s5, s14, s6
	v_readlane_b32 s16, v214, 21
	s_add_i32 s4, s4, s5
	s_mul_i32 s5, s12, s6
	v_readlane_b32 s19, v214, 24
	s_add_u32 s5, s52, s5
	s_mul_i32 s6, s13, s19
	s_addc_u32 s4, s53, s4
	s_ashr_i32 s7, s6, 31
	v_readlane_b32 s17, v214, 22
	s_add_u32 s33, s5, s6
	s_addc_u32 s36, s4, s7
	s_mul_i32 s4, s12, s17
	s_mul_hi_u32 s5, s12, s16
	s_add_i32 s4, s5, s4
	s_mul_i32 s14, s14, s16
	s_add_i32 s4, s4, s14
	v_and_b32_e32 v13, 0xff0, v73
	s_movk_i32 s14, 0xf0
	v_and_b32_e32 v60, 0x7e, v57
	v_mad_u32_u24 v0, v13, s14, 0
	v_mul_u32_u24_e32 v85, 0xf0, v56
	v_lshlrev_b32_e32 v86, 2, v60
	v_add3_u32 v14, v0, v85, v86
	s_waitcnt lgkmcnt(0)
	s_barrier
	ds_read2_b64 v[8:11], v14 offset1:4
	ds_read2_b64 v[4:7], v14 offset0:8 offset1:12
	ds_read2_b64 v[0:3], v14 offset0:16 offset1:20
	ds_read_b64 v[20:21], v14 offset:192
	v_readlane_b32 s6, v214, 19
	s_mul_i32 s12, s12, s16
	v_readlane_b32 s7, v214, 20
	s_add_u32 s5, s50, s12
	s_mul_i32 s13, s13, s7
	s_addc_u32 s4, s51, s4
	s_ashr_i32 s6, s13, 31
	v_add_u32_e32 v90, -1, v12
	s_add_u32 s38, s5, s13
	v_cmp_ge_i32_e32 vcc, s40, v90
	v_mul_lo_u32 v24, s78, v65
	v_mul_lo_u32 v18, s66, v65
	s_addc_u32 s39, s4, s6
	s_mov_b32 s41, 0
	s_and_b64 vcc, exec, vcc
	v_mov_b32_e32 v63, 0
	v_or_b32_e32 v68, v13, v56
	v_lshlrev_b32_e32 v89, 1, v29
	v_mbcnt_lo_u32_b32 v64, -1, 0
	v_lshrrev_b32_e32 v88, 1, v29
	v_lshrrev_b32_e32 v62, 2, v29
	v_ashrrev_i32_e32 v25, 31, v24
	v_add_u32_e32 v61, 32, v65
	v_lshl_add_u32 v22, s78, 5, v24
	v_ashrrev_i32_e32 v19, 31, v18
	v_lshlrev_b32_e32 v27, 1, v56
	v_readlane_b32 s18, v214, 23
	s_waitcnt lgkmcnt(0)
	s_barrier
	s_cbranch_vccnz .LBB19_288
; %bb.275:
	v_add_u32_e32 v17, s37, v69
	v_mov_b32_e32 v12, s9
	v_add_co_u32_e32 v92, vcc, s8, v89
	v_readlane_b32 s10, v214, 10
	v_add_u32_e32 v23, 8, v17
	v_addc_co_u32_e32 v93, vcc, 0, v12, vcc
	v_mul_hi_u32 v12, s10, v17
	v_mul_hi_u32 v26, s10, v23
	v_readlane_b32 s11, v214, 11
	v_add_u32_e32 v12, v17, v12
	v_add_u32_e32 v26, v23, v26
	v_lshrrev_b32_e32 v12, s11, v12
	v_lshrrev_b32_e32 v26, s11, v26
	v_mul_lo_u32 v12, v12, s64
	v_mul_u32_u24_e32 v14, 0x90, v69
	v_mul_lo_u32 v26, v26, s64
	v_sub_u32_e32 v12, v17, v12
	v_add3_u32 v94, 0, v14, v89
	v_add_u32_e32 v14, 4, v17
	v_sub_u32_e32 v23, v23, v26
	v_add_u32_e32 v17, 12, v17
	v_mad_i64_i32 v[36:37], s[6:7], v23, s72, 0
	v_mul_hi_u32 v23, s10, v17
	v_add_u32_e32 v23, v17, v23
	v_lshrrev_b32_e32 v23, s11, v23
	v_mul_lo_u32 v23, v23, s64
	v_sub_u32_e32 v17, v17, v23
	v_mad_i64_i32 v[38:39], s[6:7], v17, s72, 0
	v_mbcnt_hi_u32_b32 v17, -1, v64
	v_and_b32_e32 v23, 64, v17
	v_add_u32_e32 v23, 64, v23
	v_xor_b32_e32 v26, 32, v17
	v_mul_hi_u32 v15, s10, v14
	v_cmp_lt_i32_e32 vcc, v26, v23
	v_add_u32_e32 v15, v14, v15
	v_cndmask_b32_e32 v26, v17, v26, vcc
	v_lshrrev_b32_e32 v15, s11, v15
	v_lshlrev_b32_e32 v98, 2, v26
	v_xor_b32_e32 v26, 16, v17
	v_and_b32_e32 v34, 48, v71
	v_and_b32_e32 v44, 0xfc, v62
	v_mul_lo_u32 v15, v15, s64
	v_cmp_lt_i32_e32 vcc, v26, v23
	v_mad_u32_u24 v35, v34, s14, 0
	v_add_u32_e32 v45, v34, v44
	v_add_u16_e32 v34, v34, v44
	v_sub_u32_e32 v14, v14, v15
	v_cndmask_b32_e32 v17, v17, v26, vcc
	v_lshlrev_b32_e32 v30, 2, v29
	v_lshrrev_b16_e32 v34, 1, v34
	v_mad_i64_i32 v[12:13], s[6:7], v12, s72, 0
	v_mad_i64_i32 v[14:15], s[6:7], v14, s72, 0
	v_lshlrev_b32_e32 v99, 2, v17
	v_lshl_add_u32 v17, v69, 5, v88
	v_and_b32_e32 v26, 4, v30
	v_mul_u32_u24_e32 v46, 0x90, v68
	v_lshlrev_b32_e32 v34, 2, v34
	v_cmp_gt_u32_e64 s[6:7], 64, v17
	v_mad_u32_u24 v23, v17, s14, 0
	v_mul_lo_u32 v40, s78, v17
	v_lshlrev_b32_e32 v31, 2, v26
	s_movk_i32 s10, 0xc0
	v_add3_u32 v52, 0, v46, v34
	v_mul_lo_u32 v48, s66, v17
	v_or_b32_e32 v17, 3, v62
	v_mul_u32_u24_e32 v34, 0x78, v44
	v_mul_u32_u24_e32 v44, 0xf0, v44
	v_add3_u32 v100, v23, v31, s10
	v_add_u32_e32 v31, v71, v62
	v_mul_u32_u24_e32 v17, 0xf0, v17
	v_add3_u32 v103, v35, v44, v27
	v_and_b32_e32 v44, 12, v30
	v_mad_u32_u24 v32, v31, s14, 0
	v_add3_u32 v104, v35, v17, v27
	s_movk_i32 s42, 0x80
	v_lshlrev_b32_e32 v17, 2, v44
	v_and_b32_e32 v46, 28, v30
	v_mul_lo_u32 v42, s78, v31
	v_mul_u32_u24_e32 v33, 0xf0, v65
	v_mul_lo_u32 v54, s66, v61
	v_mul_lo_u32 v50, s66, v31
	v_add3_u32 v111, v32, v17, s42
	v_lshlrev_b32_e32 v17, 2, v46
	s_cmp_lg_u64 s[8:9], 0
	s_mov_b64 s[28:29], src_private_base
	v_ashrrev_i32_e32 v41, 31, v40
	v_ashrrev_i32_e32 v43, 31, v42
	;; [unrolled: 1-line block ×4, first 2 shown]
	v_or_b32_e32 v34, v34, v56
	v_ashrrev_i32_e32 v55, 31, v54
	v_ashrrev_i32_e32 v51, 31, v50
	v_add3_u32 v112, 0, v33, v17
	s_cselect_b64 s[26:27], -1, 0
	v_cmp_gt_u32_e64 s[4:5], 64, v29
	v_mov_b32_e32 v91, 0
	v_add_u32_e32 v95, 0x240, v94
	v_add_u32_e32 v96, 0x480, v94
	;; [unrolled: 1-line block ×3, first 2 shown]
	s_mov_b32 s28, 0
	v_cmp_gt_u32_e64 s[24:25], 64, v31
	v_cmp_gt_u32_e64 s[10:11], 64, v65
	;; [unrolled: 1-line block ×3, first 2 shown]
	v_add3_u32 v101, v35, v85, v86
	v_cmp_gt_u32_e64 s[14:15], 64, v45
	v_cmp_gt_u32_e64 s[16:17], 63, v45
	v_cmp_gt_u32_e64 s[18:19], 62, v45
	v_cmp_gt_u32_e64 s[20:21], 61, v45
	v_lshl_add_u32 v102, v34, 1, v35
	v_add_u32_e32 v105, 32, v103
	v_add_u32_e32 v106, 64, v103
	;; [unrolled: 1-line block ×7, first 2 shown]
	v_mov_b32_e32 v30, v16
	v_mov_b32_e32 v31, v16
	s_lshl_b32 s30, s40, 6
	v_mov_b32_e32 v87, 0xfeffffff
	v_lshlrev_b64 v[32:33], 1, v[12:13]
	v_lshlrev_b64 v[34:35], 1, v[14:15]
	v_lshlrev_b64 v[36:37], 1, v[36:37]
	v_lshlrev_b64 v[38:39], 1, v[38:39]
	v_lshlrev_b64 v[40:41], 2, v[40:41]
	v_lshlrev_b64 v[42:43], 2, v[42:43]
	v_lshlrev_b32_e32 v114, 2, v44
	v_lshlrev_b64 v[44:45], 2, v[24:25]
	v_lshlrev_b32_e32 v115, 2, v46
	v_lshlrev_b64 v[46:47], 2, v[22:23]
	v_add_u32_e32 v23, 0x3c00, v52
	v_lshlrev_b64 v[48:49], 2, v[48:49]
	s_mov_b32 s43, 0x3fb8aa3b
	s_mov_b32 s44, 0xc2ce8ed0
	;; [unrolled: 1-line block ×4, first 2 shown]
	v_lshlrev_b64 v[50:51], 2, v[50:51]
	v_lshlrev_b64 v[52:53], 2, v[18:19]
	;; [unrolled: 1-line block ×3, first 2 shown]
	s_mov_b32 s47, 0x5040100
	v_mov_b32_e32 v116, 0x7f800000
	v_mov_b32_e32 v117, 0
	;; [unrolled: 1-line block ×16, first 2 shown]
.LBB19_276:                             ; =>This Inner Loop Header: Depth=1
	v_cndmask_b32_e64 v12, 0, 1, s[26:27]
	v_cmp_ne_u32_e64 s[22:23], 1, v12
	s_andn2_b64 vcc, exec, s[26:27]
	s_ashr_i32 s31, s30, 31
	s_cbranch_vccnz .LBB19_280
; %bb.277:                              ;   in Loop: Header=BB19_276 Depth=1
	v_mov_b32_e32 v12, 0
	v_mov_b32_e32 v13, 0
	;; [unrolled: 1-line block ×4, first 2 shown]
	s_and_saveexec_b64 s[34:35], s[4:5]
	s_cbranch_execz .LBB19_279
; %bb.278:                              ;   in Loop: Header=BB19_276 Depth=1
	s_lshl_b64 s[48:49], s[30:31], 1
	v_mov_b32_e32 v12, s49
	v_add_co_u32_e32 v17, vcc, s48, v92
	v_addc_co_u32_e32 v121, vcc, v93, v12, vcc
	v_add_co_u32_e32 v12, vcc, v17, v32
	v_addc_co_u32_e32 v13, vcc, v121, v33, vcc
	;; [unrolled: 2-line block ×5, first 2 shown]
	flat_load_ushort v12, v[12:13]
	s_nop 0
	flat_load_ushort v13, v[14:15]
	s_nop 0
	flat_load_ushort v14, v[118:119]
	flat_load_ushort v15, v[120:121]
.LBB19_279:                             ;   in Loop: Header=BB19_276 Depth=1
	s_or_b64 exec, exec, s[34:35]
	s_waitcnt vmcnt(0) lgkmcnt(0)
	ds_write_b16 v94, v12 offset:15360
	ds_write_b16 v95, v13 offset:15360
	;; [unrolled: 1-line block ×4, first 2 shown]
.LBB19_280:                             ;   in Loop: Header=BB19_276 Depth=1
	s_mul_hi_i32 s35, s30, s78
	s_mul_i32 s34, s30, s78
	s_lshl_b64 s[34:35], s[34:35], 2
	s_add_u32 s31, s38, s34
	s_addc_u32 s48, s39, s35
	buffer_store_dword v91, off, s[0:3], 0
	buffer_store_dword v91, off, s[0:3], 0 offset:4
	buffer_store_dword v91, off, s[0:3], 0 offset:8
	;; [unrolled: 1-line block ×3, first 2 shown]
	s_and_saveexec_b64 s[34:35], s[6:7]
	s_cbranch_execz .LBB19_282
; %bb.281:                              ;   in Loop: Header=BB19_276 Depth=1
	v_mov_b32_e32 v12, s48
	v_add_co_u32_e32 v13, vcc, s31, v40
	v_addc_co_u32_e32 v14, vcc, v12, v41, vcc
	v_lshlrev_b32_e32 v12, 2, v26
	v_add_co_u32_e32 v12, vcc, v13, v12
	v_addc_co_u32_e32 v13, vcc, 0, v14, vcc
	global_load_dwordx4 v[12:15], v[12:13], off offset:192
	s_waitcnt vmcnt(0)
	ds_write_b128 v100, v[12:15]
.LBB19_282:                             ;   in Loop: Header=BB19_276 Depth=1
	s_or_b64 exec, exec, s[34:35]
	v_mov_b32_e32 v12, s48
	v_add_co_u32_e32 v13, vcc, s31, v42
	v_addc_co_u32_e32 v12, vcc, v12, v43, vcc
	v_add_co_u32_e32 v13, vcc, v13, v114
	v_addc_co_u32_e32 v12, vcc, 0, v12, vcc
	;; [unrolled: 2-line block ×3, first 2 shown]
	v_mov_b32_e32 v17, s29
	v_mov_b32_e32 v120, s28
	v_cndmask_b32_e64 v13, v17, v12, s[24:25]
	v_cndmask_b32_e64 v12, v120, v14, s[24:25]
	flat_load_dwordx4 v[12:15], v[12:13]
	v_mov_b32_e32 v118, s48
	v_add_co_u32_e32 v119, vcc, s31, v44
	v_addc_co_u32_e32 v118, vcc, v118, v45, vcc
	v_add_co_u32_e32 v119, vcc, v119, v115
	v_addc_co_u32_e32 v121, vcc, 0, v118, vcc
	v_cndmask_b32_e64 v118, v120, v119, s[10:11]
	v_cndmask_b32_e64 v119, v17, v121, s[10:11]
	s_waitcnt vmcnt(0) lgkmcnt(0)
	ds_write_b128 v111, v[12:15]
	flat_load_dwordx4 v[12:15], v[118:119]
	v_mov_b32_e32 v118, s48
	v_add_co_u32_e32 v119, vcc, s31, v46
	v_addc_co_u32_e32 v118, vcc, v118, v47, vcc
	v_add_co_u32_e32 v119, vcc, v119, v115
	v_addc_co_u32_e32 v121, vcc, 0, v118, vcc
	v_cndmask_b32_e64 v118, v120, v119, s[12:13]
	v_cndmask_b32_e64 v119, v17, v121, s[12:13]
	s_and_b64 vcc, exec, s[22:23]
	s_waitcnt vmcnt(0) lgkmcnt(0)
	ds_write_b128 v112, v[12:15]
	flat_load_dwordx4 v[12:15], v[118:119]
	s_waitcnt vmcnt(0) lgkmcnt(0)
	ds_write_b128 v113, v[12:15]
	s_waitcnt lgkmcnt(0)
	s_barrier
	ds_read2_b64 v[12:15], v101 offset1:4
	s_waitcnt lgkmcnt(0)
	v_mfma_f32_16x16x16f16 v[118:121], v[12:13], v[8:9], 0
	v_mfma_f32_16x16x16f16 v[12:15], v[14:15], v[10:11], v[118:121]
	s_nop 7
	s_nop 1
	ds_read2_b64 v[118:121], v101 offset0:8 offset1:12
	s_waitcnt lgkmcnt(0)
	v_mfma_f32_16x16x16f16 v[12:15], v[118:119], v[4:5], v[12:15]
	v_mfma_f32_16x16x16f16 v[12:15], v[120:121], v[6:7], v[12:15]
	ds_read2_b64 v[118:121], v101 offset0:16 offset1:20
	s_waitcnt lgkmcnt(0)
	v_mfma_f32_16x16x16f16 v[12:15], v[118:119], v[0:1], v[12:15]
	ds_read_b64 v[118:119], v101 offset:192
	s_waitcnt lgkmcnt(0)
	s_barrier
	v_mfma_f32_16x16x16f16 v[12:15], v[120:121], v[2:3], v[12:15]
	v_mfma_f32_16x16x16f16 v[12:15], v[118:119], v[20:21], v[12:15]
	s_cbranch_vccnz .LBB19_284
; %bb.283:                              ;   in Loop: Header=BB19_276 Depth=1
	ds_read2_b32 v[118:119], v23 offset1:1
	v_mov_b32_e32 v17, v16
	s_waitcnt lgkmcnt(0)
	v_cvt_f32_f16_e32 v120, v118
	v_cvt_f32_f16_e32 v122, v119
	v_cvt_f32_f16_sdwa v123, v119 dst_sel:DWORD dst_unused:UNUSED_PAD src0_sel:WORD_1
	v_cvt_f32_f16_sdwa v121, v118 dst_sel:DWORD dst_unused:UNUSED_PAD src0_sel:WORD_1
	s_nop 2
	v_pk_fma_f32 v[14:15], v[16:17], v[122:123], v[14:15]
	v_pk_fma_f32 v[12:13], v[30:31], v[120:121], v[12:13]
.LBB19_284:                             ;   in Loop: Header=BB19_276 Depth=1
	v_add_f32_e32 v17, 0x40051340, v12
	v_max_f32_e32 v118, v87, v87
	v_max_f32_e32 v17, v118, v17
	v_cndmask_b32_e64 v17, v87, v17, s[14:15]
	v_add_f32_e32 v118, 0x40051340, v13
	v_max_f32_e32 v119, v17, v17
	v_max_f32_e32 v118, v119, v118
	v_cndmask_b32_e64 v17, v17, v118, s[16:17]
	s_nop 1
	v_add_f32_e32 v118, 0x40051340, v14
	v_max_f32_e32 v119, v17, v17
	v_max_f32_e32 v118, v119, v118
	v_cndmask_b32_e64 v17, v17, v118, s[18:19]
	v_add_f32_e32 v118, 0x40051340, v15
	v_max_f32_e32 v119, v17, v17
	v_max_f32_e32 v118, v119, v118
	v_cndmask_b32_e64 v17, v17, v118, s[20:21]
	ds_bpermute_b32 v118, v98, v17
	v_max_f32_e32 v17, v17, v17
	s_mul_hi_i32 s23, s30, s66
	s_mul_i32 s22, s30, s66
	s_lshl_b64 s[22:23], s[22:23], 2
	s_waitcnt lgkmcnt(0)
	v_max_f32_e32 v118, v118, v118
	v_max_f32_e32 v17, v17, v118
	ds_bpermute_b32 v118, v99, v17
	s_add_u32 s31, s33, s22
	s_addc_u32 s34, s36, s23
	buffer_store_dword v91, off, s[0:3], 0
	buffer_store_dword v91, off, s[0:3], 0 offset:4
	buffer_store_dword v91, off, s[0:3], 0 offset:8
	;; [unrolled: 1-line block ×3, first 2 shown]
	s_and_saveexec_b64 s[22:23], s[6:7]
	s_cbranch_execz .LBB19_286
; %bb.285:                              ;   in Loop: Header=BB19_276 Depth=1
	v_mov_b32_e32 v119, s34
	v_add_co_u32_e32 v120, vcc, s31, v48
	v_addc_co_u32_e32 v119, vcc, v119, v49, vcc
	v_lshlrev_b32_e32 v121, 2, v26
	v_add_co_u32_e32 v120, vcc, v120, v121
	v_addc_co_u32_e32 v121, vcc, 0, v119, vcc
	global_load_dwordx4 v[120:123], v[120:121], off offset:192
	s_waitcnt vmcnt(0)
	ds_write_b128 v100, v[120:123]
.LBB19_286:                             ;   in Loop: Header=BB19_276 Depth=1
	s_or_b64 exec, exec, s[22:23]
	v_mov_b32_e32 v119, s34
	v_add_co_u32_e32 v120, vcc, s31, v50
	v_addc_co_u32_e32 v119, vcc, v119, v51, vcc
	v_add_co_u32_e32 v120, vcc, v120, v114
	v_addc_co_u32_e32 v119, vcc, 0, v119, vcc
	;; [unrolled: 2-line block ×3, first 2 shown]
	v_mov_b32_e32 v126, s29
	v_cndmask_b32_e64 v121, v126, v119, s[24:25]
	v_mov_b32_e32 v119, s28
	v_cndmask_b32_e64 v120, v119, v120, s[24:25]
	flat_load_dwordx4 v[120:123], v[120:121]
	v_mov_b32_e32 v124, s34
	v_add_co_u32_e32 v125, vcc, s31, v52
	v_addc_co_u32_e32 v124, vcc, v124, v53, vcc
	v_add_co_u32_e32 v125, vcc, v125, v115
	v_addc_co_u32_e32 v127, vcc, 0, v124, vcc
	v_cndmask_b32_e64 v124, v119, v125, s[10:11]
	v_cndmask_b32_e64 v125, v126, v127, s[10:11]
	;; [unrolled: 1-line block ×3, first 2 shown]
	v_mov_b32_e32 v129, s34
	v_cndmask_b32_e64 v127, v15, v15, s[16:17]
	v_mov_b32_e32 v15, s41
	s_add_i32 s40, s40, 1
	s_add_i32 s30, s30, 64
	s_waitcnt vmcnt(0) lgkmcnt(0)
	ds_write_b128 v111, v[120:123]
	flat_load_dwordx4 v[120:123], v[124:125]
	v_max_f32_e32 v124, v118, v118
	v_max_f32_e32 v125, v17, v17
	;; [unrolled: 1-line block ×3, first 2 shown]
	v_add_co_u32_e32 v124, vcc, s31, v54
	v_addc_co_u32_e32 v125, vcc, v129, v55, vcc
	v_sub_f32_e32 v129, v12, v14
	v_add_co_u32_e32 v12, vcc, v124, v115
	v_sub_f32_e32 v130, v13, v14
	v_addc_co_u32_e32 v13, vcc, 0, v125, vcc
	v_cndmask_b32_e64 v12, v119, v12, s[12:13]
	v_cndmask_b32_e64 v13, v126, v13, s[12:13]
	v_mul_f32_e32 v119, 0x3fb8aa3b, v129
	v_sub_f32_e32 v128, v128, v14
	v_mul_f32_e32 v124, 0x3fb8aa3b, v130
	v_fma_f32 v126, v129, s43, -v119
	v_rndne_f32_e32 v133, v119
	v_sub_f32_e32 v127, v127, v14
	v_mul_f32_e32 v125, 0x3fb8aa3b, v128
	v_fma_f32 v134, v130, s43, -v124
	v_rndne_f32_e32 v135, v124
	v_fmac_f32_e32 v126, 0x32a5705f, v129
	v_sub_f32_e32 v119, v119, v133
	v_sub_f32_e32 v87, v87, v14
	v_mul_f32_e32 v131, 0x3fb8aa3b, v127
	v_fma_f32 v136, v128, s43, -v125
	v_rndne_f32_e32 v137, v125
	v_fmac_f32_e32 v134, 0x32a5705f, v130
	v_sub_f32_e32 v124, v124, v135
	v_add_f32_e32 v119, v119, v126
	v_mul_f32_e32 v132, 0x3fb8aa3b, v87
	v_fma_f32 v138, v127, s43, -v131
	v_rndne_f32_e32 v139, v131
	v_cvt_i32_f32_e32 v133, v133
	v_fmac_f32_e32 v136, 0x32a5705f, v128
	v_sub_f32_e32 v125, v125, v137
	v_add_f32_e32 v124, v124, v134
	v_exp_f32_e32 v119, v119
	v_fma_f32 v140, v87, s43, -v132
	v_rndne_f32_e32 v141, v132
	v_cvt_i32_f32_e32 v135, v135
	v_fmac_f32_e32 v138, 0x32a5705f, v127
	v_add_f32_e32 v125, v125, v136
	v_exp_f32_e32 v124, v124
	v_cvt_i32_f32_e32 v137, v137
	v_fmac_f32_e32 v140, 0x32a5705f, v87
	v_exp_f32_e32 v125, v125
	v_ldexp_f32 v119, v119, v133
	v_cmp_ngt_f32_e32 vcc, s44, v129
	v_ldexp_f32 v124, v124, v135
	v_cndmask_b32_e32 v119, 0, v119, vcc
	v_cmp_ngt_f32_e32 vcc, s44, v130
	v_ldexp_f32 v125, v125, v137
	v_cndmask_b32_e32 v124, 0, v124, vcc
	v_cmp_ngt_f32_e32 vcc, s44, v128
	v_cndmask_b32_e32 v125, 0, v125, vcc
	v_cmp_ngt_f32_e32 vcc, s44, v127
	v_mov_b32_e32 v17, s41
	v_mov_b32_e32 v118, s41
	s_waitcnt vmcnt(0) lgkmcnt(0)
	ds_write_b128 v112, v[120:123]
	flat_load_dwordx4 v[120:123], v[12:13]
	v_sub_f32_e32 v12, v131, v139
	v_sub_f32_e32 v131, v132, v141
	v_add_f32_e32 v12, v12, v138
	v_cvt_i32_f32_e32 v13, v139
	v_add_f32_e32 v126, v131, v140
	v_exp_f32_e32 v12, v12
	v_cvt_i32_f32_e32 v132, v141
	v_exp_f32_e32 v126, v126
	v_ldexp_f32 v12, v12, v13
	v_cndmask_b32_e32 v12, 0, v12, vcc
	v_ldexp_f32 v13, v126, v132
	v_cmp_ngt_f32_e32 vcc, s44, v87
	v_cndmask_b32_e32 v13, 0, v13, vcc
	v_cmp_nlt_f32_e32 vcc, s45, v129
	v_cndmask_b32_e32 v119, v116, v119, vcc
	v_cmp_nlt_f32_e32 vcc, s45, v130
	;; [unrolled: 2-line block ×5, first 2 shown]
	v_cndmask_b32_e32 v13, v116, v13, vcc
	v_cmp_le_f32_e32 vcc, s46, v87
	v_cndmask_b32_e64 v12, 0, v119, s[14:15]
	v_cndmask_b32_e32 v140, 0, v13, vcc
	v_cndmask_b32_e64 v17, v17, v124, s[16:17]
	v_cndmask_b32_e64 v118, v118, v125, s[18:19]
	;; [unrolled: 1-line block ×3, first 2 shown]
	v_add_f32_e32 v15, v124, v12
	v_cvt_f16_f32_e32 v87, v140
	v_cvt_f16_f32_e32 v119, v12
	;; [unrolled: 1-line block ×5, first 2 shown]
	v_cndmask_b32_e64 v12, v12, v15, s[16:17]
	v_add_f32_e32 v15, v12, v125
	v_cndmask_b32_e64 v15, v12, v15, s[18:19]
	v_add_f32_e32 v124, v15, v126
	v_pk_mul_f16 v84, v87, v84 op_sel_hi:[0,1]
	v_pk_mul_f16 v83, v87, v83 op_sel_hi:[0,1]
	;; [unrolled: 1-line block ×14, first 2 shown]
	v_pack_b32_f16 v12, v119, v17
	v_pack_b32_f16 v13, v118, v13
	v_cndmask_b32_e64 v87, v15, v124, s[20:21]
	v_cvt_f32_f16_e32 v76, v84
	v_cvt_f32_f16_sdwa v77, v84 dst_sel:DWORD dst_unused:UNUSED_PAD src0_sel:WORD_1
	v_cvt_f32_f16_e32 v78, v83
	v_cvt_f32_f16_sdwa v79, v83 dst_sel:DWORD dst_unused:UNUSED_PAD src0_sel:WORD_1
	v_cvt_f32_f16_sdwa v119, v126 dst_sel:DWORD dst_unused:UNUSED_PAD src0_sel:WORD_1
	v_cvt_f32_f16_e32 v80, v81
	v_cvt_f32_f16_sdwa v81, v81 dst_sel:DWORD dst_unused:UNUSED_PAD src0_sel:WORD_1
	v_fmac_f32_e32 v87, v117, v140
	v_cmp_lt_i32_e32 vcc, s40, v90
	s_and_b64 vcc, exec, vcc
	s_waitcnt vmcnt(0) lgkmcnt(0)
	ds_write_b128 v113, v[120:123]
	s_waitcnt lgkmcnt(0)
	s_barrier
	ds_read_u16 v15, v102
	ds_read_u16 v17, v102 offset:32
	ds_read_u16 v84, v102 offset:64
	;; [unrolled: 1-line block ×8, first 2 shown]
	ds_read_u16 v118, v104
	ds_read_u16 v122, v104 offset:32
	ds_read_u16 v128, v104 offset:64
	;; [unrolled: 1-line block ×6, first 2 shown]
	s_waitcnt lgkmcnt(6)
	v_perm_b32 v121, v118, v83, s47
	v_perm_b32 v120, v82, v15, s47
	v_cvt_f32_f16_e32 v118, v126
	v_cvt_f32_f16_e32 v82, v125
	v_mfma_f32_16x16x16f16 v[76:79], v[120:121], v[12:13], v[76:79]
	ds_read_u16 v15, v105 offset:240
	ds_read_u16 v120, v105 offset:480
	;; [unrolled: 1-line block ×8, first 2 shown]
	v_cvt_f32_f16_sdwa v83, v125 dst_sel:DWORD dst_unused:UNUSED_PAD src0_sel:WORD_1
	s_waitcnt lgkmcnt(6)
	v_perm_b32 v125, v122, v120, s47
	v_perm_b32 v124, v15, v17, s47
	s_waitcnt lgkmcnt(4)
	v_perm_b32 v131, v128, v129, s47
	v_perm_b32 v130, v126, v84, s47
	;; [unrolled: 3-line block ×4, first 2 shown]
	v_cvt_f32_f16_e32 v120, v127
	v_cvt_f32_f16_sdwa v121, v127 dst_sel:DWORD dst_unused:UNUSED_PAD src0_sel:WORD_1
	v_cvt_f32_f16_e32 v122, v74
	v_cvt_f32_f16_sdwa v123, v74 dst_sel:DWORD dst_unused:UNUSED_PAD src0_sel:WORD_1
	v_mfma_f32_16x16x16f16 v[80:83], v[124:125], v[12:13], v[80:83]
	v_cvt_f32_f16_e32 v124, v72
	v_cvt_f32_f16_sdwa v125, v72 dst_sel:DWORD dst_unused:UNUSED_PAD src0_sel:WORD_1
	v_cvt_f32_f16_e32 v126, v70
	v_cvt_f32_f16_sdwa v127, v70 dst_sel:DWORD dst_unused:UNUSED_PAD src0_sel:WORD_1
	;; [unrolled: 2-line block ×3, first 2 shown]
	ds_read_u16 v15, v109 offset:240
	ds_read_u16 v17, v109 offset:480
	v_mfma_f32_16x16x16f16 v[118:121], v[130:131], v[12:13], v[118:121]
	ds_read_u16 v66, v110 offset:240
	ds_read_u16 v70, v110 offset:480
	v_cvt_f32_f16_e32 v130, v132
	v_cvt_f32_f16_sdwa v131, v132 dst_sel:DWORD dst_unused:UNUSED_PAD src0_sel:WORD_1
	v_cvt_f32_f16_e32 v132, v133
	s_waitcnt lgkmcnt(1)
	v_perm_b32 v140, v66, v142, s47
	v_cvt_f32_f16_sdwa v133, v133 dst_sel:DWORD dst_unused:UNUSED_PAD src0_sel:WORD_1
	v_cvt_f32_f16_sdwa v137, v63 dst_sel:DWORD dst_unused:UNUSED_PAD src0_sel:WORD_1
	v_mfma_f32_16x16x16f16 v[122:125], v[134:135], v[12:13], v[122:125]
	v_cvt_f32_f16_e32 v134, v136
	v_cvt_f32_f16_sdwa v135, v136 dst_sel:DWORD dst_unused:UNUSED_PAD src0_sel:WORD_1
	v_cvt_f32_f16_e32 v136, v63
	v_cvt_f16_f32_e32 v63, v78
	v_cvt_f16_f32_e32 v72, v81
	v_cvt_f16_f32_e32 v74, v82
	v_cvt_f16_f32_e32 v78, v119
	v_mfma_f32_16x16x16f16 v[126:129], v[138:139], v[12:13], v[126:129]
	v_perm_b32 v139, v143, v17, s47
	v_perm_b32 v138, v15, v141, s47
	s_waitcnt lgkmcnt(0)
	v_perm_b32 v141, v144, v70, s47
	v_cvt_f16_f32_e32 v15, v76
	v_cvt_f16_f32_e32 v17, v77
	;; [unrolled: 1-line block ×13, first 2 shown]
	v_mfma_f32_16x16x16f16 v[130:133], v[138:139], v[12:13], v[130:133]
	v_cvt_f16_f32_e32 v66, v79
	v_pack_b32_f16 v81, v70, v72
	v_pack_b32_f16 v79, v74, v76
	;; [unrolled: 1-line block ×5, first 2 shown]
	v_cvt_f16_f32_e32 v123, v128
	v_mfma_f32_16x16x16f16 v[118:121], v[140:141], v[12:13], v[134:137]
	v_cvt_f16_f32_e32 v124, v129
	s_nop 1
	v_cvt_f16_f32_e32 v125, v130
	v_cvt_f16_f32_e32 v126, v131
	v_cvt_f16_f32_e32 v127, v132
	v_pack_b32_f16 v84, v15, v17
	v_pack_b32_f16 v83, v63, v66
	v_cvt_f16_f32_e32 v15, v133
	s_nop 1
	v_cvt_f16_f32_e32 v12, v118
	v_cvt_f16_f32_e32 v13, v119
	;; [unrolled: 1-line block ×4, first 2 shown]
	v_pack_b32_f16 v78, v77, v78
	v_pack_b32_f16 v76, v80, v82
	v_pack_b32_f16 v66, v123, v124
	v_pack_b32_f16 v82, v125, v126
	v_pack_b32_f16 v80, v127, v15
	v_pack_b32_f16 v77, v12, v13
	v_pack_b32_f16 v63, v17, v63
	s_barrier
	s_cbranch_vccz .LBB19_289
; %bb.287:                              ;   in Loop: Header=BB19_276 Depth=1
	v_mov_b32_e32 v117, v87
	v_mov_b32_e32 v87, v14
	s_branch .LBB19_276
.LBB19_288:
	v_mov_b32_e32 v87, 0
	v_mov_b32_e32 v14, 0xfeffffff
	;; [unrolled: 1-line block ×15, first 2 shown]
.LBB19_289:
	s_lshl_b32 s22, s40, 6
	v_readlane_b32 s4, v214, 4
	s_sub_i32 s24, s4, s22
	s_cmp_lg_u64 s[8:9], 0
	s_cselect_b64 s[10:11], -1, 0
	s_ashr_i32 s23, s22, 31
	s_cmp_eq_u64 s[8:9], 0
	v_readlane_b32 s5, v214, 5
	s_cbranch_scc1 .LBB19_299
; %bb.290:
	s_lshl_b64 s[4:5], s[22:23], 1
	s_add_u32 s4, s8, s4
	s_addc_u32 s5, s9, s5
	v_mov_b32_e32 v13, s5
	v_add_co_u32_e64 v12, s[4:5], s4, v89
	v_cmp_gt_i32_e32 vcc, s24, v29
	v_mov_b32_e32 v15, 0
	v_addc_co_u32_e64 v13, s[4:5], 0, v13, s[4:5]
	v_mov_b32_e32 v23, 0
	s_and_saveexec_b64 s[6:7], vcc
	s_cbranch_execz .LBB19_292
; %bb.291:
	v_add_u32_e32 v17, s37, v69
	v_readlane_b32 s4, v214, 10
	v_mul_hi_u32 v23, s4, v17
	v_readlane_b32 s5, v214, 11
	v_add_u32_e32 v23, v17, v23
	v_lshrrev_b32_e32 v23, s5, v23
	v_mul_lo_u32 v23, v23, s64
	v_sub_u32_e32 v17, v17, v23
	v_mad_i64_i32 v[30:31], s[4:5], v17, s72, 0
	v_lshlrev_b64 v[30:31], 1, v[30:31]
	v_add_co_u32_e64 v30, s[4:5], v12, v30
	v_addc_co_u32_e64 v31, s[4:5], v13, v31, s[4:5]
	flat_load_ushort v23, v[30:31]
.LBB19_292:
	s_or_b64 exec, exec, s[6:7]
	s_movk_i32 s4, 0x90
	v_mad_u32_u24 v17, v69, s4, 0
	v_lshl_add_u32 v26, v29, 1, v17
	s_waitcnt vmcnt(0) lgkmcnt(0)
	ds_write_b16 v26, v23 offset:15360
	s_and_saveexec_b64 s[6:7], vcc
	s_cbranch_execz .LBB19_294
; %bb.293:
	v_add3_u32 v15, v69, s37, 4
	v_readlane_b32 s4, v214, 10
	v_mul_hi_u32 v23, s4, v15
	v_readlane_b32 s5, v214, 11
	v_add_u32_e32 v23, v15, v23
	v_lshrrev_b32_e32 v23, s5, v23
	v_mul_lo_u32 v23, v23, s64
	v_sub_u32_e32 v15, v15, v23
	v_mad_i64_i32 v[30:31], s[4:5], v15, s72, 0
	v_lshlrev_b64 v[30:31], 1, v[30:31]
	v_add_co_u32_e64 v30, s[4:5], v12, v30
	v_addc_co_u32_e64 v31, s[4:5], v13, v31, s[4:5]
	flat_load_ushort v15, v[30:31]
.LBB19_294:
	s_or_b64 exec, exec, s[6:7]
	v_add_u32_e32 v17, 0x240, v17
	v_lshl_add_u32 v23, v29, 1, v17
	s_waitcnt vmcnt(0) lgkmcnt(0)
	ds_write_b16 v23, v15 offset:15360
	v_mov_b32_e32 v15, 0
	v_mov_b32_e32 v23, 0
	s_and_saveexec_b64 s[6:7], vcc
	s_cbranch_execz .LBB19_296
; %bb.295:
	v_add3_u32 v23, v69, s37, 8
	v_readlane_b32 s4, v214, 10
	v_mul_hi_u32 v26, s4, v23
	v_readlane_b32 s5, v214, 11
	v_add_u32_e32 v26, v23, v26
	v_lshrrev_b32_e32 v26, s5, v26
	v_mul_lo_u32 v26, v26, s64
	v_sub_u32_e32 v23, v23, v26
	v_mad_i64_i32 v[30:31], s[4:5], v23, s72, 0
	v_lshlrev_b64 v[30:31], 1, v[30:31]
	v_add_co_u32_e64 v30, s[4:5], v12, v30
	v_addc_co_u32_e64 v31, s[4:5], v13, v31, s[4:5]
	flat_load_ushort v23, v[30:31]
.LBB19_296:
	s_or_b64 exec, exec, s[6:7]
	v_add_u32_e32 v17, 0x240, v17
	v_lshl_add_u32 v17, v29, 1, v17
	s_waitcnt vmcnt(0) lgkmcnt(0)
	ds_write_b16 v17, v23 offset:15360
	s_and_saveexec_b64 s[4:5], vcc
	s_cbranch_execz .LBB19_298
; %bb.297:
	v_add3_u32 v15, v69, s37, 12
	v_readlane_b32 s6, v214, 10
	v_mul_hi_u32 v23, s6, v15
	v_readlane_b32 s7, v214, 11
	v_add_u32_e32 v23, v15, v23
	v_lshrrev_b32_e32 v23, s7, v23
	v_mul_lo_u32 v23, v23, s64
	v_sub_u32_e32 v15, v15, v23
	v_mad_i64_i32 v[30:31], s[6:7], v15, s72, 0
	v_lshlrev_b64 v[30:31], 1, v[30:31]
	v_add_co_u32_e32 v12, vcc, v12, v30
	v_addc_co_u32_e32 v13, vcc, v13, v31, vcc
	flat_load_ushort v15, v[12:13]
.LBB19_298:
	s_or_b64 exec, exec, s[4:5]
	s_waitcnt vmcnt(0) lgkmcnt(0)
	ds_write_b16 v17, v15 offset:15936
.LBB19_299:
	s_mul_hi_i32 s5, s22, s78
	s_mul_i32 s4, s22, s78
	s_lshl_b64 s[4:5], s[4:5], 2
	s_add_u32 s8, s38, s4
	v_lshl_add_u32 v30, v69, 5, v88
	s_addc_u32 s9, s39, s5
	s_mov_b64 s[4:5], src_private_base
	v_mov_b32_e32 v12, 0
	v_cmp_gt_u32_e64 s[18:19], 64, v30
	buffer_store_dword v12, off, s[0:3], 0
	buffer_store_dword v12, off, s[0:3], 0 offset:4
	buffer_store_dword v12, off, s[0:3], 0 offset:8
	;; [unrolled: 1-line block ×3, first 2 shown]
                                        ; implicit-def: $vgpr32
	s_and_saveexec_b64 s[6:7], s[18:19]
	s_xor_b64 s[6:7], exec, s[6:7]
	s_cbranch_execz .LBB19_301
; %bb.300:
	v_mul_lo_u32 v12, s78, v30
	v_ashrrev_i32_e32 v13, 31, v12
	v_lshlrev_b64 v[12:13], 2, v[12:13]
	v_mov_b32_e32 v15, s9
	v_add_co_u32_e32 v12, vcc, s8, v12
	v_addc_co_u32_e32 v13, vcc, v15, v13, vcc
	v_lshlrev_b32_e32 v15, 4, v29
	v_and_b32_e32 v15, 16, v15
	v_add_co_u32_e32 v12, vcc, v12, v15
	v_addc_co_u32_e32 v13, vcc, 0, v13, vcc
	v_add_co_u32_e32 v12, vcc, 0xc0, v12
	v_addc_co_u32_e32 v13, vcc, 0, v13, vcc
	v_mov_b32_e32 v17, s5
	v_cmp_gt_i32_e32 vcc, s24, v30
	v_cndmask_b32_e32 v13, v17, v13, vcc
	v_mov_b32_e32 v17, 0
	v_cndmask_b32_e32 v12, v17, v12, vcc
	flat_load_dwordx4 v[34:37], v[12:13]
	v_mul_u32_u24_e32 v12, 0xf0, v30
	v_add3_u32 v12, 0, v12, v15
	v_lshlrev_b32_e32 v32, 2, v29
	s_waitcnt vmcnt(0) lgkmcnt(0)
	ds_write_b128 v12, v[34:37] offset:192
.LBB19_301:
	s_andn2_saveexec_b64 s[6:7], s[6:7]
; %bb.302:
	v_lshlrev_b32_e32 v32, 2, v29
; %bb.303:
	s_or_b64 exec, exec, s[6:7]
	v_add_u32_e32 v26, v71, v62
	v_mul_lo_u32 v12, s78, v26
	v_ashrrev_i32_e32 v13, 31, v12
	v_lshlrev_b64 v[12:13], 2, v[12:13]
	v_mov_b32_e32 v15, s9
	v_add_co_u32_e32 v12, vcc, s8, v12
	v_addc_co_u32_e32 v13, vcc, v15, v13, vcc
	v_and_b32_e32 v15, 12, v32
	v_lshlrev_b32_e32 v17, 2, v15
	v_add_co_u32_e32 v12, vcc, v12, v17
	s_movk_i32 s4, 0x80
	v_addc_co_u32_e32 v13, vcc, 0, v13, vcc
	v_add_co_u32_e32 v12, vcc, s4, v12
	v_addc_co_u32_e32 v13, vcc, 0, v13, vcc
	v_mov_b32_e32 v15, s5
	v_cmp_gt_i32_e64 s[14:15], s24, v26
	v_mov_b32_e32 v31, 0
	v_cndmask_b32_e64 v13, v15, v13, s[14:15]
	v_cndmask_b32_e64 v12, v31, v12, s[14:15]
	flat_load_dwordx4 v[34:37], v[12:13]
	v_lshlrev_b64 v[24:25], 2, v[24:25]
	v_and_b32_e32 v12, 28, v32
	v_mov_b32_e32 v13, s9
	v_add_co_u32_e32 v33, vcc, s8, v24
	v_mul_u32_u24_e32 v23, 0xf0, v26
	v_lshlrev_b32_e32 v12, 2, v12
	v_addc_co_u32_e32 v13, vcc, v13, v25, vcc
	v_add3_u32 v24, 0, v23, v17
	v_add_co_u32_e32 v23, vcc, v33, v12
	v_addc_co_u32_e32 v13, vcc, 0, v13, vcc
	v_cmp_gt_i32_e64 s[16:17], s24, v65
	v_cndmask_b32_e64 v39, v15, v13, s[16:17]
	v_cndmask_b32_e64 v38, v31, v23, s[16:17]
	v_ashrrev_i32_e32 v23, 31, v22
	v_lshlrev_b64 v[22:23], 2, v[22:23]
	v_mov_b32_e32 v25, s9
	v_add_co_u32_e32 v22, vcc, s8, v22
	v_addc_co_u32_e32 v23, vcc, v25, v23, vcc
	v_mul_u32_u24_e32 v13, 0xf0, v65
	v_add_co_u32_e32 v22, vcc, v22, v12
	v_add3_u32 v13, 0, v13, v12
	v_addc_co_u32_e32 v23, vcc, 0, v23, vcc
	v_cmp_gt_i32_e64 s[6:7], s24, v61
	v_cndmask_b32_e64 v23, v15, v23, s[6:7]
	v_cndmask_b32_e64 v22, v31, v22, s[6:7]
	s_movk_i32 s4, 0xf0
	s_andn2_b64 vcc, exec, s[10:11]
	s_waitcnt vmcnt(0) lgkmcnt(0)
	ds_write_b128 v24, v[34:37] offset:128
	flat_load_dwordx4 v[34:37], v[38:39]
	s_waitcnt vmcnt(0) lgkmcnt(0)
	ds_write_b128 v13, v[34:37]
	flat_load_dwordx4 v[34:37], v[22:23]
	v_and_b32_e32 v22, 48, v71
	v_mad_u32_u24 v15, v22, s4, 0
	v_add3_u32 v23, v15, v85, v86
	s_waitcnt vmcnt(0) lgkmcnt(0)
	ds_write_b128 v13, v[34:37] offset:7680
	s_waitcnt lgkmcnt(0)
	s_barrier
	ds_read2_b64 v[34:37], v23 offset1:4
	s_waitcnt lgkmcnt(0)
	v_mfma_f32_16x16x16f16 v[38:41], v[34:35], v[8:9], 0
	v_mfma_f32_16x16x16f16 v[8:11], v[36:37], v[10:11], v[38:41]
	ds_read2_b64 v[34:37], v23 offset0:8 offset1:12
	s_waitcnt lgkmcnt(0)
	v_mfma_f32_16x16x16f16 v[8:11], v[34:35], v[4:5], v[8:11]
	v_mfma_f32_16x16x16f16 v[4:7], v[36:37], v[6:7], v[8:11]
	s_nop 7
	s_nop 1
	ds_read2_b64 v[8:11], v23 offset0:16 offset1:20
	s_waitcnt lgkmcnt(0)
	v_mfma_f32_16x16x16f16 v[4:7], v[8:9], v[0:1], v[4:7]
	v_mov_b32_e32 v9, 0
	v_mfma_f32_16x16x16f16 v[0:3], v[10:11], v[2:3], v[4:7]
	s_nop 7
	s_nop 0
	ds_read_b64 v[4:5], v23 offset:192
	s_waitcnt lgkmcnt(0)
	v_mfma_f32_16x16x16f16 v[0:3], v[4:5], v[20:21], v[0:3]
	v_and_b32_e32 v5, 0xfc, v62
	v_add_u32_e32 v4, v22, v5
	s_barrier
	s_cbranch_vccnz .LBB19_305
; %bb.304:
	s_movk_i32 s4, 0x90
	v_mad_u32_u24 v6, v68, s4, 0
	v_lshlrev_b32_e32 v7, 1, v4
	s_movk_i32 s4, 0x3c00
	v_add3_u32 v6, v6, v7, s4
	ds_read2_b32 v[6:7], v6 offset1:1
	s_waitcnt lgkmcnt(0)
	v_cvt_f32_f16_e32 v10, v6
	v_cvt_f32_f16_e32 v20, v7
	v_cvt_f32_f16_sdwa v21, v7 dst_sel:DWORD dst_unused:UNUSED_PAD src0_sel:WORD_1
	v_cvt_f32_f16_sdwa v11, v6 dst_sel:DWORD dst_unused:UNUSED_PAD src0_sel:WORD_1
	v_pk_fma_f32 v[2:3], v[16:17], v[20:21], v[2:3] op_sel_hi:[0,1,1]
	v_pk_fma_f32 v[0:1], v[16:17], v[10:11], v[0:1] op_sel_hi:[0,1,1]
.LBB19_305:
	v_add_f32_e32 v6, 0x40051340, v0
	v_max_f32_e32 v7, v14, v14
	v_max_f32_e32 v6, v7, v6
	v_cmp_gt_u32_e64 s[10:11], s24, v4
	v_cndmask_b32_e64 v6, v14, v6, s[10:11]
	v_or_b32_e32 v7, 1, v4
	s_nop 0
	v_add_f32_e32 v8, 0x40051340, v1
	v_max_f32_e32 v10, v6, v6
	v_max_f32_e32 v8, v10, v8
	v_cmp_gt_u32_e64 s[20:21], s24, v7
	v_cndmask_b32_e64 v6, v6, v8, s[20:21]
	v_or_b32_e32 v7, 2, v4
	v_add_f32_e32 v8, 0x40051340, v2
	v_max_f32_e32 v10, v6, v6
	v_max_f32_e32 v8, v10, v8
	v_cmp_gt_u32_e64 s[12:13], s24, v7
	v_cndmask_b32_e64 v6, v6, v8, s[12:13]
	v_add_f32_e32 v7, 0x40051340, v3
	v_max_f32_e32 v8, v6, v6
	v_or_b32_e32 v4, 3, v4
	v_max_f32_e32 v7, v8, v7
	v_mbcnt_hi_u32_b32 v8, -1, v64
	v_cmp_gt_u32_e64 s[4:5], s24, v4
	v_and_b32_e32 v4, 64, v8
	v_add_u32_e32 v10, 64, v4
	v_xor_b32_e32 v4, 32, v8
	v_cmp_lt_i32_e32 vcc, v4, v10
	v_cndmask_b32_e32 v4, v8, v4, vcc
	v_cndmask_b32_e64 v6, v6, v7, s[4:5]
	v_lshlrev_b32_e32 v31, 2, v4
	ds_bpermute_b32 v11, v31, v6
	v_max_f32_e32 v6, v6, v6
	s_mul_hi_i32 s9, s22, s66
	s_mul_i32 s8, s22, s66
	s_lshl_b64 s[8:9], s[8:9], 2
	s_waitcnt lgkmcnt(0)
	v_max_f32_e32 v11, v11, v11
	v_max_f32_e32 v6, v6, v11
	v_xor_b32_e32 v11, 16, v8
	v_cmp_lt_i32_e32 vcc, v11, v10
	v_cndmask_b32_e32 v8, v8, v11, vcc
	v_lshlrev_b32_e32 v33, 2, v8
	ds_bpermute_b32 v8, v33, v6
	s_add_u32 s25, s33, s8
	s_addc_u32 s26, s36, s9
	s_mov_b64 s[8:9], src_private_base
	v_add_u32_e32 v7, 0x80, v24
	v_add_u32_e32 v4, 0x1e00, v13
	s_mov_b32 s8, 0
	buffer_store_dword v9, off, s[0:3], 0
	buffer_store_dword v9, off, s[0:3], 0 offset:4
	buffer_store_dword v9, off, s[0:3], 0 offset:8
	;; [unrolled: 1-line block ×3, first 2 shown]
	s_and_saveexec_b64 s[22:23], s[18:19]
	s_cbranch_execz .LBB19_307
; %bb.306:
	v_mul_lo_u32 v10, s66, v30
	v_ashrrev_i32_e32 v11, 31, v10
	v_lshlrev_b64 v[10:11], 2, v[10:11]
	v_lshlrev_b32_e32 v9, 2, v32
	v_mov_b32_e32 v16, s26
	v_add_co_u32_e32 v10, vcc, s25, v10
	v_and_b32_e32 v9, 16, v9
	v_addc_co_u32_e32 v11, vcc, v16, v11, vcc
	v_add_co_u32_e32 v10, vcc, v10, v9
	v_addc_co_u32_e32 v11, vcc, 0, v11, vcc
	v_add_co_u32_e32 v10, vcc, 0xc0, v10
	v_addc_co_u32_e32 v11, vcc, 0, v11, vcc
	v_mov_b32_e32 v16, s9
	v_cmp_gt_i32_e32 vcc, s24, v30
	v_cndmask_b32_e32 v11, v16, v11, vcc
	v_mov_b32_e32 v16, 0
	v_cndmask_b32_e32 v10, v16, v10, vcc
	flat_load_dwordx4 v[20:23], v[10:11]
	v_mul_u32_u24_e32 v10, 0xf0, v30
	v_add3_u32 v9, 0, v10, v9
	s_waitcnt vmcnt(0) lgkmcnt(0)
	ds_write_b128 v9, v[20:23] offset:192
.LBB19_307:
	s_or_b64 exec, exec, s[22:23]
	v_mul_lo_u32 v10, s66, v26
	v_ashrrev_i32_e32 v11, 31, v10
	v_lshlrev_b64 v[10:11], 2, v[10:11]
	v_mov_b32_e32 v9, s26
	v_add_co_u32_e32 v10, vcc, s25, v10
	v_addc_co_u32_e32 v9, vcc, v9, v11, vcc
	v_add_co_u32_e32 v10, vcc, v10, v17
	v_addc_co_u32_e32 v9, vcc, 0, v9, vcc
	s_movk_i32 s18, 0x80
	v_add_co_u32_e32 v10, vcc, s18, v10
	v_addc_co_u32_e32 v9, vcc, 0, v9, vcc
	v_mov_b32_e32 v24, s9
	v_mov_b32_e32 v25, 0
	v_cndmask_b32_e64 v11, v24, v9, s[14:15]
	v_cndmask_b32_e64 v10, v25, v10, s[14:15]
	flat_load_dwordx4 v[20:23], v[10:11]
	v_lshlrev_b64 v[10:11], 2, v[18:19]
	v_mov_b32_e32 v9, s26
	v_add_co_u32_e32 v10, vcc, s25, v10
	v_addc_co_u32_e32 v9, vcc, v9, v11, vcc
	v_add_co_u32_e32 v10, vcc, v10, v12
	v_addc_co_u32_e32 v9, vcc, 0, v9, vcc
	v_cndmask_b32_e64 v11, v24, v9, s[16:17]
	v_cndmask_b32_e64 v10, v25, v10, s[16:17]
	s_waitcnt lgkmcnt(0)
	v_max_f32_e32 v9, v8, v8
	v_max_f32_e32 v6, v6, v6
	v_mul_lo_u32 v8, s66, v61
	v_max_f32_e32 v30, v6, v9
	v_ashrrev_i32_e32 v9, 31, v8
	v_sub_f32_e32 v26, v1, v30
	s_mov_b32 s9, 0x3fb8aa3b
	v_sub_f32_e32 v14, v14, v30
	v_mul_f32_e32 v37, 0x3fb8aa3b, v14
	v_fma_f32 v44, v14, s9, -v37
	v_rndne_f32_e32 v45, v37
	v_fmac_f32_e32 v44, 0x32a5705f, v14
	s_mov_b32 s14, 0xc2ce8ed0
	s_mov_b32 s15, 0x42b17218
	;; [unrolled: 1-line block ×3, first 2 shown]
	s_waitcnt vmcnt(0)
	ds_write_b128 v7, v[20:23]
	flat_load_dwordx4 v[16:19], v[10:11]
	v_or_b32_e32 v21, 3, v62
	v_mul_u32_u24_e32 v22, 0x78, v5
	v_mul_u32_u24_e32 v6, 0xf0, v21
	v_or_b32_e32 v21, v22, v56
	v_sub_f32_e32 v22, v0, v30
	v_lshlrev_b64 v[0:1], 2, v[8:9]
	v_mov_b32_e32 v23, s26
	v_add_co_u32_e32 v0, vcc, s25, v0
	v_addc_co_u32_e32 v1, vcc, v23, v1, vcc
	v_mul_u32_u24_e32 v5, 0xf0, v5
	v_add_co_u32_e32 v0, vcc, v0, v12
	v_add3_u32 v5, v15, v5, v27
	v_lshl_add_u32 v21, v21, 1, v15
	v_add3_u32 v15, v15, v6, v27
	v_mul_f32_e32 v6, 0x3fb8aa3b, v22
	v_addc_co_u32_e32 v1, vcc, 0, v1, vcc
	v_cndmask_b32_e64 v10, v3, v3, s[20:21]
	v_cndmask_b32_e64 v11, v2, v2, s[20:21]
	v_rndne_f32_e32 v8, v6
	v_cndmask_b32_e64 v1, v24, v1, s[6:7]
	v_cndmask_b32_e64 v0, v25, v0, s[6:7]
	v_sub_f32_e32 v32, v11, v30
	v_sub_f32_e32 v34, v10, v30
	v_fma_f32 v23, v22, s9, -v6
	v_sub_f32_e32 v6, v6, v8
	v_cvt_i32_f32_e32 v12, v8
	v_mul_f32_e32 v27, 0x3fb8aa3b, v26
	v_mul_f32_e32 v35, 0x3fb8aa3b, v32
	v_fma_f32 v38, v26, s9, -v27
	v_rndne_f32_e32 v39, v27
	v_fmac_f32_e32 v23, 0x32a5705f, v22
	v_mul_f32_e32 v36, 0x3fb8aa3b, v34
	v_fma_f32 v40, v32, s9, -v35
	v_rndne_f32_e32 v41, v35
	v_fmac_f32_e32 v38, 0x32a5705f, v26
	v_add_f32_e32 v6, v6, v23
	v_fma_f32 v42, v34, s9, -v36
	v_rndne_f32_e32 v43, v36
	v_fmac_f32_e32 v40, 0x32a5705f, v32
	v_exp_f32_e32 v6, v6
	v_fmac_f32_e32 v42, 0x32a5705f, v34
	v_cvt_i32_f32_e32 v24, v45
	v_cmp_ngt_f32_e32 vcc, s14, v22
	v_ldexp_f32 v6, v6, v12
	v_cndmask_b32_e32 v6, 0, v6, vcc
	v_cmp_ngt_f32_e32 vcc, s14, v26
	v_mov_b32_e32 v20, 0x7f800000
	v_mov_b32_e32 v7, s8
	;; [unrolled: 1-line block ×4, first 2 shown]
	s_mov_b32 s8, 0x5040100
	s_waitcnt vmcnt(0) lgkmcnt(0)
	ds_write_b128 v13, v[16:19]
	flat_load_dwordx4 v[8:11], v[0:1]
	v_sub_f32_e32 v0, v27, v39
	v_sub_f32_e32 v13, v35, v41
	v_add_f32_e32 v0, v0, v38
	v_cvt_i32_f32_e32 v1, v39
	v_sub_f32_e32 v17, v36, v43
	v_add_f32_e32 v13, v13, v40
	v_exp_f32_e32 v0, v0
	v_cvt_i32_f32_e32 v16, v41
	v_sub_f32_e32 v19, v37, v45
	v_add_f32_e32 v17, v17, v42
	v_exp_f32_e32 v13, v13
	v_cvt_i32_f32_e32 v18, v43
	v_add_f32_e32 v19, v19, v44
	v_exp_f32_e32 v17, v17
	v_exp_f32_e32 v19, v19
	v_ldexp_f32 v0, v0, v1
	v_ldexp_f32 v1, v13, v16
	v_cndmask_b32_e32 v0, 0, v0, vcc
	v_cmp_ngt_f32_e32 vcc, s14, v32
	v_ldexp_f32 v12, v17, v18
	v_cndmask_b32_e32 v1, 0, v1, vcc
	v_cmp_ngt_f32_e32 vcc, s14, v34
	;; [unrolled: 3-line block ×3, first 2 shown]
	v_cndmask_b32_e32 v13, 0, v13, vcc
	v_cmp_nlt_f32_e32 vcc, s15, v22
	v_cndmask_b32_e32 v6, v20, v6, vcc
	v_cmp_nlt_f32_e32 vcc, s15, v26
	;; [unrolled: 2-line block ×5, first 2 shown]
	v_cndmask_b32_e32 v13, v20, v13, vcc
	v_cndmask_b32_e64 v0, 0, v6, s[10:11]
	v_cndmask_b32_e64 v6, v7, v16, s[20:21]
	v_cmp_le_f32_e32 vcc, s16, v14
	v_cndmask_b32_e32 v32, 0, v13, vcc
	v_cvt_f16_f32_e32 v13, v0
	v_cvt_f16_f32_e32 v6, v6
	;; [unrolled: 1-line block ×3, first 2 shown]
	v_add_f32_e32 v7, v16, v0
	v_cndmask_b32_e64 v0, v0, v7, s[20:21]
	v_pack_b32_f16 v36, v13, v6
	v_cndmask_b32_e64 v2, v2, v1, s[12:13]
	v_cndmask_b32_e64 v3, v3, v12, s[4:5]
	v_add_f32_e32 v1, v0, v1
	v_cvt_f16_f32_e32 v14, v2
	v_cvt_f16_f32_e32 v16, v3
	v_cndmask_b32_e64 v24, v0, v1, s[12:13]
	v_pk_mul_f16 v1, v20, v84 op_sel_hi:[0,1]
	v_pk_mul_f16 v3, v20, v83 op_sel_hi:[0,1]
	v_cvt_f32_f16_e32 v0, v1
	v_cvt_f32_f16_sdwa v1, v1 dst_sel:DWORD dst_unused:UNUSED_PAD src0_sel:WORD_1
	v_cvt_f32_f16_e32 v2, v3
	v_cvt_f32_f16_sdwa v3, v3 dst_sel:DWORD dst_unused:UNUSED_PAD src0_sel:WORD_1
	v_pk_mul_f16 v18, v20, v78 op_sel_hi:[0,1]
	v_add_f32_e32 v25, v24, v12
	v_pk_mul_f16 v12, v20, v81 op_sel_hi:[0,1]
	v_pk_mul_f16 v17, v20, v79 op_sel_hi:[0,1]
	v_pack_b32_f16 v37, v14, v16
	v_pk_mul_f16 v19, v20, v76 op_sel_hi:[0,1]
	v_pk_mul_f16 v22, v20, v74 op_sel_hi:[0,1]
	;; [unrolled: 1-line block ×3, first 2 shown]
	v_cvt_f32_f16_e32 v14, v23
	v_pk_mul_f16 v26, v20, v70 op_sel_hi:[0,1]
	v_pk_mul_f16 v27, v20, v66 op_sel_hi:[0,1]
	;; [unrolled: 1-line block ×5, first 2 shown]
	s_waitcnt vmcnt(0) lgkmcnt(0)
	ds_write_b128 v4, v[8:11]
	s_waitcnt lgkmcnt(0)
	s_barrier
	ds_read_u16 v4, v5 offset:480
	ds_read_u16 v8, v5 offset:512
	ds_read_u16 v6, v15
	ds_read_u16 v9, v15 offset:32
	ds_read_u16 v35, v15 offset:64
	ds_read_u16 v10, v21
	ds_read_u16 v11, v21 offset:32
	ds_read_u16 v40, v21 offset:64
	;; [unrolled: 1-line block ×18, first 2 shown]
	s_waitcnt lgkmcnt(14)
	v_perm_b32 v7, v6, v4, s8
	s_waitcnt lgkmcnt(3)
	v_perm_b32 v6, v13, v10, s8
	v_perm_b32 v13, v9, v8, s8
	v_cvt_f32_f16_e32 v8, v18
	v_cvt_f32_f16_sdwa v9, v18 dst_sel:DWORD dst_unused:UNUSED_PAD src0_sel:WORD_1
	ds_read_u16 v18, v15 offset:96
	v_cvt_f32_f16_e32 v4, v12
	v_cvt_f32_f16_sdwa v5, v12 dst_sel:DWORD dst_unused:UNUSED_PAD src0_sel:WORD_1
	v_perm_b32 v12, v44, v11, s8
	v_mfma_f32_16x16x16f16 v[0:3], v[6:7], v[36:37], v[0:3]
	v_cvt_f32_f16_e32 v6, v17
	v_cvt_f32_f16_sdwa v7, v17 dst_sel:DWORD dst_unused:UNUSED_PAD src0_sel:WORD_1
	v_cvt_f32_f16_e32 v10, v19
	v_cvt_f32_f16_sdwa v11, v19 dst_sel:DWORD dst_unused:UNUSED_PAD src0_sel:WORD_1
	v_perm_b32 v17, v35, v49, s8
	v_perm_b32 v16, v45, v40, s8
	s_waitcnt lgkmcnt(0)
	v_perm_b32 v19, v18, v50, s8
	v_perm_b32 v18, v46, v41, s8
	v_mfma_f32_16x16x16f16 v[4:7], v[12:13], v[36:37], v[4:7]
	v_cvt_f32_f16_e32 v12, v22
	v_cvt_f32_f16_sdwa v13, v22 dst_sel:DWORD dst_unused:UNUSED_PAD src0_sel:WORD_1
	ds_read_u16 v21, v15 offset:128
	ds_read_u16 v35, v15 offset:160
	;; [unrolled: 1-line block ×3, first 2 shown]
	v_cvt_f32_f16_sdwa v15, v23 dst_sel:DWORD dst_unused:UNUSED_PAD src0_sel:WORD_1
	v_perm_b32 v22, v47, v42, s8
	s_waitcnt lgkmcnt(2)
	v_perm_b32 v23, v21, v51, s8
	v_pk_mul_f16 v41, v20, v63 op_sel_hi:[0,1]
	v_mfma_f32_16x16x16f16 v[8:11], v[16:17], v[36:37], v[8:11]
	v_cvt_f32_f16_e32 v16, v26
	v_cvt_f32_f16_sdwa v17, v26 dst_sel:DWORD dst_unused:UNUSED_PAD src0_sel:WORD_1
	v_cndmask_b32_e64 v42, v24, v25, s[4:5]
	v_cvt_f32_f16_e32 v20, v34
	v_cvt_f32_f16_sdwa v21, v34 dst_sel:DWORD dst_unused:UNUSED_PAD src0_sel:WORD_1
	s_waitcnt lgkmcnt(1)
	v_perm_b32 v35, v35, v52, s8
	v_perm_b32 v34, v48, v43, s8
	v_mfma_f32_16x16x16f16 v[12:15], v[18:19], v[36:37], v[12:15]
	v_cvt_f32_f16_e32 v18, v27
	v_cvt_f32_f16_sdwa v19, v27 dst_sel:DWORD dst_unused:UNUSED_PAD src0_sel:WORD_1
	v_cvt_f32_f16_e32 v24, v39
	v_cvt_f32_f16_sdwa v25, v39 dst_sel:DWORD dst_unused:UNUSED_PAD src0_sel:WORD_1
	s_waitcnt lgkmcnt(0)
	v_perm_b32 v39, v40, v55, s8
	v_cvt_f32_f16_e32 v26, v41
	v_cvt_f32_f16_sdwa v27, v41 dst_sel:DWORD dst_unused:UNUSED_PAD src0_sel:WORD_1
	v_mfma_f32_16x16x16f16 v[16:19], v[22:23], v[36:37], v[16:19]
	v_cvt_f32_f16_e32 v22, v38
	v_cvt_f32_f16_sdwa v23, v38 dst_sel:DWORD dst_unused:UNUSED_PAD src0_sel:WORD_1
	v_perm_b32 v38, v54, v53, s8
	v_fmac_f32_e32 v42, v87, v32
	ds_bpermute_b32 v32, v31, v42
	s_movk_i32 s8, 0xf0
	v_cmp_gt_u32_e64 s[4:5], 16, v29
	v_mfma_f32_16x16x16f16 v[20:23], v[34:35], v[36:37], v[20:23]
	s_waitcnt lgkmcnt(0)
	v_add_f32_e32 v32, v42, v32
	ds_bpermute_b32 v34, v33, v32
	s_barrier
	s_waitcnt lgkmcnt(0)
	v_mfma_f32_16x16x16f16 v[24:27], v[38:39], v[36:37], v[24:27]
	s_and_saveexec_b64 s[6:7], s[4:5]
	s_cbranch_execz .LBB19_309
; %bb.308:
	v_add_f32_e32 v32, v32, v34
	v_or_b32_e32 v34, v71, v29
	v_mad_u32_u24 v34, v34, s8, 0
	ds_write2_b32 v34, v30, v32 offset0:56 offset1:57
.LBB19_309:
	s_or_b64 exec, exec, s[6:7]
	v_cmp_eq_u32_e32 vcc, 0, v75
	v_cmp_ne_u32_e64 s[6:7], 0, v75
	s_waitcnt lgkmcnt(0)
	s_barrier
	s_and_saveexec_b64 s[8:9], s[6:7]
	s_xor_b64 s[6:7], exec, s[8:9]
	s_cbranch_execz .LBB19_311
; %bb.310:
	s_barrier
	s_waitcnt lgkmcnt(0)
                                        ; implicit-def: $vgpr31
                                        ; implicit-def: $vgpr33
                                        ; implicit-def: $vgpr73
.LBB19_311:
	s_andn2_saveexec_b64 s[8:9], s[6:7]
	s_cbranch_execz .LBB19_315
; %bb.312:
	v_add_u32_e32 v30, v71, v29
	s_movk_i32 s6, 0xf0
	v_mad_u32_u24 v36, v30, s6, 0
	ds_read_b64 v[34:35], v36 offset:224
	s_mov_b32 s6, 0x3fb8aa3b
	s_mov_b32 s10, 0x42b17218
	;; [unrolled: 1-line block ×3, first 2 shown]
	s_waitcnt lgkmcnt(0)
	ds_bpermute_b32 v30, v31, v34
	v_max_f32_e32 v32, v34, v34
	s_barrier
	s_waitcnt lgkmcnt(0)
	v_max_f32_e32 v30, v30, v30
	v_max_f32_e32 v30, v32, v30
	ds_bpermute_b32 v32, v33, v30
	s_waitcnt lgkmcnt(0)
	v_max_f32_e32 v32, v32, v32
	v_max_f32_e32 v30, v30, v32
	v_sub_f32_e32 v32, v34, v30
	v_mul_f32_e32 v34, 0x3fb8aa3b, v32
	v_fma_f32 v37, v32, s6, -v34
	v_rndne_f32_e32 v38, v34
	v_fmac_f32_e32 v37, 0x32a5705f, v32
	v_sub_f32_e32 v34, v34, v38
	v_add_f32_e32 v34, v34, v37
	v_cvt_i32_f32_e32 v38, v38
	v_exp_f32_e32 v34, v34
	s_mov_b32 s6, 0xc2ce8ed0
	v_cmp_ngt_f32_e64 s[6:7], s6, v32
	v_mov_b32_e32 v37, 0x7f800000
	v_ldexp_f32 v34, v34, v38
	v_cndmask_b32_e64 v34, 0, v34, s[6:7]
	v_cmp_nlt_f32_e64 s[6:7], s10, v32
	v_cndmask_b32_e64 v32, v37, v34, s[6:7]
	v_mul_f32_e32 v34, v35, v32
	ds_bpermute_b32 v31, v31, v34
	s_waitcnt lgkmcnt(0)
	v_fmac_f32_e32 v31, v35, v32
	ds_bpermute_b32 v33, v33, v31
	s_waitcnt lgkmcnt(0)
	v_add_f32_e32 v33, v31, v33
	ds_write_b64 v36, v[32:33] offset:224
	s_and_saveexec_b64 s[6:7], s[4:5]
	s_cbranch_execz .LBB19_314
; %bb.313:
	s_add_i32 s4, s70, s69
	s_lshl_b32 s10, s4, 4
	s_lshl_b64 s[4:5], s[10:11], 3
	s_add_u32 s4, s62, s4
	v_or_b32_e32 v31, v73, v29
	s_addc_u32 s5, s63, s5
	v_lshlrev_b32_e32 v32, 3, v31
	v_mov_b32_e32 v31, v33
	global_store_dwordx2 v32, v[30:31], s[4:5]
.LBB19_314:
	s_or_b64 exec, exec, s[6:7]
.LBB19_315:
	s_or_b64 exec, exec, s[8:9]
	v_cvt_f16_f32_e32 v0, v0
	v_cvt_f16_f32_e32 v2, v2
	;; [unrolled: 1-line block ×5, first 2 shown]
	s_mov_b32 s7, 0
	v_pack_b32_f16 v2, v2, v3
	v_pack_b32_f16 v0, v0, v1
	v_cvt_f16_f32_e32 v1, v4
	v_cvt_f16_f32_e32 v3, v5
	;; [unrolled: 1-line block ×7, first 2 shown]
	v_pack_b32_f16 v4, v4, v5
	v_pack_b32_f16 v1, v1, v3
	;; [unrolled: 1-line block ×4, first 2 shown]
	v_cvt_f16_f32_e32 v6, v12
	v_cvt_f16_f32_e32 v7, v13
	;; [unrolled: 1-line block ×8, first 2 shown]
	v_pack_b32_f16 v8, v8, v9
	v_pack_b32_f16 v6, v6, v7
	;; [unrolled: 1-line block ×4, first 2 shown]
	v_cvt_f16_f32_e32 v12, v22
	v_cvt_f16_f32_e32 v13, v23
	v_cvt_f16_f32_e32 v14, v24
	v_cvt_f16_f32_e32 v17, v25
	v_cvt_f16_f32_e32 v10, v20
	v_cvt_f16_f32_e32 v11, v21
	v_cvt_f16_f32_e32 v15, v26
	v_cvt_f16_f32_e32 v16, v27
	v_pack_b32_f16 v12, v12, v13
	v_pack_b32_f16 v13, v14, v17
	v_or_b32_e32 v14, v71, v56
	v_mad_u32_u24 v14, v14, 60, v60
	v_lshl_add_u32 v14, v14, 2, 0
	v_pack_b32_f16 v10, v10, v11
	v_pack_b32_f16 v11, v15, v16
	ds_write2_b32 v14, v0, v2 offset1:1
	ds_write2_b32 v14, v1, v4 offset0:8 offset1:9
	ds_write2_b32 v14, v5, v3 offset0:16 offset1:17
	;; [unrolled: 1-line block ×6, first 2 shown]
	s_waitcnt lgkmcnt(0)
	s_barrier
	s_and_saveexec_b64 s[4:5], vcc
	s_cbranch_execz .LBB19_317
; %bb.316:
	s_mul_i32 s6, s69, 0x380
	s_lshl_b64 s[8:9], s[6:7], 3
	s_add_u32 s8, s62, s8
	s_addc_u32 s9, s63, s9
	s_lshl_b32 s6, s70, 5
	v_lshrrev_b32_e32 v0, 1, v69
	s_lshl_b64 s[6:7], s[6:7], 3
	v_add_u32_e32 v12, v59, v0
	s_add_u32 s6, s8, s6
	v_lshlrev_b32_e32 v0, 2, v12
	v_and_b32_e32 v1, 15, v12
	s_movk_i32 s8, 0xfc0
	v_and_or_b32 v0, v0, s8, v1
	s_movk_i32 s8, 0xf0
	v_mad_u32_u24 v2, v0, s8, 0
	v_lshlrev_b32_e32 v14, 2, v28
	v_add_u32_e32 v6, v2, v14
	ds_read2st64_b32 v[0:1], v6 offset1:15
	v_add_u32_e32 v4, 0xe0, v2
	ds_read2st64_b32 v[2:3], v4 offset1:15
	ds_read2st64_b32 v[4:5], v4 offset0:30 offset1:45
	ds_read2st64_b32 v[6:7], v6 offset0:30 offset1:45
	s_addc_u32 s7, s9, s7
	s_movk_i32 s9, 0x1fc0
	s_waitcnt lgkmcnt(3)
	v_cvt_f32_f16_e32 v8, v0
	v_cvt_f32_f16_sdwa v9, v0 dst_sel:DWORD dst_unused:UNUSED_PAD src0_sel:WORD_1
	v_cvt_f32_f16_e32 v0, v1
	v_cvt_f32_f16_sdwa v1, v1 dst_sel:DWORD dst_unused:UNUSED_PAD src0_sel:WORD_1
	s_waitcnt lgkmcnt(0)
	v_cvt_f32_f16_e32 v10, v6
	v_cvt_f32_f16_sdwa v11, v6 dst_sel:DWORD dst_unused:UNUSED_PAD src0_sel:WORD_1
	v_pk_fma_f32 v[8:9], v[2:3], v[8:9], 0 op_sel_hi:[0,1,0]
	v_mov_b32_e32 v2, v3
	v_pk_fma_f32 v[0:1], v[2:3], v[0:1], v[8:9] op_sel_hi:[0,1,1]
	v_pk_fma_f32 v[0:1], v[4:5], v[10:11], v[0:1] op_sel_hi:[0,1,1]
	v_mov_b32_e32 v4, v5
	v_add_u32_e32 v5, 2, v12
	v_cvt_f32_f16_e32 v2, v7
	v_cvt_f32_f16_sdwa v3, v7 dst_sel:DWORD dst_unused:UNUSED_PAD src0_sel:WORD_1
	v_lshlrev_b32_e32 v6, 2, v5
	v_and_b32_e32 v5, 15, v5
	v_and_or_b32 v5, v6, s9, v5
	v_mad_u32_u24 v5, v5, s8, 0
	v_mul_u32_u24_e32 v13, 56, v12
	v_add_u32_e32 v8, v5, v14
	ds_read2st64_b32 v[6:7], v8 offset1:15
	v_pk_fma_f32 v[0:1], v[4:5], v[2:3], v[0:1] op_sel_hi:[0,1,1]
	v_add_lshl_u32 v13, v13, v28, 3
	v_add_u32_e32 v9, 0xe0, v5
	global_store_dwordx2 v13, v[0:1], s[6:7]
	ds_read2st64_b32 v[2:3], v9 offset1:15
	ds_read2st64_b32 v[0:1], v9 offset0:30 offset1:45
	ds_read2st64_b32 v[8:9], v8 offset0:30 offset1:45
	s_waitcnt lgkmcnt(3)
	v_cvt_f32_f16_e32 v4, v6
	v_cvt_f32_f16_sdwa v5, v6 dst_sel:DWORD dst_unused:UNUSED_PAD src0_sel:WORD_1
	v_cvt_f32_f16_e32 v6, v7
	v_cvt_f32_f16_sdwa v7, v7 dst_sel:DWORD dst_unused:UNUSED_PAD src0_sel:WORD_1
	s_waitcnt lgkmcnt(0)
	v_cvt_f32_f16_e32 v10, v8
	v_cvt_f32_f16_sdwa v11, v8 dst_sel:DWORD dst_unused:UNUSED_PAD src0_sel:WORD_1
	v_cvt_f32_f16_e32 v8, v9
	v_cvt_f32_f16_sdwa v9, v9 dst_sel:DWORD dst_unused:UNUSED_PAD src0_sel:WORD_1
	v_pk_fma_f32 v[4:5], v[2:3], v[4:5], 0 op_sel_hi:[0,1,0]
	v_mov_b32_e32 v2, v3
	v_pk_fma_f32 v[2:3], v[2:3], v[6:7], v[4:5] op_sel_hi:[0,1,1]
	v_pk_fma_f32 v[2:3], v[0:1], v[10:11], v[2:3] op_sel_hi:[0,1,1]
	v_mov_b32_e32 v0, v1
	v_pk_fma_f32 v[0:1], v[0:1], v[8:9], v[2:3] op_sel_hi:[0,1,1]
	global_store_dwordx2 v13, v[0:1], s[6:7] offset:896
	v_add_u32_e32 v0, 4, v12
	v_lshlrev_b32_e32 v1, 2, v0
	v_and_b32_e32 v0, 15, v0
	v_and_or_b32 v0, v1, s9, v0
	v_mad_u32_u24 v0, v0, s8, 0
	v_add_u32_e32 v4, 0xe0, v0
	v_add_u32_e32 v6, v0, v14
	ds_read2st64_b32 v[0:1], v6 offset1:15
	ds_read2st64_b32 v[2:3], v4 offset1:15
	ds_read2st64_b32 v[4:5], v4 offset0:30 offset1:45
	ds_read2st64_b32 v[6:7], v6 offset0:30 offset1:45
	v_add_u32_e32 v15, 0x700, v13
	s_waitcnt lgkmcnt(3)
	v_cvt_f32_f16_e32 v8, v0
	v_cvt_f32_f16_sdwa v9, v0 dst_sel:DWORD dst_unused:UNUSED_PAD src0_sel:WORD_1
	v_cvt_f32_f16_e32 v0, v1
	v_cvt_f32_f16_sdwa v1, v1 dst_sel:DWORD dst_unused:UNUSED_PAD src0_sel:WORD_1
	s_waitcnt lgkmcnt(0)
	v_cvt_f32_f16_e32 v10, v6
	v_cvt_f32_f16_sdwa v11, v6 dst_sel:DWORD dst_unused:UNUSED_PAD src0_sel:WORD_1
	v_pk_fma_f32 v[8:9], v[2:3], v[8:9], 0 op_sel_hi:[0,1,0]
	v_mov_b32_e32 v2, v3
	v_pk_fma_f32 v[0:1], v[2:3], v[0:1], v[8:9] op_sel_hi:[0,1,1]
	v_pk_fma_f32 v[0:1], v[4:5], v[10:11], v[0:1] op_sel_hi:[0,1,1]
	v_mov_b32_e32 v4, v5
	v_add_u32_e32 v5, 6, v12
	v_cvt_f32_f16_e32 v2, v7
	v_cvt_f32_f16_sdwa v3, v7 dst_sel:DWORD dst_unused:UNUSED_PAD src0_sel:WORD_1
	v_lshlrev_b32_e32 v6, 2, v5
	v_and_b32_e32 v5, 15, v5
	v_and_or_b32 v5, v6, s9, v5
	v_mad_u32_u24 v5, v5, s8, 0
	v_add_u32_e32 v8, v5, v14
	ds_read2st64_b32 v[6:7], v8 offset1:15
	v_pk_fma_f32 v[0:1], v[4:5], v[2:3], v[0:1] op_sel_hi:[0,1,1]
	global_store_dwordx2 v15, v[0:1], s[6:7]
	v_add_u32_e32 v4, 0xe0, v5
	ds_read2st64_b32 v[0:1], v4 offset1:15
	ds_read2st64_b32 v[4:5], v4 offset0:30 offset1:45
	ds_read2st64_b32 v[8:9], v8 offset0:30 offset1:45
	s_waitcnt lgkmcnt(3)
	v_cvt_f32_f16_e32 v2, v6
	v_cvt_f32_f16_sdwa v3, v6 dst_sel:DWORD dst_unused:UNUSED_PAD src0_sel:WORD_1
	v_cvt_f32_f16_e32 v6, v7
	v_cvt_f32_f16_sdwa v7, v7 dst_sel:DWORD dst_unused:UNUSED_PAD src0_sel:WORD_1
	s_waitcnt lgkmcnt(0)
	v_cvt_f32_f16_e32 v10, v8
	v_cvt_f32_f16_sdwa v11, v8 dst_sel:DWORD dst_unused:UNUSED_PAD src0_sel:WORD_1
	v_cvt_f32_f16_e32 v8, v9
	v_cvt_f32_f16_sdwa v9, v9 dst_sel:DWORD dst_unused:UNUSED_PAD src0_sel:WORD_1
	v_pk_fma_f32 v[2:3], v[0:1], v[2:3], 0 op_sel_hi:[0,1,0]
	v_mov_b32_e32 v0, v1
	v_pk_fma_f32 v[0:1], v[0:1], v[6:7], v[2:3] op_sel_hi:[0,1,1]
	v_pk_fma_f32 v[0:1], v[4:5], v[10:11], v[0:1] op_sel_hi:[0,1,1]
	v_mov_b32_e32 v2, v5
	v_add_u32_e32 v15, 0xa80, v13
	v_pk_fma_f32 v[0:1], v[2:3], v[8:9], v[0:1] op_sel_hi:[0,1,1]
	global_store_dwordx2 v15, v[0:1], s[6:7]
	v_add_u32_e32 v0, 8, v12
	v_lshlrev_b32_e32 v1, 2, v0
	v_and_b32_e32 v0, 15, v0
	v_and_or_b32 v0, v1, s9, v0
	v_mad_u32_u24 v0, v0, s8, 0
	v_add_u32_e32 v4, 0xe0, v0
	v_add_u32_e32 v6, v0, v14
	ds_read2st64_b32 v[0:1], v6 offset1:15
	ds_read2st64_b32 v[2:3], v4 offset1:15
	ds_read2st64_b32 v[4:5], v4 offset0:30 offset1:45
	ds_read2st64_b32 v[6:7], v6 offset0:30 offset1:45
	v_add_u32_e32 v15, 0xe00, v13
	s_waitcnt lgkmcnt(3)
	v_cvt_f32_f16_e32 v8, v0
	v_cvt_f32_f16_sdwa v9, v0 dst_sel:DWORD dst_unused:UNUSED_PAD src0_sel:WORD_1
	v_cvt_f32_f16_e32 v0, v1
	v_cvt_f32_f16_sdwa v1, v1 dst_sel:DWORD dst_unused:UNUSED_PAD src0_sel:WORD_1
	s_waitcnt lgkmcnt(0)
	v_cvt_f32_f16_e32 v10, v6
	v_cvt_f32_f16_sdwa v11, v6 dst_sel:DWORD dst_unused:UNUSED_PAD src0_sel:WORD_1
	v_pk_fma_f32 v[8:9], v[2:3], v[8:9], 0 op_sel_hi:[0,1,0]
	v_mov_b32_e32 v2, v3
	v_pk_fma_f32 v[0:1], v[2:3], v[0:1], v[8:9] op_sel_hi:[0,1,1]
	v_pk_fma_f32 v[0:1], v[4:5], v[10:11], v[0:1] op_sel_hi:[0,1,1]
	v_mov_b32_e32 v4, v5
	v_add_u32_e32 v5, 10, v12
	v_cvt_f32_f16_e32 v2, v7
	v_cvt_f32_f16_sdwa v3, v7 dst_sel:DWORD dst_unused:UNUSED_PAD src0_sel:WORD_1
	v_lshlrev_b32_e32 v6, 2, v5
	v_and_b32_e32 v5, 15, v5
	v_and_or_b32 v5, v6, s9, v5
	v_mad_u32_u24 v5, v5, s8, 0
	v_add_u32_e32 v8, v5, v14
	ds_read2st64_b32 v[6:7], v8 offset1:15
	v_pk_fma_f32 v[0:1], v[4:5], v[2:3], v[0:1] op_sel_hi:[0,1,1]
	global_store_dwordx2 v15, v[0:1], s[6:7]
	v_add_u32_e32 v4, 0xe0, v5
	ds_read2st64_b32 v[0:1], v4 offset1:15
	ds_read2st64_b32 v[4:5], v4 offset0:30 offset1:45
	ds_read2st64_b32 v[8:9], v8 offset0:30 offset1:45
	s_waitcnt lgkmcnt(3)
	v_cvt_f32_f16_e32 v2, v6
	v_cvt_f32_f16_sdwa v3, v6 dst_sel:DWORD dst_unused:UNUSED_PAD src0_sel:WORD_1
	v_cvt_f32_f16_e32 v6, v7
	v_cvt_f32_f16_sdwa v7, v7 dst_sel:DWORD dst_unused:UNUSED_PAD src0_sel:WORD_1
	s_waitcnt lgkmcnt(0)
	v_cvt_f32_f16_e32 v10, v8
	v_cvt_f32_f16_sdwa v11, v8 dst_sel:DWORD dst_unused:UNUSED_PAD src0_sel:WORD_1
	v_cvt_f32_f16_e32 v8, v9
	v_cvt_f32_f16_sdwa v9, v9 dst_sel:DWORD dst_unused:UNUSED_PAD src0_sel:WORD_1
	v_pk_fma_f32 v[2:3], v[0:1], v[2:3], 0 op_sel_hi:[0,1,0]
	v_mov_b32_e32 v0, v1
	v_pk_fma_f32 v[0:1], v[0:1], v[6:7], v[2:3] op_sel_hi:[0,1,1]
	v_pk_fma_f32 v[0:1], v[4:5], v[10:11], v[0:1] op_sel_hi:[0,1,1]
	v_mov_b32_e32 v2, v5
	v_add_u32_e32 v15, 0x1180, v13
	v_pk_fma_f32 v[0:1], v[2:3], v[8:9], v[0:1] op_sel_hi:[0,1,1]
	global_store_dwordx2 v15, v[0:1], s[6:7]
	v_add_u32_e32 v0, 12, v12
	v_lshlrev_b32_e32 v1, 2, v0
	v_and_b32_e32 v0, 15, v0
	v_and_or_b32 v0, v1, s9, v0
	v_mad_u32_u24 v0, v0, s8, 0
	v_add_u32_e32 v4, 0xe0, v0
	v_add_u32_e32 v6, v0, v14
	ds_read2st64_b32 v[0:1], v6 offset1:15
	ds_read2st64_b32 v[2:3], v4 offset1:15
	ds_read2st64_b32 v[4:5], v4 offset0:30 offset1:45
	ds_read2st64_b32 v[6:7], v6 offset0:30 offset1:45
	v_add_u32_e32 v15, 0x1500, v13
	s_waitcnt lgkmcnt(3)
	v_cvt_f32_f16_e32 v8, v0
	v_cvt_f32_f16_sdwa v9, v0 dst_sel:DWORD dst_unused:UNUSED_PAD src0_sel:WORD_1
	v_cvt_f32_f16_e32 v0, v1
	v_cvt_f32_f16_sdwa v1, v1 dst_sel:DWORD dst_unused:UNUSED_PAD src0_sel:WORD_1
	s_waitcnt lgkmcnt(0)
	v_cvt_f32_f16_e32 v10, v6
	v_cvt_f32_f16_sdwa v11, v6 dst_sel:DWORD dst_unused:UNUSED_PAD src0_sel:WORD_1
	v_pk_fma_f32 v[8:9], v[2:3], v[8:9], 0 op_sel_hi:[0,1,0]
	v_mov_b32_e32 v2, v3
	v_pk_fma_f32 v[0:1], v[2:3], v[0:1], v[8:9] op_sel_hi:[0,1,1]
	v_pk_fma_f32 v[0:1], v[4:5], v[10:11], v[0:1] op_sel_hi:[0,1,1]
	v_mov_b32_e32 v4, v5
	v_add_u32_e32 v5, 14, v12
	v_cvt_f32_f16_e32 v2, v7
	v_cvt_f32_f16_sdwa v3, v7 dst_sel:DWORD dst_unused:UNUSED_PAD src0_sel:WORD_1
	v_lshlrev_b32_e32 v6, 2, v5
	v_and_b32_e32 v5, 15, v5
	v_and_or_b32 v5, v6, s9, v5
	v_mad_u32_u24 v5, v5, s8, 0
	v_add_u32_e32 v8, v5, v14
	ds_read2st64_b32 v[6:7], v8 offset1:15
	v_pk_fma_f32 v[0:1], v[4:5], v[2:3], v[0:1] op_sel_hi:[0,1,1]
	global_store_dwordx2 v15, v[0:1], s[6:7]
	v_add_u32_e32 v4, 0xe0, v5
	ds_read2st64_b32 v[0:1], v4 offset1:15
	ds_read2st64_b32 v[4:5], v4 offset0:30 offset1:45
	ds_read2st64_b32 v[8:9], v8 offset0:30 offset1:45
	s_waitcnt lgkmcnt(3)
	v_cvt_f32_f16_e32 v2, v6
	v_cvt_f32_f16_sdwa v3, v6 dst_sel:DWORD dst_unused:UNUSED_PAD src0_sel:WORD_1
	v_cvt_f32_f16_e32 v6, v7
	v_cvt_f32_f16_sdwa v7, v7 dst_sel:DWORD dst_unused:UNUSED_PAD src0_sel:WORD_1
	s_waitcnt lgkmcnt(0)
	v_cvt_f32_f16_e32 v10, v8
	v_cvt_f32_f16_sdwa v11, v8 dst_sel:DWORD dst_unused:UNUSED_PAD src0_sel:WORD_1
	v_cvt_f32_f16_e32 v8, v9
	v_cvt_f32_f16_sdwa v9, v9 dst_sel:DWORD dst_unused:UNUSED_PAD src0_sel:WORD_1
	v_pk_fma_f32 v[2:3], v[0:1], v[2:3], 0 op_sel_hi:[0,1,0]
	v_mov_b32_e32 v0, v1
	v_pk_fma_f32 v[0:1], v[0:1], v[6:7], v[2:3] op_sel_hi:[0,1,1]
	v_pk_fma_f32 v[0:1], v[4:5], v[10:11], v[0:1] op_sel_hi:[0,1,1]
	v_mov_b32_e32 v2, v5
	v_add_u32_e32 v14, v58, v69
	v_pk_fma_f32 v[0:1], v[2:3], v[8:9], v[0:1] op_sel_hi:[0,1,1]
	v_lshlrev_b32_e32 v2, 2, v14
	v_and_b32_e32 v3, 15, v14
	v_and_or_b32 v2, v2, s9, v3
	v_mad_u32_u24 v4, v2, s8, 0
	v_lshlrev_b32_e32 v15, 2, v56
	v_add_u32_e32 v2, v4, v15
	v_add_u32_e32 v8, 0x80, v2
	;; [unrolled: 1-line block ×3, first 2 shown]
	ds_read2st64_b32 v[2:3], v8 offset1:15
	global_store_dwordx2 v12, v[0:1], s[6:7]
	v_add_u32_e32 v6, 0xe0, v4
	ds_read2st64_b32 v[0:1], v6 offset1:15
	ds_read2st64_b32 v[6:7], v6 offset0:30 offset1:45
	ds_read2st64_b32 v[8:9], v8 offset0:30 offset1:45
	s_waitcnt lgkmcnt(3)
	v_cvt_f32_f16_e32 v4, v2
	v_cvt_f32_f16_sdwa v5, v2 dst_sel:DWORD dst_unused:UNUSED_PAD src0_sel:WORD_1
	v_mul_u32_u24_e32 v10, 56, v14
	v_cvt_f32_f16_e32 v2, v3
	v_cvt_f32_f16_sdwa v3, v3 dst_sel:DWORD dst_unused:UNUSED_PAD src0_sel:WORD_1
	v_add_lshl_u32 v12, v10, v56, 3
	s_waitcnt lgkmcnt(0)
	v_cvt_f32_f16_e32 v10, v8
	v_cvt_f32_f16_sdwa v11, v8 dst_sel:DWORD dst_unused:UNUSED_PAD src0_sel:WORD_1
	v_cvt_f32_f16_e32 v8, v9
	v_cvt_f32_f16_sdwa v9, v9 dst_sel:DWORD dst_unused:UNUSED_PAD src0_sel:WORD_1
	v_pk_fma_f32 v[4:5], v[0:1], v[4:5], 0 op_sel_hi:[0,1,0]
	v_mov_b32_e32 v0, v1
	v_pk_fma_f32 v[0:1], v[0:1], v[2:3], v[4:5] op_sel_hi:[0,1,1]
	v_pk_fma_f32 v[0:1], v[6:7], v[10:11], v[0:1] op_sel_hi:[0,1,1]
	v_mov_b32_e32 v2, v7
	v_pk_fma_f32 v[0:1], v[2:3], v[8:9], v[0:1] op_sel_hi:[0,1,1]
	global_store_dwordx2 v12, v[0:1], s[6:7] offset:256
	v_add_u32_e32 v0, 4, v14
	v_lshlrev_b32_e32 v1, 2, v0
	v_and_b32_e32 v0, 15, v0
	s_movk_i32 s9, 0x3fc0
	v_and_or_b32 v0, v1, s9, v0
	v_mad_u32_u24 v2, v0, s8, 0
	v_add_u32_e32 v4, 0xe0, v2
	v_add_u32_e32 v2, v2, v15
	v_mov_b32_e32 v0, 0xe0
	v_add_u32_e32 v6, 0x80, v2
	v_mad_u32_u24 v8, v14, 56, v0
	ds_read2st64_b32 v[0:1], v4 offset1:15
	ds_read2st64_b32 v[2:3], v6 offset1:15
	ds_read2st64_b32 v[4:5], v4 offset0:30 offset1:45
	ds_read2st64_b32 v[6:7], v6 offset0:30 offset1:45
	v_add_co_u32_e32 v8, vcc, v8, v56
	v_addc_co_u32_e64 v9, s[10:11], 0, 0, vcc
	v_lshlrev_b64 v[8:9], 3, v[8:9]
	s_waitcnt lgkmcnt(2)
	v_cvt_f32_f16_e32 v10, v2
	v_cvt_f32_f16_sdwa v11, v2 dst_sel:DWORD dst_unused:UNUSED_PAD src0_sel:WORD_1
	v_mov_b32_e32 v12, s7
	v_add_co_u32_e32 v8, vcc, s6, v8
	v_cvt_f32_f16_e32 v2, v3
	v_cvt_f32_f16_sdwa v3, v3 dst_sel:DWORD dst_unused:UNUSED_PAD src0_sel:WORD_1
	v_addc_co_u32_e32 v9, vcc, v12, v9, vcc
	s_waitcnt lgkmcnt(0)
	v_cvt_f32_f16_e32 v12, v6
	v_cvt_f32_f16_sdwa v13, v6 dst_sel:DWORD dst_unused:UNUSED_PAD src0_sel:WORD_1
	v_cvt_f32_f16_e32 v6, v7
	v_cvt_f32_f16_sdwa v7, v7 dst_sel:DWORD dst_unused:UNUSED_PAD src0_sel:WORD_1
	v_pk_fma_f32 v[10:11], v[0:1], v[10:11], 0 op_sel_hi:[0,1,0]
	v_mov_b32_e32 v0, v1
	v_pk_fma_f32 v[0:1], v[0:1], v[2:3], v[10:11] op_sel_hi:[0,1,1]
	v_pk_fma_f32 v[0:1], v[4:5], v[12:13], v[0:1] op_sel_hi:[0,1,1]
	v_mov_b32_e32 v2, v5
	v_pk_fma_f32 v[0:1], v[2:3], v[6:7], v[0:1] op_sel_hi:[0,1,1]
	global_store_dwordx2 v[8:9], v[0:1], off offset:256
	v_add_u32_e32 v0, 8, v14
	v_lshlrev_b32_e32 v1, 2, v0
	v_and_b32_e32 v0, 15, v0
	v_and_or_b32 v0, v1, s9, v0
	v_mad_u32_u24 v2, v0, s8, 0
	v_add_u32_e32 v4, 0xe0, v2
	v_add_u32_e32 v2, v2, v15
	v_mov_b32_e32 v0, 0x1c0
	v_add_u32_e32 v6, 0x80, v2
	v_mad_u32_u24 v8, v14, 56, v0
	ds_read2st64_b32 v[0:1], v4 offset1:15
	ds_read2st64_b32 v[2:3], v6 offset1:15
	ds_read2st64_b32 v[4:5], v4 offset0:30 offset1:45
	ds_read2st64_b32 v[6:7], v6 offset0:30 offset1:45
	v_add_co_u32_e32 v8, vcc, v8, v56
	v_addc_co_u32_e64 v9, s[10:11], 0, 0, vcc
	v_lshlrev_b64 v[8:9], 3, v[8:9]
	s_waitcnt lgkmcnt(2)
	v_cvt_f32_f16_e32 v10, v2
	v_cvt_f32_f16_sdwa v11, v2 dst_sel:DWORD dst_unused:UNUSED_PAD src0_sel:WORD_1
	v_mov_b32_e32 v12, s7
	v_add_co_u32_e32 v8, vcc, s6, v8
	v_cvt_f32_f16_e32 v2, v3
	v_cvt_f32_f16_sdwa v3, v3 dst_sel:DWORD dst_unused:UNUSED_PAD src0_sel:WORD_1
	v_addc_co_u32_e32 v9, vcc, v12, v9, vcc
	s_waitcnt lgkmcnt(0)
	v_cvt_f32_f16_e32 v12, v6
	v_cvt_f32_f16_sdwa v13, v6 dst_sel:DWORD dst_unused:UNUSED_PAD src0_sel:WORD_1
	v_cvt_f32_f16_e32 v6, v7
	v_cvt_f32_f16_sdwa v7, v7 dst_sel:DWORD dst_unused:UNUSED_PAD src0_sel:WORD_1
	v_pk_fma_f32 v[10:11], v[0:1], v[10:11], 0 op_sel_hi:[0,1,0]
	v_mov_b32_e32 v0, v1
	v_pk_fma_f32 v[0:1], v[0:1], v[2:3], v[10:11] op_sel_hi:[0,1,1]
	v_pk_fma_f32 v[0:1], v[4:5], v[12:13], v[0:1] op_sel_hi:[0,1,1]
	v_mov_b32_e32 v2, v5
	v_pk_fma_f32 v[0:1], v[2:3], v[6:7], v[0:1] op_sel_hi:[0,1,1]
	global_store_dwordx2 v[8:9], v[0:1], off offset:256
	v_add_u32_e32 v0, 12, v14
	v_lshlrev_b32_e32 v1, 2, v0
	v_and_b32_e32 v0, 15, v0
	v_and_or_b32 v0, v1, s9, v0
	v_mad_u32_u24 v2, v0, s8, 0
	v_add_u32_e32 v4, 0xe0, v2
	v_add_u32_e32 v2, v2, v15
	v_mov_b32_e32 v0, 0x2a0
	v_add_u32_e32 v6, 0x80, v2
	v_mad_u32_u24 v8, v14, 56, v0
	ds_read2st64_b32 v[0:1], v4 offset1:15
	ds_read2st64_b32 v[2:3], v6 offset1:15
	ds_read2st64_b32 v[4:5], v4 offset0:30 offset1:45
	ds_read2st64_b32 v[6:7], v6 offset0:30 offset1:45
	v_add_co_u32_e32 v8, vcc, v8, v56
	v_addc_co_u32_e64 v9, s[10:11], 0, 0, vcc
	v_lshlrev_b64 v[8:9], 3, v[8:9]
	s_waitcnt lgkmcnt(2)
	v_cvt_f32_f16_e32 v10, v2
	v_cvt_f32_f16_sdwa v11, v2 dst_sel:DWORD dst_unused:UNUSED_PAD src0_sel:WORD_1
	v_mov_b32_e32 v12, s7
	v_add_co_u32_e32 v8, vcc, s6, v8
	v_cvt_f32_f16_e32 v2, v3
	v_cvt_f32_f16_sdwa v3, v3 dst_sel:DWORD dst_unused:UNUSED_PAD src0_sel:WORD_1
	v_addc_co_u32_e32 v9, vcc, v12, v9, vcc
	s_waitcnt lgkmcnt(0)
	v_cvt_f32_f16_e32 v12, v6
	v_cvt_f32_f16_sdwa v13, v6 dst_sel:DWORD dst_unused:UNUSED_PAD src0_sel:WORD_1
	v_cvt_f32_f16_e32 v6, v7
	v_cvt_f32_f16_sdwa v7, v7 dst_sel:DWORD dst_unused:UNUSED_PAD src0_sel:WORD_1
	v_pk_fma_f32 v[10:11], v[0:1], v[10:11], 0 op_sel_hi:[0,1,0]
	v_mov_b32_e32 v0, v1
	v_pk_fma_f32 v[0:1], v[0:1], v[2:3], v[10:11] op_sel_hi:[0,1,1]
	v_pk_fma_f32 v[0:1], v[4:5], v[12:13], v[0:1] op_sel_hi:[0,1,1]
	v_mov_b32_e32 v2, v5
	v_pk_fma_f32 v[0:1], v[2:3], v[6:7], v[0:1] op_sel_hi:[0,1,1]
	v_add_u32_e32 v12, v57, v67
	global_store_dwordx2 v[8:9], v[0:1], off offset:256
	v_lshlrev_b32_e32 v0, 2, v12
	v_and_b32_e32 v1, 15, v12
	v_and_b32_e32 v8, 7, v29
	v_and_or_b32 v0, v0, s9, v1
	v_mad_u32_u24 v2, v0, s8, 0
	v_lshlrev_b32_e32 v13, 2, v8
	v_add_u32_e32 v4, 0xe0, v2
	v_add_u32_e32 v2, v2, v13
	;; [unrolled: 1-line block ×3, first 2 shown]
	ds_read2st64_b32 v[0:1], v4 offset1:15
	ds_read2st64_b32 v[2:3], v6 offset1:15
	ds_read2st64_b32 v[4:5], v4 offset0:30 offset1:45
	ds_read2st64_b32 v[6:7], v6 offset0:30 offset1:45
	v_mul_u32_u24_e32 v9, 56, v12
	v_or_b32_e32 v8, v9, v8
	v_lshlrev_b32_e32 v14, 3, v8
	s_waitcnt lgkmcnt(2)
	v_cvt_f32_f16_e32 v8, v2
	v_cvt_f32_f16_sdwa v9, v2 dst_sel:DWORD dst_unused:UNUSED_PAD src0_sel:WORD_1
	v_cvt_f32_f16_e32 v2, v3
	v_cvt_f32_f16_sdwa v3, v3 dst_sel:DWORD dst_unused:UNUSED_PAD src0_sel:WORD_1
	s_waitcnt lgkmcnt(0)
	v_cvt_f32_f16_e32 v10, v6
	v_cvt_f32_f16_sdwa v11, v6 dst_sel:DWORD dst_unused:UNUSED_PAD src0_sel:WORD_1
	v_pk_fma_f32 v[8:9], v[0:1], v[8:9], 0 op_sel_hi:[0,1,0]
	v_mov_b32_e32 v0, v1
	v_pk_fma_f32 v[0:1], v[0:1], v[2:3], v[8:9] op_sel_hi:[0,1,1]
	v_pk_fma_f32 v[0:1], v[4:5], v[10:11], v[0:1] op_sel_hi:[0,1,1]
	v_mov_b32_e32 v4, v5
	v_add_u32_e32 v5, 8, v12
	v_lshlrev_b32_e32 v6, 2, v5
	v_and_b32_e32 v5, 15, v5
	s_movk_i32 s9, 0x7fc0
	v_cvt_f32_f16_e32 v2, v7
	v_cvt_f32_f16_sdwa v3, v7 dst_sel:DWORD dst_unused:UNUSED_PAD src0_sel:WORD_1
	v_and_or_b32 v5, v6, s9, v5
	v_mad_u32_u24 v5, v5, s8, 0
	v_add_u32_e32 v6, v5, v13
	v_add_u32_e32 v8, 0xc0, v6
	ds_read2st64_b32 v[6:7], v8 offset1:15
	v_pk_fma_f32 v[0:1], v[4:5], v[2:3], v[0:1] op_sel_hi:[0,1,1]
	global_store_dwordx2 v14, v[0:1], s[6:7] offset:384
	v_add_u32_e32 v4, 0xe0, v5
	ds_read2st64_b32 v[0:1], v4 offset1:15
	ds_read2st64_b32 v[4:5], v4 offset0:30 offset1:45
	ds_read2st64_b32 v[8:9], v8 offset0:30 offset1:45
	s_waitcnt lgkmcnt(3)
	v_cvt_f32_f16_e32 v2, v6
	v_cvt_f32_f16_sdwa v3, v6 dst_sel:DWORD dst_unused:UNUSED_PAD src0_sel:WORD_1
	v_cvt_f32_f16_e32 v6, v7
	v_cvt_f32_f16_sdwa v7, v7 dst_sel:DWORD dst_unused:UNUSED_PAD src0_sel:WORD_1
	s_waitcnt lgkmcnt(0)
	v_cvt_f32_f16_e32 v10, v8
	v_cvt_f32_f16_sdwa v11, v8 dst_sel:DWORD dst_unused:UNUSED_PAD src0_sel:WORD_1
	v_cvt_f32_f16_e32 v8, v9
	v_cvt_f32_f16_sdwa v9, v9 dst_sel:DWORD dst_unused:UNUSED_PAD src0_sel:WORD_1
	v_pk_fma_f32 v[2:3], v[0:1], v[2:3], 0 op_sel_hi:[0,1,0]
	v_mov_b32_e32 v0, v1
	v_pk_fma_f32 v[0:1], v[0:1], v[6:7], v[2:3] op_sel_hi:[0,1,1]
	v_pk_fma_f32 v[0:1], v[4:5], v[10:11], v[0:1] op_sel_hi:[0,1,1]
	v_mov_b32_e32 v2, v5
	v_add_u32_e32 v12, 0xe00, v14
	v_pk_fma_f32 v[0:1], v[2:3], v[8:9], v[0:1] op_sel_hi:[0,1,1]
	global_store_dwordx2 v12, v[0:1], s[6:7] offset:384
.LBB19_317:
	s_or_b64 exec, exec, s[4:5]
	s_barrier
	s_endpgm
	.section	.rodata,"a",@progbits
	.p2align	6, 0x0
	.amdhsa_kernel _ZL18flash_attn_ext_f16ILi112ELi112ELi16ELi1ELb0ELb0EEvPKcS1_S1_S1_S1_PKiPfP15HIP_vector_typeIfLj2EEffffjfiS5_IjLj3EEiiiiiiiiiiiliiliiiiil
		.amdhsa_group_segment_fixed_size 0
		.amdhsa_private_segment_fixed_size 32
		.amdhsa_kernarg_size 464
		.amdhsa_user_sgpr_count 8
		.amdhsa_user_sgpr_private_segment_buffer 1
		.amdhsa_user_sgpr_dispatch_ptr 0
		.amdhsa_user_sgpr_queue_ptr 0
		.amdhsa_user_sgpr_kernarg_segment_ptr 1
		.amdhsa_user_sgpr_dispatch_id 0
		.amdhsa_user_sgpr_flat_scratch_init 1
		.amdhsa_user_sgpr_kernarg_preload_length 0
		.amdhsa_user_sgpr_kernarg_preload_offset 0
		.amdhsa_user_sgpr_private_segment_size 0
		.amdhsa_uses_dynamic_stack 0
		.amdhsa_system_sgpr_private_segment_wavefront_offset 1
		.amdhsa_system_sgpr_workgroup_id_x 1
		.amdhsa_system_sgpr_workgroup_id_y 0
		.amdhsa_system_sgpr_workgroup_id_z 0
		.amdhsa_system_sgpr_workgroup_info 0
		.amdhsa_system_vgpr_workitem_id 1
		.amdhsa_next_free_vgpr 215
		.amdhsa_next_free_sgpr 100
		.amdhsa_accum_offset 216
		.amdhsa_reserve_vcc 1
		.amdhsa_reserve_flat_scratch 1
		.amdhsa_float_round_mode_32 0
		.amdhsa_float_round_mode_16_64 0
		.amdhsa_float_denorm_mode_32 3
		.amdhsa_float_denorm_mode_16_64 3
		.amdhsa_dx10_clamp 1
		.amdhsa_ieee_mode 1
		.amdhsa_fp16_overflow 0
		.amdhsa_tg_split 0
		.amdhsa_exception_fp_ieee_invalid_op 0
		.amdhsa_exception_fp_denorm_src 0
		.amdhsa_exception_fp_ieee_div_zero 0
		.amdhsa_exception_fp_ieee_overflow 0
		.amdhsa_exception_fp_ieee_underflow 0
		.amdhsa_exception_fp_ieee_inexact 0
		.amdhsa_exception_int_div_zero 0
	.end_amdhsa_kernel
	.section	.text._ZL18flash_attn_ext_f16ILi112ELi112ELi16ELi1ELb0ELb0EEvPKcS1_S1_S1_S1_PKiPfP15HIP_vector_typeIfLj2EEffffjfiS5_IjLj3EEiiiiiiiiiiiliiliiiiil,"axG",@progbits,_ZL18flash_attn_ext_f16ILi112ELi112ELi16ELi1ELb0ELb0EEvPKcS1_S1_S1_S1_PKiPfP15HIP_vector_typeIfLj2EEffffjfiS5_IjLj3EEiiiiiiiiiiiliiliiiiil,comdat
.Lfunc_end19:
	.size	_ZL18flash_attn_ext_f16ILi112ELi112ELi16ELi1ELb0ELb0EEvPKcS1_S1_S1_S1_PKiPfP15HIP_vector_typeIfLj2EEffffjfiS5_IjLj3EEiiiiiiiiiiiliiliiiiil, .Lfunc_end19-_ZL18flash_attn_ext_f16ILi112ELi112ELi16ELi1ELb0ELb0EEvPKcS1_S1_S1_S1_PKiPfP15HIP_vector_typeIfLj2EEffffjfiS5_IjLj3EEiiiiiiiiiiiliiliiiiil
                                        ; -- End function
	.section	.AMDGPU.csdata,"",@progbits
; Kernel info:
; codeLenInByte = 44692
; NumSgprs: 106
; NumVgprs: 215
; NumAgprs: 0
; TotalNumVgprs: 215
; ScratchSize: 32
; MemoryBound: 0
; FloatMode: 240
; IeeeMode: 1
; LDSByteSize: 0 bytes/workgroup (compile time only)
; SGPRBlocks: 13
; VGPRBlocks: 26
; NumSGPRsForWavesPerEU: 106
; NumVGPRsForWavesPerEU: 215
; AccumOffset: 216
; Occupancy: 2
; WaveLimiterHint : 1
; COMPUTE_PGM_RSRC2:SCRATCH_EN: 1
; COMPUTE_PGM_RSRC2:USER_SGPR: 8
; COMPUTE_PGM_RSRC2:TRAP_HANDLER: 0
; COMPUTE_PGM_RSRC2:TGID_X_EN: 1
; COMPUTE_PGM_RSRC2:TGID_Y_EN: 0
; COMPUTE_PGM_RSRC2:TGID_Z_EN: 0
; COMPUTE_PGM_RSRC2:TIDIG_COMP_CNT: 1
; COMPUTE_PGM_RSRC3_GFX90A:ACCUM_OFFSET: 53
; COMPUTE_PGM_RSRC3_GFX90A:TG_SPLIT: 0
	.section	.text._ZL18flash_attn_ext_f16ILi112ELi112ELi16ELi1ELb1ELb0EEvPKcS1_S1_S1_S1_PKiPfP15HIP_vector_typeIfLj2EEffffjfiS5_IjLj3EEiiiiiiiiiiiliiliiiiil,"axG",@progbits,_ZL18flash_attn_ext_f16ILi112ELi112ELi16ELi1ELb1ELb0EEvPKcS1_S1_S1_S1_PKiPfP15HIP_vector_typeIfLj2EEffffjfiS5_IjLj3EEiiiiiiiiiiiliiliiiiil,comdat
	.globl	_ZL18flash_attn_ext_f16ILi112ELi112ELi16ELi1ELb1ELb0EEvPKcS1_S1_S1_S1_PKiPfP15HIP_vector_typeIfLj2EEffffjfiS5_IjLj3EEiiiiiiiiiiiliiliiiiil ; -- Begin function _ZL18flash_attn_ext_f16ILi112ELi112ELi16ELi1ELb1ELb0EEvPKcS1_S1_S1_S1_PKiPfP15HIP_vector_typeIfLj2EEffffjfiS5_IjLj3EEiiiiiiiiiiiliiliiiiil
	.p2align	8
	.type	_ZL18flash_attn_ext_f16ILi112ELi112ELi16ELi1ELb1ELb0EEvPKcS1_S1_S1_S1_PKiPfP15HIP_vector_typeIfLj2EEffffjfiS5_IjLj3EEiiiiiiiiiiiliiliiiiil,@function
_ZL18flash_attn_ext_f16ILi112ELi112ELi16ELi1ELb1ELb0EEvPKcS1_S1_S1_S1_PKiPfP15HIP_vector_typeIfLj2EEffffjfiS5_IjLj3EEiiiiiiiiiiiliiliiiiil: ; @_ZL18flash_attn_ext_f16ILi112ELi112ELi16ELi1ELb1ELb0EEvPKcS1_S1_S1_S1_PKiPfP15HIP_vector_typeIfLj2EEffffjfiS5_IjLj3EEiiiiiiiiiiiliiliiiiil
; %bb.0:
	s_add_u32 flat_scratch_lo, s6, s9
	s_addc_u32 flat_scratch_hi, s7, 0
	s_add_u32 s0, s0, s9
	s_addc_u32 s1, s1, 0
	s_add_u32 s8, s4, 0xd0
	s_addc_u32 s9, s5, 0
	s_mov_b32 s32, 0
	s_getpc_b64 s[4:5]
	s_add_u32 s4, s4, _ZL14no_device_codePKciS0_iS0_@rel32@lo+4
	s_addc_u32 s5, s5, _ZL14no_device_codePKciS0_iS0_@rel32@hi+12
	s_swappc_b64 s[30:31], s[4:5]
	.section	.rodata,"a",@progbits
	.p2align	6, 0x0
	.amdhsa_kernel _ZL18flash_attn_ext_f16ILi112ELi112ELi16ELi1ELb1ELb0EEvPKcS1_S1_S1_S1_PKiPfP15HIP_vector_typeIfLj2EEffffjfiS5_IjLj3EEiiiiiiiiiiiliiliiiiil
		.amdhsa_group_segment_fixed_size 0
		.amdhsa_private_segment_fixed_size 16
		.amdhsa_kernarg_size 464
		.amdhsa_user_sgpr_count 8
		.amdhsa_user_sgpr_private_segment_buffer 1
		.amdhsa_user_sgpr_dispatch_ptr 0
		.amdhsa_user_sgpr_queue_ptr 0
		.amdhsa_user_sgpr_kernarg_segment_ptr 1
		.amdhsa_user_sgpr_dispatch_id 0
		.amdhsa_user_sgpr_flat_scratch_init 1
		.amdhsa_user_sgpr_kernarg_preload_length 0
		.amdhsa_user_sgpr_kernarg_preload_offset 0
		.amdhsa_user_sgpr_private_segment_size 0
		.amdhsa_uses_dynamic_stack 0
		.amdhsa_system_sgpr_private_segment_wavefront_offset 1
		.amdhsa_system_sgpr_workgroup_id_x 1
		.amdhsa_system_sgpr_workgroup_id_y 0
		.amdhsa_system_sgpr_workgroup_id_z 0
		.amdhsa_system_sgpr_workgroup_info 0
		.amdhsa_system_vgpr_workitem_id 0
		.amdhsa_next_free_vgpr 39
		.amdhsa_next_free_sgpr 34
		.amdhsa_accum_offset 40
		.amdhsa_reserve_vcc 1
		.amdhsa_reserve_flat_scratch 1
		.amdhsa_float_round_mode_32 0
		.amdhsa_float_round_mode_16_64 0
		.amdhsa_float_denorm_mode_32 3
		.amdhsa_float_denorm_mode_16_64 3
		.amdhsa_dx10_clamp 1
		.amdhsa_ieee_mode 1
		.amdhsa_fp16_overflow 0
		.amdhsa_tg_split 0
		.amdhsa_exception_fp_ieee_invalid_op 0
		.amdhsa_exception_fp_denorm_src 0
		.amdhsa_exception_fp_ieee_div_zero 0
		.amdhsa_exception_fp_ieee_overflow 0
		.amdhsa_exception_fp_ieee_underflow 0
		.amdhsa_exception_fp_ieee_inexact 0
		.amdhsa_exception_int_div_zero 0
	.end_amdhsa_kernel
	.section	.text._ZL18flash_attn_ext_f16ILi112ELi112ELi16ELi1ELb1ELb0EEvPKcS1_S1_S1_S1_PKiPfP15HIP_vector_typeIfLj2EEffffjfiS5_IjLj3EEiiiiiiiiiiiliiliiiiil,"axG",@progbits,_ZL18flash_attn_ext_f16ILi112ELi112ELi16ELi1ELb1ELb0EEvPKcS1_S1_S1_S1_PKiPfP15HIP_vector_typeIfLj2EEffffjfiS5_IjLj3EEiiiiiiiiiiiliiliiiiil,comdat
.Lfunc_end20:
	.size	_ZL18flash_attn_ext_f16ILi112ELi112ELi16ELi1ELb1ELb0EEvPKcS1_S1_S1_S1_PKiPfP15HIP_vector_typeIfLj2EEffffjfiS5_IjLj3EEiiiiiiiiiiiliiliiiiil, .Lfunc_end20-_ZL18flash_attn_ext_f16ILi112ELi112ELi16ELi1ELb1ELb0EEvPKcS1_S1_S1_S1_PKiPfP15HIP_vector_typeIfLj2EEffffjfiS5_IjLj3EEiiiiiiiiiiiliiliiiiil
                                        ; -- End function
	.section	.AMDGPU.csdata,"",@progbits
; Kernel info:
; codeLenInByte = 56
; NumSgprs: 40
; NumVgprs: 39
; NumAgprs: 0
; TotalNumVgprs: 39
; ScratchSize: 16
; MemoryBound: 0
; FloatMode: 240
; IeeeMode: 1
; LDSByteSize: 0 bytes/workgroup (compile time only)
; SGPRBlocks: 4
; VGPRBlocks: 4
; NumSGPRsForWavesPerEU: 40
; NumVGPRsForWavesPerEU: 39
; AccumOffset: 40
; Occupancy: 8
; WaveLimiterHint : 1
; COMPUTE_PGM_RSRC2:SCRATCH_EN: 1
; COMPUTE_PGM_RSRC2:USER_SGPR: 8
; COMPUTE_PGM_RSRC2:TRAP_HANDLER: 0
; COMPUTE_PGM_RSRC2:TGID_X_EN: 1
; COMPUTE_PGM_RSRC2:TGID_Y_EN: 0
; COMPUTE_PGM_RSRC2:TGID_Z_EN: 0
; COMPUTE_PGM_RSRC2:TIDIG_COMP_CNT: 0
; COMPUTE_PGM_RSRC3_GFX90A:ACCUM_OFFSET: 9
; COMPUTE_PGM_RSRC3_GFX90A:TG_SPLIT: 0
	.section	.text._ZL33flash_attn_stream_k_fixup_uniformILi112ELi16ELi1EEvPfPK15HIP_vector_typeIfLj2EEiiiiiiS1_IjLj3EES5_S5_,"axG",@progbits,_ZL33flash_attn_stream_k_fixup_uniformILi112ELi16ELi1EEvPfPK15HIP_vector_typeIfLj2EEiiiiiiS1_IjLj3EES5_S5_,comdat
	.globl	_ZL33flash_attn_stream_k_fixup_uniformILi112ELi16ELi1EEvPfPK15HIP_vector_typeIfLj2EEiiiiiiS1_IjLj3EES5_S5_ ; -- Begin function _ZL33flash_attn_stream_k_fixup_uniformILi112ELi16ELi1EEvPfPK15HIP_vector_typeIfLj2EEiiiiiiS1_IjLj3EES5_S5_
	.p2align	8
	.type	_ZL33flash_attn_stream_k_fixup_uniformILi112ELi16ELi1EEvPfPK15HIP_vector_typeIfLj2EEiiiiiiS1_IjLj3EES5_S5_,@function
_ZL33flash_attn_stream_k_fixup_uniformILi112ELi16ELi1EEvPfPK15HIP_vector_typeIfLj2EEiiiiiiS1_IjLj3EES5_S5_: ; @_ZL33flash_attn_stream_k_fixup_uniformILi112ELi16ELi1EEvPfPK15HIP_vector_typeIfLj2EEiiiiiiS1_IjLj3EES5_S5_
; %bb.0:
	s_load_dwordx8 s[12:19], s[4:5], 0x1c
	s_load_dwordx2 s[10:11], s[4:5], 0x10
	s_load_dwordx4 s[0:3], s[4:5], 0x3c
	s_waitcnt lgkmcnt(0)
	s_mul_hi_u32 s9, s15, s6
	s_add_i32 s9, s6, s9
	s_lshr_b32 s9, s9, s16
	s_mul_i32 s15, s9, s17
	s_sub_i32 s16, s6, s15
	s_mul_hi_u32 s15, s16, s18
	s_add_i32 s15, s16, s15
	s_lshr_b32 s15, s15, s19
	s_mul_i32 s0, s15, s0
	s_sub_i32 s0, s16, s0
	;; [unrolled: 5-line block ×3, first 2 shown]
	s_lshl_b32 s0, s16, 4
	s_add_i32 s0, s0, s7
	s_cmp_lt_i32 s0, s10
	s_cselect_b64 s[0:1], -1, 0
	s_add_i32 s17, s17, s8
	s_cmp_lt_i32 s17, s13
	s_cselect_b64 s[2:3], -1, 0
	s_and_b64 s[0:1], s[0:1], s[2:3]
	s_andn2_b64 vcc, exec, s[0:1]
	s_cbranch_vccnz .LBB21_6
; %bb.1:
	s_load_dwordx4 s[0:3], s[4:5], 0x0
	s_mul_i32 s4, s9, s10
	s_mul_i32 s15, s15, s13
	s_add_i32 s4, s4, s7
	s_mul_i32 s4, s4, s11
	s_add_i32 s9, s17, s15
	;; [unrolled: 2-line block ×3, first 2 shown]
	s_mulk_i32 s5, 0x700
	s_mulk_i32 s4, 0x70
	s_add_i32 s4, s4, s5
	v_add_u32_e32 v2, s4, v0
	v_ashrrev_i32_e32 v3, 31, v2
	v_lshlrev_b64 v[2:3], 2, v[2:3]
	s_waitcnt lgkmcnt(0)
	v_mov_b32_e32 v1, s1
	v_add_co_u32_e32 v2, vcc, s0, v2
	v_addc_co_u32_e32 v3, vcc, v1, v3, vcc
	global_load_dword v8, v[2:3], off
	s_add_i32 s4, s7, s8
	s_mul_i32 s7, s6, s14
	s_add_i32 s5, s7, s14
	s_lshl_b32 s0, s5, 4
	s_add_i32 s0, s4, s0
	s_add_i32 s0, s0, -16
	s_ashr_i32 s1, s0, 31
	s_lshl_b64 s[0:1], s[0:1], 3
	s_add_u32 s0, s2, s0
	s_addc_u32 s1, s3, s1
	s_load_dword s10, s[0:1], 0x4
	s_add_i32 s8, s5, -2
	s_cmp_lt_i32 s8, s7
	s_cbranch_scc1 .LBB21_4
; %bb.2:
	s_lshl_b32 s8, s12, 6
	s_ashr_i32 s9, s8, 31
	s_lshl_b64 s[8:9], s[8:9], 2
	s_add_u32 s8, s2, s8
	s_addc_u32 s11, s3, s9
	s_load_dword s0, s[0:1], 0x0
	s_add_i32 s6, s6, 1
	s_add_i32 s9, s5, -1
	s_mul_i32 s5, s14, s6
	s_mul_i32 s1, s4, 0x70
	s_lshl_b32 s6, s5, 4
	s_mulk_i32 s5, 0x700
	s_add_i32 s4, s4, s6
	s_lshl_b32 s6, s12, 4
	s_add_i32 s1, s1, s5
	s_add_i32 s4, s4, s6
	v_add_u32_e32 v0, s1, v0
	s_sub_i32 s4, s4, 32
	v_add_u32_e32 v0, 0xfffff200, v0
	s_waitcnt lgkmcnt(0)
	v_mov_b32_e32 v7, s10
	v_mov_b32_e32 v6, s0
	;; [unrolled: 1-line block ×3, first 2 shown]
	s_mov_b32 s6, 0x3fb8aa3b
	s_mov_b32 s10, 0xc2ce8ed0
	;; [unrolled: 1-line block ×3, first 2 shown]
	v_mov_b32_e32 v5, 0x7f800000
	s_mov_b32 s12, 0xc1a00000
.LBB21_3:                               ; =>This Inner Loop Header: Depth=1
	v_ashrrev_i32_e32 v1, 31, v0
	v_lshlrev_b64 v[10:11], 2, v[0:1]
	v_add_co_u32_e32 v10, vcc, s8, v10
	v_addc_co_u32_e32 v11, vcc, v4, v11, vcc
	global_load_dword v1, v[10:11], off
	s_ashr_i32 s5, s4, 31
	s_lshl_b64 s[0:1], s[4:5], 3
	s_add_u32 s0, s2, s0
	s_addc_u32 s1, s3, s1
	s_load_dwordx2 s[14:15], s[0:1], 0x0
	s_waitcnt vmcnt(1)
	v_mov_b32_e32 v9, v8
	v_max_f32_e32 v8, v6, v6
	v_mov_b32_e32 v10, v7
	s_add_i32 s9, s9, -1
	s_waitcnt lgkmcnt(0)
	v_max_f32_e64 v7, s14, s14
	v_max_f32_e32 v7, v8, v7
	v_sub_f32_e32 v11, s14, v7
	v_sub_f32_e32 v8, v6, v7
	v_mul_f32_e32 v12, 0x3fb8aa3b, v11
	v_mov_b32_e32 v6, v7
	v_mul_f32_e32 v7, 0x3fb8aa3b, v8
	v_fma_f32 v15, v11, s6, -v12
	v_rndne_f32_e32 v16, v12
	v_fma_f32 v13, v8, s6, -v7
	v_rndne_f32_e32 v14, v7
	v_fmac_f32_e32 v15, 0x32a5705f, v11
	v_sub_f32_e32 v12, v12, v16
	v_fmac_f32_e32 v13, 0x32a5705f, v8
	v_sub_f32_e32 v7, v7, v14
	v_add_f32_e32 v12, v12, v15
	v_cvt_i32_f32_e32 v16, v16
	v_add_f32_e32 v7, v7, v13
	v_exp_f32_e32 v12, v12
	v_cvt_i32_f32_e32 v14, v14
	v_exp_f32_e32 v7, v7
	v_cmp_ngt_f32_e32 vcc, s10, v11
	v_ldexp_f32 v12, v12, v16
	v_cmp_ngt_f32_e64 s[0:1], s10, v8
	v_ldexp_f32 v7, v7, v14
	v_cndmask_b32_e32 v12, 0, v12, vcc
	v_cmp_nlt_f32_e32 vcc, s11, v11
	v_cndmask_b32_e64 v7, 0, v7, s[0:1]
	v_cmp_nlt_f32_e64 s[0:1], s11, v8
	v_cndmask_b32_e32 v12, v5, v12, vcc
	v_cmp_le_f32_e32 vcc, s12, v11
	v_cndmask_b32_e64 v7, v5, v7, s[0:1]
	v_cmp_le_f32_e64 s[0:1], s12, v8
	v_cndmask_b32_e32 v8, 0, v12, vcc
	s_add_i32 s4, s4, -16
	v_cndmask_b32_e64 v11, 0, v7, s[0:1]
	v_mul_f32_e32 v7, s15, v8
	v_add_u32_e32 v0, 0xfffff900, v0
	s_cmp_le_i32 s9, s7
	v_fmac_f32_e32 v7, v10, v11
	s_waitcnt vmcnt(0)
	v_mul_f32_e32 v8, v1, v8
	v_fmac_f32_e32 v8, v9, v11
	s_cbranch_scc0 .LBB21_3
	s_branch .LBB21_5
.LBB21_4:
	s_waitcnt lgkmcnt(0)
	v_mov_b32_e32 v7, s10
.LBB21_5:
	s_waitcnt vmcnt(0)
	v_div_scale_f32 v0, s[0:1], v7, v7, v8
	v_rcp_f32_e32 v1, v0
	v_div_scale_f32 v4, vcc, v8, v7, v8
	v_fma_f32 v5, -v0, v1, 1.0
	v_fmac_f32_e32 v1, v5, v1
	v_mul_f32_e32 v5, v4, v1
	v_fma_f32 v6, -v0, v5, v4
	v_fmac_f32_e32 v5, v6, v1
	v_fma_f32 v0, -v0, v5, v4
	v_div_fmas_f32 v0, v0, v1, v5
	v_div_fixup_f32 v0, v0, v7, v8
	global_store_dword v[2:3], v0, off
.LBB21_6:
	s_endpgm
	.section	.rodata,"a",@progbits
	.p2align	6, 0x0
	.amdhsa_kernel _ZL33flash_attn_stream_k_fixup_uniformILi112ELi16ELi1EEvPfPK15HIP_vector_typeIfLj2EEiiiiiiS1_IjLj3EES5_S5_
		.amdhsa_group_segment_fixed_size 0
		.amdhsa_private_segment_fixed_size 0
		.amdhsa_kernarg_size 76
		.amdhsa_user_sgpr_count 6
		.amdhsa_user_sgpr_private_segment_buffer 1
		.amdhsa_user_sgpr_dispatch_ptr 0
		.amdhsa_user_sgpr_queue_ptr 0
		.amdhsa_user_sgpr_kernarg_segment_ptr 1
		.amdhsa_user_sgpr_dispatch_id 0
		.amdhsa_user_sgpr_flat_scratch_init 0
		.amdhsa_user_sgpr_kernarg_preload_length 0
		.amdhsa_user_sgpr_kernarg_preload_offset 0
		.amdhsa_user_sgpr_private_segment_size 0
		.amdhsa_uses_dynamic_stack 0
		.amdhsa_system_sgpr_private_segment_wavefront_offset 0
		.amdhsa_system_sgpr_workgroup_id_x 1
		.amdhsa_system_sgpr_workgroup_id_y 1
		.amdhsa_system_sgpr_workgroup_id_z 1
		.amdhsa_system_sgpr_workgroup_info 0
		.amdhsa_system_vgpr_workitem_id 0
		.amdhsa_next_free_vgpr 17
		.amdhsa_next_free_sgpr 20
		.amdhsa_accum_offset 20
		.amdhsa_reserve_vcc 1
		.amdhsa_reserve_flat_scratch 0
		.amdhsa_float_round_mode_32 0
		.amdhsa_float_round_mode_16_64 0
		.amdhsa_float_denorm_mode_32 3
		.amdhsa_float_denorm_mode_16_64 3
		.amdhsa_dx10_clamp 1
		.amdhsa_ieee_mode 1
		.amdhsa_fp16_overflow 0
		.amdhsa_tg_split 0
		.amdhsa_exception_fp_ieee_invalid_op 0
		.amdhsa_exception_fp_denorm_src 0
		.amdhsa_exception_fp_ieee_div_zero 0
		.amdhsa_exception_fp_ieee_overflow 0
		.amdhsa_exception_fp_ieee_underflow 0
		.amdhsa_exception_fp_ieee_inexact 0
		.amdhsa_exception_int_div_zero 0
	.end_amdhsa_kernel
	.section	.text._ZL33flash_attn_stream_k_fixup_uniformILi112ELi16ELi1EEvPfPK15HIP_vector_typeIfLj2EEiiiiiiS1_IjLj3EES5_S5_,"axG",@progbits,_ZL33flash_attn_stream_k_fixup_uniformILi112ELi16ELi1EEvPfPK15HIP_vector_typeIfLj2EEiiiiiiS1_IjLj3EES5_S5_,comdat
.Lfunc_end21:
	.size	_ZL33flash_attn_stream_k_fixup_uniformILi112ELi16ELi1EEvPfPK15HIP_vector_typeIfLj2EEiiiiiiS1_IjLj3EES5_S5_, .Lfunc_end21-_ZL33flash_attn_stream_k_fixup_uniformILi112ELi16ELi1EEvPfPK15HIP_vector_typeIfLj2EEiiiiiiS1_IjLj3EES5_S5_
                                        ; -- End function
	.section	.AMDGPU.csdata,"",@progbits
; Kernel info:
; codeLenInByte = 836
; NumSgprs: 24
; NumVgprs: 17
; NumAgprs: 0
; TotalNumVgprs: 17
; ScratchSize: 0
; MemoryBound: 0
; FloatMode: 240
; IeeeMode: 1
; LDSByteSize: 0 bytes/workgroup (compile time only)
; SGPRBlocks: 2
; VGPRBlocks: 2
; NumSGPRsForWavesPerEU: 24
; NumVGPRsForWavesPerEU: 17
; AccumOffset: 20
; Occupancy: 8
; WaveLimiterHint : 0
; COMPUTE_PGM_RSRC2:SCRATCH_EN: 0
; COMPUTE_PGM_RSRC2:USER_SGPR: 6
; COMPUTE_PGM_RSRC2:TRAP_HANDLER: 0
; COMPUTE_PGM_RSRC2:TGID_X_EN: 1
; COMPUTE_PGM_RSRC2:TGID_Y_EN: 1
; COMPUTE_PGM_RSRC2:TGID_Z_EN: 1
; COMPUTE_PGM_RSRC2:TIDIG_COMP_CNT: 0
; COMPUTE_PGM_RSRC3_GFX90A:ACCUM_OFFSET: 4
; COMPUTE_PGM_RSRC3_GFX90A:TG_SPLIT: 0
	.section	.text._ZL33flash_attn_stream_k_fixup_generalILi112ELi16ELi1EEvPfPK15HIP_vector_typeIfLj2EEiiiiS1_IjLj3EES5_S5_S5_,"axG",@progbits,_ZL33flash_attn_stream_k_fixup_generalILi112ELi16ELi1EEvPfPK15HIP_vector_typeIfLj2EEiiiiS1_IjLj3EES5_S5_S5_,comdat
	.globl	_ZL33flash_attn_stream_k_fixup_generalILi112ELi16ELi1EEvPfPK15HIP_vector_typeIfLj2EEiiiiS1_IjLj3EES5_S5_S5_ ; -- Begin function _ZL33flash_attn_stream_k_fixup_generalILi112ELi16ELi1EEvPfPK15HIP_vector_typeIfLj2EEiiiiS1_IjLj3EES5_S5_S5_
	.p2align	8
	.type	_ZL33flash_attn_stream_k_fixup_generalILi112ELi16ELi1EEvPfPK15HIP_vector_typeIfLj2EEiiiiS1_IjLj3EES5_S5_S5_,@function
_ZL33flash_attn_stream_k_fixup_generalILi112ELi16ELi1EEvPfPK15HIP_vector_typeIfLj2EEiiiiS1_IjLj3EES5_S5_S5_: ; @_ZL33flash_attn_stream_k_fixup_generalILi112ELi16ELi1EEvPfPK15HIP_vector_typeIfLj2EEiiiiS1_IjLj3EES5_S5_S5_
; %bb.0:
	s_load_dwordx4 s[12:15], s[4:5], 0x10
	s_load_dword s9, s[4:5], 0x50
	s_mov_b32 s2, 0
	s_waitcnt lgkmcnt(0)
	s_mul_hi_i32 s3, s15, s6
	s_cmp_lg_u64 s[2:3], 0
	s_mul_i32 s2, s15, s6
	s_cbranch_scc0 .LBB22_21
; %bb.1:
	v_cvt_f32_u32_e32 v1, s9
	v_cvt_f32_ubyte0_e32 v2, 0
	s_sub_u32 s10, 0, s9
	s_subb_u32 s11, 0, 0
	v_madmk_f32 v1, v2, 0x4f800000, v1
	v_rcp_f32_e32 v1, v1
	v_mul_f32_e32 v1, 0x5f7ffffc, v1
	v_mul_f32_e32 v2, 0x2f800000, v1
	v_trunc_f32_e32 v2, v2
	v_madmk_f32 v1, v2, 0xcf800000, v1
	v_cvt_u32_f32_e32 v2, v2
	v_cvt_u32_f32_e32 v1, v1
	v_readfirstlane_b32 s16, v2
	v_readfirstlane_b32 s17, v1
	s_mul_i32 s18, s10, s16
	s_mul_hi_u32 s20, s10, s17
	s_mul_i32 s19, s11, s17
	s_add_i32 s18, s20, s18
	s_add_i32 s18, s18, s19
	s_mul_i32 s21, s10, s17
	s_mul_hi_u32 s19, s17, s18
	s_mul_i32 s20, s17, s18
	s_mul_hi_u32 s17, s17, s21
	s_add_u32 s17, s17, s20
	s_addc_u32 s19, 0, s19
	s_mul_hi_u32 s22, s16, s21
	s_mul_i32 s21, s16, s21
	s_add_u32 s17, s17, s21
	s_mul_hi_u32 s20, s16, s18
	s_addc_u32 s17, s19, s22
	s_addc_u32 s19, s20, 0
	s_mul_i32 s18, s16, s18
	s_add_u32 s17, s17, s18
	s_addc_u32 s18, 0, s19
	v_add_co_u32_e32 v1, vcc, s17, v1
	s_cmp_lg_u64 vcc, 0
	s_addc_u32 s16, s16, s18
	v_readfirstlane_b32 s18, v1
	s_mul_i32 s17, s10, s16
	s_mul_hi_u32 s19, s10, s18
	s_add_i32 s17, s19, s17
	s_mul_i32 s11, s11, s18
	s_add_i32 s17, s17, s11
	s_mul_i32 s10, s10, s18
	s_mul_hi_u32 s19, s16, s10
	s_mul_i32 s20, s16, s10
	s_mul_i32 s22, s18, s17
	s_mul_hi_u32 s10, s18, s10
	s_mul_hi_u32 s21, s18, s17
	s_add_u32 s10, s10, s22
	s_addc_u32 s18, 0, s21
	s_add_u32 s10, s10, s20
	s_mul_hi_u32 s11, s16, s17
	s_addc_u32 s10, s18, s19
	s_addc_u32 s11, s11, 0
	s_mul_i32 s17, s16, s17
	s_add_u32 s10, s10, s17
	s_addc_u32 s11, 0, s11
	v_add_co_u32_e32 v1, vcc, s10, v1
	s_cmp_lg_u64 vcc, 0
	s_addc_u32 s18, s16, s11
	s_ashr_i32 s10, s3, 31
	s_add_u32 s16, s2, s10
	s_mov_b32 s11, s10
	s_addc_u32 s17, s3, s10
	s_xor_b64 s[16:17], s[16:17], s[10:11]
	v_readfirstlane_b32 s20, v1
	s_mul_i32 s19, s16, s18
	s_mul_hi_u32 s21, s16, s20
	s_mul_hi_u32 s3, s16, s18
	s_add_u32 s19, s21, s19
	s_addc_u32 s3, 0, s3
	s_mul_hi_u32 s22, s17, s20
	s_mul_i32 s20, s17, s20
	s_add_u32 s19, s19, s20
	s_mul_hi_u32 s21, s17, s18
	s_addc_u32 s3, s3, s22
	s_addc_u32 s19, s21, 0
	s_mul_i32 s18, s17, s18
	s_add_u32 s3, s3, s18
	s_addc_u32 s18, 0, s19
	s_add_u32 s19, s3, 1
	s_addc_u32 s20, s18, 0
	s_add_u32 s21, s3, 2
	s_mul_i32 s23, s9, s18
	s_mul_hi_u32 s24, s9, s3
	s_addc_u32 s22, s18, 0
	s_add_i32 s24, s24, s23
	s_mul_i32 s23, s9, s3
	v_mov_b32_e32 v1, s23
	v_sub_co_u32_e32 v1, vcc, s16, v1
	s_cmp_lg_u64 vcc, 0
	s_subb_u32 s16, s17, s24
	v_subrev_co_u32_e32 v2, vcc, s9, v1
	s_cmp_lg_u64 vcc, 0
	s_subb_u32 s17, s16, 0
	v_readfirstlane_b32 s23, v2
	s_cmp_ge_u32 s23, s9
	s_cselect_b32 s23, -1, 0
	s_cmp_eq_u32 s17, 0
	s_cselect_b32 s17, s23, -1
	s_cmp_lg_u32 s17, 0
	s_cselect_b32 s17, s22, s20
	v_readfirstlane_b32 s20, v1
	s_cselect_b32 s19, s21, s19
	s_cmp_ge_u32 s20, s9
	s_cselect_b32 s20, -1, 0
	s_cmp_eq_u32 s16, 0
	s_cselect_b32 s16, s20, -1
	s_cmp_lg_u32 s16, 0
	s_cselect_b32 s17, s17, s18
	s_cselect_b32 s16, s19, s3
	s_xor_b64 s[16:17], s[16:17], s[10:11]
	s_sub_u32 s20, s16, s10
	s_load_dwordx4 s[16:19], s[4:5], 0x44
	s_cbranch_execnz .LBB22_3
.LBB22_2:
	v_cvt_f32_u32_e32 v1, s9
	s_sub_i32 s0, 0, s9
	v_rcp_iflag_f32_e32 v1, v1
	v_mul_f32_e32 v1, 0x4f7ffffe, v1
	v_cvt_u32_f32_e32 v1, v1
	v_readfirstlane_b32 s1, v1
	s_mul_i32 s0, s0, s1
	s_mul_hi_u32 s0, s1, s0
	s_add_i32 s1, s1, s0
	s_mul_hi_u32 s0, s2, s1
	s_mul_i32 s3, s0, s9
	s_sub_i32 s2, s2, s3
	s_add_i32 s1, s0, 1
	s_sub_i32 s3, s2, s9
	s_cmp_ge_u32 s2, s9
	s_cselect_b32 s0, s1, s0
	s_cselect_b32 s2, s3, s2
	s_add_i32 s1, s0, 1
	s_cmp_ge_u32 s2, s9
	s_cselect_b32 s20, s1, s0
.LBB22_3:
	s_add_i32 s0, s6, 1
	s_mul_hi_i32 s3, s15, s0
	s_mov_b32 s2, 0
	s_cmp_lg_u64 s[2:3], 0
	s_mul_i32 s2, s15, s0
	s_cbranch_scc0 .LBB22_22
; %bb.4:
	v_cvt_f32_u32_e32 v1, s9
	v_cvt_f32_ubyte0_e32 v2, 0
	s_sub_u32 s10, 0, s9
	s_subb_u32 s11, 0, 0
	v_madmk_f32 v1, v2, 0x4f800000, v1
	v_rcp_f32_e32 v1, v1
	v_mul_f32_e32 v1, 0x5f7ffffc, v1
	v_mul_f32_e32 v2, 0x2f800000, v1
	v_trunc_f32_e32 v2, v2
	v_madmk_f32 v1, v2, 0xcf800000, v1
	v_cvt_u32_f32_e32 v2, v2
	v_cvt_u32_f32_e32 v1, v1
	s_waitcnt lgkmcnt(0)
	v_readfirstlane_b32 s19, v2
	v_readfirstlane_b32 s21, v1
	s_mul_i32 s22, s10, s19
	s_mul_hi_u32 s24, s10, s21
	s_mul_i32 s23, s11, s21
	s_add_i32 s22, s24, s22
	s_add_i32 s22, s22, s23
	s_mul_i32 s25, s10, s21
	s_mul_hi_u32 s23, s21, s22
	s_mul_i32 s24, s21, s22
	s_mul_hi_u32 s21, s21, s25
	s_add_u32 s21, s21, s24
	s_addc_u32 s23, 0, s23
	s_mul_hi_u32 s26, s19, s25
	s_mul_i32 s25, s19, s25
	s_add_u32 s21, s21, s25
	s_mul_hi_u32 s24, s19, s22
	s_addc_u32 s21, s23, s26
	s_addc_u32 s23, s24, 0
	s_mul_i32 s22, s19, s22
	s_add_u32 s21, s21, s22
	s_addc_u32 s22, 0, s23
	v_add_co_u32_e32 v1, vcc, s21, v1
	s_cmp_lg_u64 vcc, 0
	s_addc_u32 s19, s19, s22
	v_readfirstlane_b32 s22, v1
	s_mul_i32 s21, s10, s19
	s_mul_hi_u32 s23, s10, s22
	s_add_i32 s21, s23, s21
	s_mul_i32 s11, s11, s22
	s_add_i32 s21, s21, s11
	s_mul_i32 s10, s10, s22
	s_mul_hi_u32 s23, s19, s10
	s_mul_i32 s24, s19, s10
	s_mul_i32 s26, s22, s21
	s_mul_hi_u32 s10, s22, s10
	s_mul_hi_u32 s25, s22, s21
	s_add_u32 s10, s10, s26
	s_addc_u32 s22, 0, s25
	s_add_u32 s10, s10, s24
	s_mul_hi_u32 s11, s19, s21
	s_addc_u32 s10, s22, s23
	s_addc_u32 s11, s11, 0
	s_mul_i32 s21, s19, s21
	s_add_u32 s10, s10, s21
	s_addc_u32 s11, 0, s11
	v_add_co_u32_e32 v1, vcc, s10, v1
	s_cmp_lg_u64 vcc, 0
	s_addc_u32 s19, s19, s11
	s_ashr_i32 s10, s3, 31
	s_add_u32 s22, s2, s10
	s_mov_b32 s11, s10
	s_addc_u32 s23, s3, s10
	s_xor_b64 s[22:23], s[22:23], s[10:11]
	v_readfirstlane_b32 s21, v1
	s_mul_i32 s11, s22, s19
	s_mul_hi_u32 s24, s22, s21
	s_mul_hi_u32 s3, s22, s19
	s_add_u32 s11, s24, s11
	s_addc_u32 s3, 0, s3
	s_mul_hi_u32 s25, s23, s21
	s_mul_i32 s21, s23, s21
	s_add_u32 s11, s11, s21
	s_mul_hi_u32 s24, s23, s19
	s_addc_u32 s3, s3, s25
	s_addc_u32 s11, s24, 0
	s_mul_i32 s19, s23, s19
	s_add_u32 s3, s3, s19
	s_addc_u32 s11, 0, s11
	s_mul_i32 s11, s9, s11
	s_mul_hi_u32 s24, s9, s3
	s_add_i32 s24, s24, s11
	s_mul_i32 s11, s9, s3
	v_mov_b32_e32 v1, s11
	s_add_u32 s19, s3, 1
	s_add_u32 s21, s3, 2
	v_sub_co_u32_e32 v1, vcc, s22, v1
	s_cmp_lg_u64 vcc, 0
	s_subb_u32 s11, s23, s24
	v_subrev_co_u32_e32 v2, vcc, s9, v1
	s_cmp_lg_u64 vcc, 0
	s_subb_u32 s22, s11, 0
	v_cmp_le_u32_e32 vcc, s9, v2
	s_cmp_eq_u32 s22, 0
	v_cndmask_b32_e64 v2, 0, -1, vcc
	s_cselect_b64 vcc, -1, 0
	v_cndmask_b32_e32 v2, -1, v2, vcc
	v_mov_b32_e32 v3, s19
	v_mov_b32_e32 v4, s21
	v_cmp_ne_u32_e32 vcc, 0, v2
	v_cndmask_b32_e32 v2, v3, v4, vcc
	v_cmp_le_u32_e32 vcc, s9, v1
	s_cmp_eq_u32 s11, 0
	v_cndmask_b32_e64 v1, 0, -1, vcc
	s_cselect_b64 vcc, -1, 0
	v_cndmask_b32_e32 v1, -1, v1, vcc
	v_mov_b32_e32 v3, s3
	v_cmp_ne_u32_e32 vcc, 0, v1
	v_cndmask_b32_e32 v1, v3, v2, vcc
	v_xor_b32_e32 v1, s10, v1
	v_subrev_co_u32_e32 v2, vcc, s10, v1
	s_cbranch_execnz .LBB22_6
.LBB22_5:
	v_cvt_f32_u32_e32 v1, s9
	s_sub_i32 s0, 0, s9
	s_mov_b32 s1, 0
	v_rcp_iflag_f32_e32 v1, v1
	v_mul_f32_e32 v1, 0x4f7ffffe, v1
	v_cvt_u32_f32_e32 v1, v1
	v_readfirstlane_b32 s3, v1
	s_mul_i32 s0, s0, s3
	s_mul_hi_u32 s0, s3, s0
	s_add_i32 s3, s3, s0
	s_mul_hi_u32 s0, s2, s3
	s_mul_i32 s10, s0, s9
	s_sub_i32 s2, s2, s10
	s_add_i32 s3, s0, 1
	s_sub_i32 s10, s2, s9
	s_cmp_ge_u32 s2, s9
	s_cselect_b32 s0, s3, s0
	s_cselect_b32 s2, s10, s2
	s_add_i32 s3, s0, 1
	s_cmp_ge_u32 s2, s9
	s_cselect_b32 s0, s3, s0
	v_pk_mov_b32 v[2:3], s[0:1], s[0:1] op_sel:[0,1]
.LBB22_6:
	s_waitcnt lgkmcnt(0)
	s_mul_hi_u32 s0, s20, s16
	s_add_i32 s0, s0, s20
	v_mul_hi_u32 v1, v2, s16
	s_lshr_b32 s19, s0, s17
	v_add_u32_e32 v1, v1, v2
	s_mul_i32 s0, s19, s18
	v_lshrrev_b32_e32 v1, s17, v1
	s_cmp_eq_u32 s0, s20
	v_cmp_eq_u32_e64 s[0:1], s19, v1
	v_mul_lo_u32 v1, v1, s18
	v_cmp_eq_u32_e32 vcc, s20, v2
	s_cselect_b64 s[10:11], -1, 0
	v_cmp_ne_u32_e64 s[2:3], v1, v2
	s_and_b64 s[0:1], s[0:1], s[2:3]
	s_or_b64 s[2:3], vcc, s[10:11]
	s_or_b64 s[0:1], s[2:3], s[0:1]
	s_and_b64 vcc, exec, s[0:1]
	s_cbranch_vccnz .LBB22_24
; %bb.7:
	s_load_dwordx8 s[24:31], s[4:5], 0x20
	s_load_dword s0, s[4:5], 0x40
	s_mov_b32 s10, 0
	s_waitcnt lgkmcnt(0)
	s_mul_hi_u32 s1, s20, s24
	s_add_i32 s1, s1, s20
	s_lshr_b32 s11, s1, s25
	s_mul_i32 s1, s11, s26
	s_sub_i32 s1, s20, s1
	s_mul_hi_u32 s2, s1, s27
	s_add_i32 s2, s1, s2
	s_lshr_b32 s23, s2, s28
	s_mul_i32 s2, s23, s29
	s_sub_i32 s1, s1, s2
	;; [unrolled: 5-line block ×3, first 2 shown]
	s_mul_hi_u32 s1, s0, s16
	s_add_i32 s0, s0, s1
	s_lshr_b32 s24, s0, s17
	s_lshl_b32 s0, s24, 4
	s_add_i32 s0, s0, s7
	s_cmp_lt_i32 s0, s12
	s_cselect_b64 s[0:1], -1, 0
	s_add_i32 s25, s25, s8
	s_cmp_lt_i32 s25, s14
	s_cselect_b64 s[2:3], -1, 0
	s_and_b64 s[0:1], s[0:1], s[2:3]
	s_andn2_b64 vcc, exec, s[0:1]
	s_cbranch_vccnz .LBB22_24
; %bb.8:
	s_load_dwordx4 s[0:3], s[4:5], 0x0
	s_lshl_b32 s4, s9, 6
	s_mov_b32 s5, s10
	s_add_i32 s8, s7, s8
	s_lshl_b64 s[4:5], s[4:5], 2
	s_waitcnt lgkmcnt(0)
	s_add_u32 s21, s2, s4
	s_mul_i32 s4, s11, s12
	s_addc_u32 s22, s3, s5
	s_mul_i32 s23, s23, s14
	s_add_i32 s4, s4, s7
	s_mul_i32 s4, s4, s13
	s_add_i32 s7, s25, s23
	s_mul_i32 s5, s13, s24
	s_add_i32 s4, s7, s4
	s_mulk_i32 s5, 0x700
	s_mulk_i32 s4, 0x70
	s_add_i32 s5, s5, s4
	v_add_u32_e32 v2, s5, v0
	v_ashrrev_i32_e32 v3, 31, v2
	v_lshlrev_b64 v[2:3], 2, v[2:3]
	v_mov_b32_e32 v1, s1
	v_add_co_u32_e32 v2, vcc, s0, v2
	v_addc_co_u32_e32 v3, vcc, v1, v3, vcc
	global_load_dword v5, v[2:3], off
	s_mul_i32 s4, s8, 0x70
	v_add_u32_e32 v4, s4, v0
	v_cvt_f32_u32_e32 v0, s9
	v_cvt_f32_ubyte0_e32 v1, 0
	s_lshl_b32 s0, s6, 4
	s_add_i32 s0, s0, s8
	v_mac_f32_e32 v0, 0x4f800000, v1
	v_rcp_f32_e32 v0, v0
	v_cvt_f32_u32_e32 v1, s9
	s_ashr_i32 s1, s0, 31
	s_lshl_b64 s[0:1], s[0:1], 3
	v_mul_f32_e32 v0, 0x5f7ffffc, v0
	v_rcp_iflag_f32_e32 v1, v1
	s_add_u32 s0, s2, s0
	v_mul_f32_e32 v9, 0x2f800000, v0
	s_addc_u32 s1, s3, s1
	v_trunc_f32_e32 v10, v9
	s_load_dwordx2 s[0:1], s[0:1], 0x0
	v_mac_f32_e32 v0, 0xcf800000, v10
	v_cvt_u32_f32_e32 v9, v0
	v_mul_f32_e32 v0, 0x4f7ffffe, v1
	v_cvt_u32_f32_e32 v10, v10
	v_cvt_u32_f32_e32 v11, v0
	s_add_i32 s12, s6, -1
	s_waitcnt lgkmcnt(0)
	v_mov_b32_e32 v6, s1
	v_mov_b32_e32 v7, s0
	;; [unrolled: 1-line block ×3, first 2 shown]
	s_mov_b32 s6, 0x3fb8aa3b
	s_mov_b32 s7, 0xc2ce8ed0
	;; [unrolled: 1-line block ×4, first 2 shown]
	v_mov_b32_e32 v12, 0x7f800000
	s_mul_hi_i32 s11, s12, s15
	s_cmp_lg_u64 s[10:11], 0
	s_mul_i32 s4, s12, s15
	s_cbranch_scc0 .LBB22_15
.LBB22_9:
	s_sub_u32 s0, 0, s9
	v_readfirstlane_b32 s5, v9
	v_readfirstlane_b32 s24, v10
	s_subb_u32 s1, 0, 0
	s_mul_hi_u32 s23, s0, s5
	s_mul_i32 s25, s0, s24
	s_mul_i32 s20, s1, s5
	s_add_i32 s23, s23, s25
	s_add_i32 s23, s23, s20
	s_mul_i32 s26, s0, s5
	s_mul_hi_u32 s20, s5, s23
	s_mul_i32 s25, s5, s23
	s_mul_hi_u32 s5, s5, s26
	s_add_u32 s5, s5, s25
	s_addc_u32 s20, 0, s20
	s_mul_hi_u32 s27, s24, s26
	s_mul_i32 s26, s24, s26
	s_add_u32 s5, s5, s26
	s_mul_hi_u32 s25, s24, s23
	s_addc_u32 s5, s20, s27
	s_addc_u32 s20, s25, 0
	s_mul_i32 s23, s24, s23
	s_add_u32 s5, s5, s23
	s_addc_u32 s20, 0, s20
	v_add_co_u32_e32 v0, vcc, s5, v9
	s_cmp_lg_u64 vcc, 0
	s_addc_u32 s5, s24, s20
	v_readfirstlane_b32 s23, v0
	s_mul_i32 s20, s0, s5
	s_mul_hi_u32 s24, s0, s23
	s_add_i32 s20, s24, s20
	s_mul_i32 s1, s1, s23
	s_add_i32 s20, s20, s1
	s_mul_i32 s0, s0, s23
	s_mul_hi_u32 s24, s5, s0
	s_mul_i32 s25, s5, s0
	s_mul_i32 s27, s23, s20
	s_mul_hi_u32 s0, s23, s0
	s_mul_hi_u32 s26, s23, s20
	s_add_u32 s0, s0, s27
	s_addc_u32 s23, 0, s26
	s_add_u32 s0, s0, s25
	s_mul_hi_u32 s1, s5, s20
	s_addc_u32 s0, s23, s24
	s_addc_u32 s1, s1, 0
	s_mul_i32 s20, s5, s20
	s_add_u32 s0, s0, s20
	s_addc_u32 s1, 0, s1
	v_add_co_u32_e32 v0, vcc, s0, v0
	s_cmp_lg_u64 vcc, 0
	s_addc_u32 s5, s5, s1
	s_ashr_i32 s0, s11, 31
	s_add_u32 s24, s4, s0
	s_mov_b32 s1, s0
	s_addc_u32 s25, s11, s0
	s_xor_b64 s[24:25], s[24:25], s[0:1]
	v_readfirstlane_b32 s20, v0
	s_mul_i32 s11, s24, s5
	s_mul_hi_u32 s23, s24, s20
	s_mul_hi_u32 s1, s24, s5
	s_add_u32 s11, s23, s11
	s_addc_u32 s1, 0, s1
	s_mul_hi_u32 s26, s25, s20
	s_mul_i32 s20, s25, s20
	s_add_u32 s11, s11, s20
	s_mul_hi_u32 s23, s25, s5
	s_addc_u32 s1, s1, s26
	s_addc_u32 s11, s23, 0
	s_mul_i32 s5, s25, s5
	s_add_u32 s1, s1, s5
	s_addc_u32 s5, 0, s11
	s_mul_i32 s5, s9, s5
	s_mul_hi_u32 s23, s9, s1
	s_add_i32 s23, s23, s5
	s_mul_i32 s5, s9, s1
	v_mov_b32_e32 v0, s5
	s_add_u32 s11, s1, 1
	s_add_u32 s20, s1, 2
	v_sub_co_u32_e32 v0, vcc, s24, v0
	s_cmp_lg_u64 vcc, 0
	s_subb_u32 s5, s25, s23
	v_subrev_co_u32_e32 v1, vcc, s9, v0
	s_cmp_lg_u64 vcc, 0
	s_subb_u32 s23, s5, 0
	v_cmp_le_u32_e32 vcc, s9, v1
	s_cmp_eq_u32 s23, 0
	v_cndmask_b32_e64 v1, 0, -1, vcc
	s_cselect_b64 vcc, -1, 0
	v_cndmask_b32_e32 v1, -1, v1, vcc
	v_mov_b32_e32 v13, s11
	v_mov_b32_e32 v14, s20
	v_cmp_ne_u32_e32 vcc, 0, v1
	v_cndmask_b32_e32 v1, v13, v14, vcc
	v_cmp_le_u32_e32 vcc, s9, v0
	s_cmp_eq_u32 s5, 0
	v_cndmask_b32_e64 v0, 0, -1, vcc
	s_cselect_b64 vcc, -1, 0
	v_cndmask_b32_e32 v0, -1, v0, vcc
	v_mov_b32_e32 v13, s1
	v_cmp_ne_u32_e32 vcc, 0, v0
	v_cndmask_b32_e32 v0, v13, v1, vcc
	v_xor_b32_e32 v0, s0, v0
	v_subrev_co_u32_e32 v0, vcc, s0, v0
	s_cbranch_execnz .LBB22_11
.LBB22_10:
	s_sub_i32 s0, 0, s9
	v_mul_lo_u32 v0, s0, v11
	v_mul_hi_u32 v0, v11, v0
	v_add_u32_e32 v0, v11, v0
	v_mul_hi_u32 v0, s4, v0
	v_mul_lo_u32 v13, v0, s9
	v_sub_u32_e32 v13, s4, v13
	v_add_u32_e32 v1, 1, v0
	v_subrev_u32_e32 v14, s9, v13
	v_cmp_le_u32_e32 vcc, s9, v13
	v_cndmask_b32_e32 v13, v13, v14, vcc
	v_cndmask_b32_e32 v0, v0, v1, vcc
	v_add_u32_e32 v1, 1, v0
	v_cmp_le_u32_e32 vcc, s9, v13
	v_cndmask_b32_e32 v0, v0, v1, vcc
.LBB22_11:
	v_cmp_ne_u32_e32 vcc, v8, v0
	s_cbranch_vccz .LBB22_14
; %bb.12:
	s_add_i32 s0, s12, s9
	s_lshl_b32 s0, s0, 4
	v_mul_hi_u32 v1, v0, s16
	s_add_i32 s0, s0, s8
	s_mov_b32 s1, s10
	v_add_u32_e32 v1, v1, v0
	s_lshl_b64 s[0:1], s[0:1], 3
	v_lshrrev_b32_e32 v1, s17, v1
	s_add_u32 s4, s2, s0
	v_mul_lo_u32 v13, v1, s18
	s_addc_u32 s5, s3, s1
	v_cmp_eq_u32_e32 vcc, v13, v0
	v_cmp_gt_u32_e64 s[0:1], s19, v1
	s_or_b64 s[0:1], s[0:1], vcc
	s_and_b64 vcc, exec, s[0:1]
	s_cbranch_vccnz .LBB22_16
; %bb.13:
	s_add_i32 s11, s12, -1
	s_mov_b64 s[0:1], 0
	s_branch .LBB22_17
.LBB22_14:
                                        ; implicit-def: $sgpr0_sgpr1
                                        ; implicit-def: $vgpr14
                                        ; implicit-def: $vgpr1
                                        ; implicit-def: $vgpr13
                                        ; implicit-def: $sgpr11
                                        ; implicit-def: $vgpr0
	s_branch .LBB22_18
.LBB22_15:
                                        ; implicit-def: $vgpr0_vgpr1
	s_branch .LBB22_10
.LBB22_16:
	s_mov_b64 s[0:1], -1
	s_mov_b32 s11, s12
	v_mov_b32_e32 v0, v8
.LBB22_17:
	s_mul_i32 s20, s12, 0x700
	v_add_u32_e32 v14, s20, v4
	v_ashrrev_i32_e32 v15, 31, v14
	v_lshlrev_b64 v[14:15], 2, v[14:15]
	v_mov_b32_e32 v1, s22
	v_add_co_u32_e32 v14, vcc, s21, v14
	v_addc_co_u32_e32 v15, vcc, v1, v15, vcc
	global_load_dword v14, v[14:15], off
	s_load_dwordx2 s[4:5], s[4:5], 0x0
	v_max_f32_e32 v1, v7, v7
	s_waitcnt lgkmcnt(0)
	v_max_f32_e64 v13, s4, s4
	v_max_f32_e32 v1, v1, v13
	v_sub_f32_e32 v13, v7, v1
	v_sub_f32_e32 v15, s4, v1
	v_mul_f32_e32 v16, 0x3fb8aa3b, v13
	v_mul_f32_e32 v17, 0x3fb8aa3b, v15
	v_fma_f32 v18, v13, s6, -v16
	v_rndne_f32_e32 v19, v16
	v_fma_f32 v20, v15, s6, -v17
	v_rndne_f32_e32 v21, v17
	v_fmac_f32_e32 v18, 0x32a5705f, v13
	v_sub_f32_e32 v16, v16, v19
	v_fmac_f32_e32 v20, 0x32a5705f, v15
	v_sub_f32_e32 v17, v17, v21
	v_add_f32_e32 v16, v16, v18
	v_cvt_i32_f32_e32 v19, v19
	v_add_f32_e32 v17, v17, v20
	v_exp_f32_e32 v16, v16
	v_cvt_i32_f32_e32 v21, v21
	v_exp_f32_e32 v17, v17
	v_cmp_ngt_f32_e32 vcc, s7, v13
	v_ldexp_f32 v16, v16, v19
	v_cndmask_b32_e32 v16, 0, v16, vcc
	v_ldexp_f32 v17, v17, v21
	v_cmp_ngt_f32_e32 vcc, s7, v15
	v_cndmask_b32_e32 v17, 0, v17, vcc
	v_cmp_nlt_f32_e32 vcc, s13, v13
	v_cndmask_b32_e32 v16, v12, v16, vcc
	v_cmp_nlt_f32_e32 vcc, s13, v15
	v_cndmask_b32_e32 v17, v12, v17, vcc
	v_cmp_le_f32_e32 vcc, s14, v13
	v_cndmask_b32_e32 v16, 0, v16, vcc
	v_cmp_le_f32_e32 vcc, s14, v15
	v_cndmask_b32_e32 v15, 0, v17, vcc
	v_mul_f32_e32 v13, s5, v15
	v_fmac_f32_e32 v13, v6, v16
	s_waitcnt vmcnt(0)
	v_mul_f32_e32 v14, v14, v15
	v_fmac_f32_e32 v14, v5, v16
	s_cbranch_execnz .LBB22_19
.LBB22_18:
	s_add_i32 s11, s12, -1
	s_mov_b64 s[0:1], 0
	v_mov_b32_e32 v0, v8
	v_mov_b32_e32 v13, v6
	;; [unrolled: 1-line block ×3, first 2 shown]
	s_waitcnt vmcnt(0)
	v_mov_b32_e32 v14, v5
.LBB22_19:
	s_andn2_b64 vcc, exec, s[0:1]
	s_cbranch_vccz .LBB22_23
; %bb.20:
	v_mov_b32_e32 v8, v0
	s_mov_b32 s12, s11
	v_mov_b32_e32 v6, v13
	v_mov_b32_e32 v7, v1
	s_waitcnt vmcnt(0)
	v_mov_b32_e32 v5, v14
	s_mul_hi_i32 s11, s12, s15
	s_cmp_lg_u64 s[10:11], 0
	s_mul_i32 s4, s12, s15
	s_cbranch_scc1 .LBB22_9
	s_branch .LBB22_15
.LBB22_21:
                                        ; implicit-def: $sgpr20_sgpr21
	s_load_dwordx4 s[16:19], s[4:5], 0x44
	s_branch .LBB22_2
.LBB22_22:
                                        ; implicit-def: $vgpr2_vgpr3
	s_branch .LBB22_5
.LBB22_23:
	v_div_scale_f32 v0, s[0:1], v13, v13, v14
	v_rcp_f32_e32 v1, v0
	v_div_scale_f32 v4, vcc, v14, v13, v14
	s_waitcnt vmcnt(0)
	v_fma_f32 v5, -v0, v1, 1.0
	v_fmac_f32_e32 v1, v5, v1
	v_mul_f32_e32 v5, v4, v1
	v_fma_f32 v6, -v0, v5, v4
	v_fmac_f32_e32 v5, v6, v1
	v_fma_f32 v0, -v0, v5, v4
	v_div_fmas_f32 v0, v0, v1, v5
	v_div_fixup_f32 v0, v0, v13, v14
	global_store_dword v[2:3], v0, off
.LBB22_24:
	s_endpgm
	.section	.rodata,"a",@progbits
	.p2align	6, 0x0
	.amdhsa_kernel _ZL33flash_attn_stream_k_fixup_generalILi112ELi16ELi1EEvPfPK15HIP_vector_typeIfLj2EEiiiiS1_IjLj3EES5_S5_S5_
		.amdhsa_group_segment_fixed_size 0
		.amdhsa_private_segment_fixed_size 0
		.amdhsa_kernarg_size 336
		.amdhsa_user_sgpr_count 6
		.amdhsa_user_sgpr_private_segment_buffer 1
		.amdhsa_user_sgpr_dispatch_ptr 0
		.amdhsa_user_sgpr_queue_ptr 0
		.amdhsa_user_sgpr_kernarg_segment_ptr 1
		.amdhsa_user_sgpr_dispatch_id 0
		.amdhsa_user_sgpr_flat_scratch_init 0
		.amdhsa_user_sgpr_kernarg_preload_length 0
		.amdhsa_user_sgpr_kernarg_preload_offset 0
		.amdhsa_user_sgpr_private_segment_size 0
		.amdhsa_uses_dynamic_stack 0
		.amdhsa_system_sgpr_private_segment_wavefront_offset 0
		.amdhsa_system_sgpr_workgroup_id_x 1
		.amdhsa_system_sgpr_workgroup_id_y 1
		.amdhsa_system_sgpr_workgroup_id_z 1
		.amdhsa_system_sgpr_workgroup_info 0
		.amdhsa_system_vgpr_workitem_id 0
		.amdhsa_next_free_vgpr 22
		.amdhsa_next_free_sgpr 32
		.amdhsa_accum_offset 24
		.amdhsa_reserve_vcc 1
		.amdhsa_reserve_flat_scratch 0
		.amdhsa_float_round_mode_32 0
		.amdhsa_float_round_mode_16_64 0
		.amdhsa_float_denorm_mode_32 3
		.amdhsa_float_denorm_mode_16_64 3
		.amdhsa_dx10_clamp 1
		.amdhsa_ieee_mode 1
		.amdhsa_fp16_overflow 0
		.amdhsa_tg_split 0
		.amdhsa_exception_fp_ieee_invalid_op 0
		.amdhsa_exception_fp_denorm_src 0
		.amdhsa_exception_fp_ieee_div_zero 0
		.amdhsa_exception_fp_ieee_overflow 0
		.amdhsa_exception_fp_ieee_underflow 0
		.amdhsa_exception_fp_ieee_inexact 0
		.amdhsa_exception_int_div_zero 0
	.end_amdhsa_kernel
	.section	.text._ZL33flash_attn_stream_k_fixup_generalILi112ELi16ELi1EEvPfPK15HIP_vector_typeIfLj2EEiiiiS1_IjLj3EES5_S5_S5_,"axG",@progbits,_ZL33flash_attn_stream_k_fixup_generalILi112ELi16ELi1EEvPfPK15HIP_vector_typeIfLj2EEiiiiS1_IjLj3EES5_S5_S5_,comdat
.Lfunc_end22:
	.size	_ZL33flash_attn_stream_k_fixup_generalILi112ELi16ELi1EEvPfPK15HIP_vector_typeIfLj2EEiiiiS1_IjLj3EES5_S5_S5_, .Lfunc_end22-_ZL33flash_attn_stream_k_fixup_generalILi112ELi16ELi1EEvPfPK15HIP_vector_typeIfLj2EEiiiiS1_IjLj3EES5_S5_S5_
                                        ; -- End function
	.section	.AMDGPU.csdata,"",@progbits
; Kernel info:
; codeLenInByte = 2820
; NumSgprs: 36
; NumVgprs: 22
; NumAgprs: 0
; TotalNumVgprs: 22
; ScratchSize: 0
; MemoryBound: 0
; FloatMode: 240
; IeeeMode: 1
; LDSByteSize: 0 bytes/workgroup (compile time only)
; SGPRBlocks: 4
; VGPRBlocks: 2
; NumSGPRsForWavesPerEU: 36
; NumVGPRsForWavesPerEU: 22
; AccumOffset: 24
; Occupancy: 8
; WaveLimiterHint : 0
; COMPUTE_PGM_RSRC2:SCRATCH_EN: 0
; COMPUTE_PGM_RSRC2:USER_SGPR: 6
; COMPUTE_PGM_RSRC2:TRAP_HANDLER: 0
; COMPUTE_PGM_RSRC2:TGID_X_EN: 1
; COMPUTE_PGM_RSRC2:TGID_Y_EN: 1
; COMPUTE_PGM_RSRC2:TGID_Z_EN: 1
; COMPUTE_PGM_RSRC2:TIDIG_COMP_CNT: 0
; COMPUTE_PGM_RSRC3_GFX90A:ACCUM_OFFSET: 5
; COMPUTE_PGM_RSRC3_GFX90A:TG_SPLIT: 0
	.section	.text._ZL26flash_attn_combine_resultsILi112EEvPKfPK15HIP_vector_typeIfLj2EEPfi,"axG",@progbits,_ZL26flash_attn_combine_resultsILi112EEvPKfPK15HIP_vector_typeIfLj2EEPfi,comdat
	.globl	_ZL26flash_attn_combine_resultsILi112EEvPKfPK15HIP_vector_typeIfLj2EEPfi ; -- Begin function _ZL26flash_attn_combine_resultsILi112EEvPKfPK15HIP_vector_typeIfLj2EEPfi
	.p2align	8
	.type	_ZL26flash_attn_combine_resultsILi112EEvPKfPK15HIP_vector_typeIfLj2EEPfi,@function
_ZL26flash_attn_combine_resultsILi112EEvPKfPK15HIP_vector_typeIfLj2EEPfi: ; @_ZL26flash_attn_combine_resultsILi112EEvPKfPK15HIP_vector_typeIfLj2EEPfi
; %bb.0:
	s_load_dwordx2 s[0:1], s[4:5], 0x20
	s_load_dword s21, s[4:5], 0x18
	s_load_dwordx4 s[16:19], s[4:5], 0x0
	s_load_dwordx2 s[14:15], s[4:5], 0x10
	s_waitcnt lgkmcnt(0)
	s_mul_i32 s0, s0, s8
	s_add_i32 s0, s0, s6
	s_mul_i32 s20, s0, s1
	s_add_i32 s20, s20, s7
	s_lshl_b32 s10, s21, 1
	s_mul_i32 s0, s20, s21
	v_cmp_gt_i32_e32 vcc, s10, v0
	s_and_saveexec_b64 s[2:3], vcc
	s_cbranch_execz .LBB23_13
; %bb.1:
	v_xad_u32 v1, v0, -1, s10
	s_movk_i32 s4, 0x6f
	s_ashr_i32 s1, s0, 31
	v_cmp_lt_u32_e32 vcc, s4, v1
	s_mov_b64 s[6:7], -1
	v_mov_b32_e32 v2, v0
	s_and_saveexec_b64 s[4:5], vcc
	s_cbranch_execz .LBB23_10
; %bb.2:
	v_lshrrev_b32_e32 v1, 4, v1
	s_mov_b32 s6, 0x24924925
	v_mul_hi_u32 v6, v1, s6
	s_lshl_b64 s[6:7], s[0:1], 3
	v_add_u32_e32 v2, -1, v6
	s_add_u32 s11, s18, s6
	v_add_u32_e32 v1, 0x70, v0
	v_lshrrev_b32_e32 v3, 1, v2
	s_addc_u32 s12, s19, s7
	v_add_u32_e32 v7, 1, v3
	v_cmp_lt_u32_e32 vcc, 13, v2
	v_mov_b32_e32 v4, 0
	v_pk_mov_b32 v[2:3], v[0:1], v[0:1] op_sel:[0,1]
	s_and_saveexec_b64 s[6:7], vcc
	s_cbranch_execz .LBB23_6
; %bb.3:
	v_and_b32_e32 v8, -8, v7
	s_mov_b32 s13, 0
	v_lshl_add_u32 v9, v0, 2, 0
	s_mov_b64 s[8:9], 0
	v_mov_b32_e32 v10, s12
	v_mov_b32_e32 v5, 0
	v_pk_mov_b32 v[2:3], v[0:1], v[0:1] op_sel:[0,1]
.LBB23_4:                               ; =>This Inner Loop Header: Depth=1
	v_mov_b32_e32 v4, v2
	v_lshlrev_b64 v[26:27], 2, v[4:5]
	v_add_u32_e32 v12, 0xe0, v3
	v_mov_b32_e32 v13, v5
	v_add_co_u32_e32 v26, vcc, s11, v26
	v_lshlrev_b64 v[12:13], 2, v[12:13]
	v_addc_co_u32_e32 v27, vcc, v10, v27, vcc
	v_add_u32_e32 v14, 0x1c0, v3
	v_mov_b32_e32 v15, v5
	v_add_co_u32_e32 v12, vcc, s11, v12
	v_lshlrev_b64 v[14:15], 2, v[14:15]
	v_addc_co_u32_e32 v13, vcc, v10, v13, vcc
	;; [unrolled: 5-line block ×7, first 2 shown]
	v_mov_b32_e32 v4, v3
	v_add_co_u32_e32 v24, vcc, s11, v24
	v_lshlrev_b64 v[28:29], 2, v[4:5]
	v_addc_co_u32_e32 v25, vcc, v10, v25, vcc
	v_add_u32_e32 v4, 0xe0, v2
	v_add_co_u32_e32 v28, vcc, s11, v28
	v_addc_co_u32_e32 v29, vcc, v10, v29, vcc
	global_load_dword v1, v[26:27], off
	v_lshlrev_b64 v[26:27], 2, v[4:5]
	v_add_u32_e32 v4, 0x1c0, v2
	v_add_co_u32_e32 v26, vcc, s11, v26
	v_addc_co_u32_e32 v27, vcc, v10, v27, vcc
	v_lshlrev_b64 v[30:31], 2, v[4:5]
	v_add_u32_e32 v4, 0x2a0, v2
	global_load_dword v11, v[28:29], off
	global_load_dword v32, v[26:27], off
	;; [unrolled: 1-line block ×3, first 2 shown]
	v_add_co_u32_e32 v12, vcc, s11, v30
	v_addc_co_u32_e32 v13, vcc, v10, v31, vcc
	v_lshlrev_b64 v[26:27], 2, v[4:5]
	v_add_u32_e32 v4, 0x380, v2
	v_add_co_u32_e32 v26, vcc, s11, v26
	v_addc_co_u32_e32 v27, vcc, v10, v27, vcc
	v_lshlrev_b64 v[28:29], 2, v[4:5]
	v_add_u32_e32 v4, 0x460, v2
	global_load_dword v30, v[12:13], off
	global_load_dword v31, v[14:15], off
	;; [unrolled: 1-line block ×4, first 2 shown]
	v_add_co_u32_e32 v12, vcc, s11, v28
	v_addc_co_u32_e32 v13, vcc, v10, v29, vcc
	v_lshlrev_b64 v[14:15], 2, v[4:5]
	v_add_u32_e32 v4, 0x540, v2
	v_add_co_u32_e32 v14, vcc, s11, v14
	v_addc_co_u32_e32 v15, vcc, v10, v15, vcc
	v_lshlrev_b64 v[16:17], 2, v[4:5]
	v_add_u32_e32 v4, 0x620, v2
	global_load_dword v26, v[12:13], off
	global_load_dword v27, v[18:19], off
	;; [unrolled: 1-line block ×4, first 2 shown]
	v_add_co_u32_e32 v12, vcc, s11, v16
	v_addc_co_u32_e32 v13, vcc, v10, v17, vcc
	v_lshlrev_b64 v[14:15], 2, v[4:5]
	v_add_co_u32_e32 v14, vcc, s11, v14
	v_addc_co_u32_e32 v15, vcc, v10, v15, vcc
	global_load_dword v16, v[12:13], off
	global_load_dword v17, v[22:23], off
	;; [unrolled: 1-line block ×4, first 2 shown]
	v_add_u32_e32 v8, -8, v8
	s_add_i32 s13, s13, 16
	v_cmp_eq_u32_e32 vcc, 0, v8
	v_add_u32_e32 v12, 0x200, v9
	v_add_u32_e32 v13, 0x600, v9
	;; [unrolled: 1-line block ×8, first 2 shown]
	v_mov_b32_e32 v4, s13
	s_or_b64 s[8:9], vcc, s[8:9]
	v_add_u32_e32 v2, 0x700, v2
	s_waitcnt vmcnt(14)
	ds_write2_b32 v9, v1, v11 offset1:112
	v_add_u32_e32 v9, 0x1c00, v9
	s_waitcnt vmcnt(12)
	ds_write2_b32 v12, v32, v33 offset0:96 offset1:208
	s_waitcnt vmcnt(10)
	ds_write2_b32 v13, v30, v31 offset0:64 offset1:176
	;; [unrolled: 2-line block ×7, first 2 shown]
	s_andn2_b64 exec, exec, s[8:9]
	s_cbranch_execnz .LBB23_4
; %bb.5:
	s_or_b64 exec, exec, s[8:9]
.LBB23_6:
	s_or_b64 exec, exec, s[6:7]
	v_and_b32_e32 v1, 7, v7
	v_cmp_ne_u32_e32 vcc, 0, v1
	s_and_saveexec_b64 s[6:7], vcc
	s_cbranch_execz .LBB23_9
; %bb.7:
	s_movk_i32 s8, 0x1c0
	v_mul_lo_u32 v4, v4, s8
	v_lshlrev_b32_e32 v5, 2, v0
	v_add3_u32 v7, v4, v5, 0
	s_mov_b64 s[8:9], 0
	v_mov_b32_e32 v8, s12
	v_mov_b32_e32 v5, 0
.LBB23_8:                               ; =>This Inner Loop Header: Depth=1
	v_mov_b32_e32 v4, v2
	v_lshlrev_b64 v[10:11], 2, v[4:5]
	v_mov_b32_e32 v4, v3
	v_add_co_u32_e32 v10, vcc, s11, v10
	v_addc_co_u32_e32 v11, vcc, v8, v11, vcc
	v_lshlrev_b64 v[12:13], 2, v[4:5]
	v_add_co_u32_e32 v12, vcc, s11, v12
	v_addc_co_u32_e32 v13, vcc, v8, v13, vcc
	global_load_dword v4, v[10:11], off
	global_load_dword v9, v[12:13], off
	v_add_u32_e32 v1, -1, v1
	v_cmp_eq_u32_e32 vcc, 0, v1
	v_add_u32_e32 v2, 0xe0, v2
	v_add_u32_e32 v3, 0xe0, v3
	s_or_b64 s[8:9], vcc, s[8:9]
	s_waitcnt vmcnt(0)
	ds_write2_b32 v7, v4, v9 offset1:112
	v_add_u32_e32 v7, 0x380, v7
	s_andn2_b64 exec, exec, s[8:9]
	s_cbranch_execnz .LBB23_8
.LBB23_9:
	s_or_b64 exec, exec, s[6:7]
	v_add_u32_e32 v1, 1, v6
	v_and_b32_e32 v4, 0x7fffffe, v1
	s_movk_i32 s6, 0x70
	v_mad_u64_u32 v[2:3], s[6:7], v4, s6, v[0:1]
	v_cmp_ne_u32_e32 vcc, v1, v4
	s_orn2_b64 s[6:7], vcc, exec
.LBB23_10:
	s_or_b64 exec, exec, s[4:5]
	s_and_b64 exec, exec, s[6:7]
	s_cbranch_execz .LBB23_13
; %bb.11:
	s_lshl_b64 s[4:5], s[0:1], 3
	v_mov_b32_e32 v3, 0
	s_add_u32 s1, s18, s4
	v_lshlrev_b64 v[4:5], 2, v[2:3]
	s_addc_u32 s4, s19, s5
	v_mov_b32_e32 v1, s4
	v_add_co_u32_e32 v4, vcc, s1, v4
	v_addc_co_u32_e32 v5, vcc, v1, v5, vcc
	v_lshl_add_u32 v1, v2, 2, 0
	s_mov_b64 s[4:5], 0
.LBB23_12:                              ; =>This Inner Loop Header: Depth=1
	global_load_dword v3, v[4:5], off
	v_add_co_u32_e32 v4, vcc, 0x1c0, v4
	v_add_u32_e32 v2, 0x70, v2
	v_addc_co_u32_e32 v5, vcc, 0, v5, vcc
	v_cmp_le_i32_e32 vcc, s10, v2
	s_or_b64 s[4:5], vcc, s[4:5]
	s_waitcnt vmcnt(0)
	ds_write_b32 v1, v3
	v_add_u32_e32 v1, 0x1c0, v1
	s_andn2_b64 exec, exec, s[4:5]
	s_cbranch_execnz .LBB23_12
.LBB23_13:
	s_or_b64 exec, exec, s[2:3]
	v_mov_b32_e32 v1, 0
	s_waitcnt lgkmcnt(0)
	s_barrier
	ds_read_b32 v1, v1
	s_cmp_lt_i32 s21, 2
	s_cbranch_scc1 .LBB23_21
; %bb.14:
	s_add_i32 s1, s21, -1
	s_add_i32 s2, s21, -2
	s_cmp_lt_u32 s2, 7
	s_cbranch_scc1 .LBB23_18
; %bb.15:
	s_mov_b32 s4, 0
	s_add_i32 s2, 0, 8
	s_and_b32 s3, s1, -8
.LBB23_16:                              ; =>This Inner Loop Header: Depth=1
	v_mov_b32_e32 v8, s2
	ds_read2_b32 v[2:3], v8 offset1:2
	ds_read2_b32 v[4:5], v8 offset0:4 offset1:6
	ds_read2_b32 v[6:7], v8 offset0:8 offset1:10
	;; [unrolled: 1-line block ×3, first 2 shown]
	s_mov_b32 s5, s4
	s_waitcnt lgkmcnt(3)
	v_max3_f32 v1, v1, v2, v3
	s_waitcnt lgkmcnt(2)
	v_max3_f32 v1, v1, v4, v5
	s_add_i32 s2, s2, 64
	s_add_i32 s4, s4, 8
	s_waitcnt lgkmcnt(1)
	v_max3_f32 v1, v1, v6, v7
	s_cmp_eq_u32 s3, s4
	s_waitcnt lgkmcnt(0)
	v_max3_f32 v1, v1, v8, v9
	s_cbranch_scc0 .LBB23_16
; %bb.17:
	s_add_i32 s2, s5, 9
	s_and_b32 s1, s1, 7
	s_cmp_eq_u32 s1, 0
	s_cbranch_scc0 .LBB23_19
	s_branch .LBB23_21
.LBB23_18:
	s_mov_b32 s2, 1
	s_and_b32 s1, s1, 7
	s_cmp_eq_u32 s1, 0
	s_cbranch_scc1 .LBB23_21
.LBB23_19:
	s_lshl_b32 s2, s2, 3
	s_add_i32 s2, s2, 0
.LBB23_20:                              ; =>This Inner Loop Header: Depth=1
	v_mov_b32_e32 v2, s2
	ds_read_b32 v2, v2
	s_waitcnt lgkmcnt(1)
	v_max_f32_e32 v1, v1, v1
	s_add_i32 s2, s2, 8
	s_add_i32 s1, s1, -1
	s_cmp_lg_u32 s1, 0
	s_waitcnt lgkmcnt(0)
	v_max_f32_e32 v2, v2, v2
	v_max_f32_e32 v1, v1, v2
	s_cbranch_scc1 .LBB23_20
.LBB23_21:
	s_cmp_lt_i32 s21, 1
	s_cbranch_scc1 .LBB23_26
; %bb.22:
	s_mul_i32 s18, s0, 0x70
	s_ashr_i32 s19, s18, 31
	s_cmp_lt_u32 s21, 8
	v_mov_b32_e32 v8, 0
	s_cbranch_scc1 .LBB23_27
; %bb.23:
	s_lshl_b64 s[0:1], s[18:19], 2
	s_add_u32 s23, s16, s0
	s_addc_u32 s0, s17, s1
	v_lshlrev_b32_e32 v2, 2, v0
	v_mov_b32_e32 v10, s0
	v_add_co_u32_e32 v2, vcc, s23, v2
	v_addc_co_u32_e32 v3, vcc, 0, v10, vcc
	v_add_co_u32_e32 v2, vcc, 0x1c0, v2
	s_and_b32 s22, s21, 0x7ffffff8
	v_addc_co_u32_e32 v3, vcc, 0, v3, vcc
	v_add_u32_e32 v4, 0x1c0, v0
	s_mov_b32 s24, 0
	v_mov_b32_e32 v7, 0
	s_mov_b32 s25, 0x3fb8aa3b
	s_mov_b32 s26, 0xc2ce8ed0
	;; [unrolled: 1-line block ×3, first 2 shown]
	v_mov_b32_e32 v11, 0x7f800000
	s_mov_b32 s28, 0
	v_mov_b32_e32 v9, 0
	v_mov_b32_e32 v8, 0
.LBB23_24:                              ; =>This Inner Loop Header: Depth=1
	v_add_u32_e32 v6, 0xfffffe40, v4
	global_load_dword v36, v[2:3], off
	global_load_dword v37, v[2:3], off offset:448
	v_add_co_u32_e32 v2, vcc, 0xe00, v2
	v_lshlrev_b64 v[28:29], 2, v[6:7]
	v_addc_co_u32_e32 v3, vcc, 0, v3, vcc
	v_mov_b32_e32 v5, v7
	v_add_co_u32_e32 v28, vcc, s23, v28
	v_lshlrev_b64 v[30:31], 2, v[4:5]
	v_addc_co_u32_e32 v29, vcc, v10, v29, vcc
	v_add_u32_e32 v6, 0xffffff90, v4
	v_add_co_u32_e32 v30, vcc, s23, v30
	v_mov_b32_e32 v24, s24
	v_lshlrev_b64 v[32:33], 2, v[6:7]
	v_addc_co_u32_e32 v31, vcc, v10, v31, vcc
	ds_read2_b64 v[12:15], v24 offset1:1
	ds_read2_b64 v[16:19], v24 offset0:2 offset1:3
	ds_read2_b64 v[20:23], v24 offset0:4 offset1:5
	;; [unrolled: 1-line block ×3, first 2 shown]
	v_add_u32_e32 v6, 0x70, v4
	global_load_dword v5, v[28:29], off
	v_add_co_u32_e32 v28, vcc, s23, v32
	v_addc_co_u32_e32 v29, vcc, v10, v33, vcc
	v_lshlrev_b64 v[32:33], 2, v[6:7]
	v_add_u32_e32 v6, 0xe0, v4
	v_add_co_u32_e32 v32, vcc, s23, v32
	v_addc_co_u32_e32 v33, vcc, v10, v33, vcc
	v_lshlrev_b64 v[34:35], 2, v[6:7]
	v_add_u32_e32 v6, 0x150, v4
	global_load_dword v38, v[28:29], off
	global_load_dword v39, v[30:31], off
	;; [unrolled: 1-line block ×3, first 2 shown]
	v_add_co_u32_e32 v28, vcc, s23, v34
	v_addc_co_u32_e32 v29, vcc, v10, v35, vcc
	v_lshlrev_b64 v[30:31], 2, v[6:7]
	v_add_co_u32_e32 v30, vcc, s23, v30
	s_waitcnt lgkmcnt(3)
	v_sub_f32_e32 v6, v12, v1
	v_sub_f32_e32 v12, v14, v1
	s_waitcnt lgkmcnt(2)
	v_sub_f32_e32 v14, v16, v1
	v_sub_f32_e32 v16, v18, v1
	;; [unrolled: 3-line block ×4, first 2 shown]
	v_addc_co_u32_e32 v31, vcc, v10, v31, vcc
	global_load_dword v26, v[28:29], off
	v_mul_f32_e32 v32, 0x3fb8aa3b, v14
	global_load_dword v30, v[30:31], off
	v_mul_f32_e32 v28, 0x3fb8aa3b, v6
	v_fma_f32 v31, v6, s25, -v28
	v_rndne_f32_e32 v43, v28
	v_mul_f32_e32 v29, 0x3fb8aa3b, v12
	v_mul_f32_e32 v33, 0x3fb8aa3b, v16
	v_mul_f32_e32 v34, 0x3fb8aa3b, v18
	v_fmac_f32_e32 v31, 0x32a5705f, v6
	v_sub_f32_e32 v28, v28, v43
	v_fma_f32 v44, v12, s25, -v29
	v_rndne_f32_e32 v45, v29
	v_fma_f32 v46, v14, s25, -v32
	v_rndne_f32_e32 v47, v32
	;; [unrolled: 2-line block ×3, first 2 shown]
	v_fma_f32 v50, v18, s25, -v34
	v_add_f32_e32 v28, v28, v31
	v_rndne_f32_e32 v31, v34
	v_mul_f32_e32 v35, 0x3fb8aa3b, v20
	v_mul_f32_e32 v41, 0x3fb8aa3b, v22
	v_fmac_f32_e32 v44, 0x32a5705f, v12
	v_sub_f32_e32 v29, v29, v45
	v_fmac_f32_e32 v46, 0x32a5705f, v14
	v_sub_f32_e32 v32, v32, v47
	;; [unrolled: 2-line block ×4, first 2 shown]
	v_add_f32_e32 v29, v29, v44
	v_fma_f32 v44, v20, s25, -v35
	v_add_f32_e32 v32, v32, v46
	v_rndne_f32_e32 v46, v35
	v_add_f32_e32 v33, v33, v48
	v_fma_f32 v48, v22, s25, -v41
	v_add_f32_e32 v34, v34, v50
	v_rndne_f32_e32 v50, v41
	v_mul_f32_e32 v42, 0x3fb8aa3b, v24
	v_fmac_f32_e32 v44, 0x32a5705f, v20
	v_sub_f32_e32 v35, v35, v46
	v_fmac_f32_e32 v48, 0x32a5705f, v22
	v_sub_f32_e32 v41, v41, v50
	v_add_f32_e32 v35, v35, v44
	v_fma_f32 v44, v24, s25, -v42
	v_add_f32_e32 v41, v41, v48
	v_rndne_f32_e32 v48, v42
	v_cvt_i32_f32_e32 v43, v43
	v_fmac_f32_e32 v44, 0x32a5705f, v24
	v_sub_f32_e32 v42, v42, v48
	v_exp_f32_e32 v28, v28
	v_cvt_i32_f32_e32 v45, v45
	v_add_f32_e32 v42, v42, v44
	v_exp_f32_e32 v29, v29
	v_cvt_i32_f32_e32 v47, v47
	v_cvt_i32_f32_e32 v49, v49
	;; [unrolled: 1-line block ×6, first 2 shown]
	v_exp_f32_e32 v32, v32
	v_exp_f32_e32 v33, v33
	;; [unrolled: 1-line block ×6, first 2 shown]
	v_ldexp_f32 v28, v28, v43
	v_cmp_ngt_f32_e64 s[12:13], s26, v6
	v_ldexp_f32 v29, v29, v45
	v_cmp_ngt_f32_e32 vcc, s26, v12
	v_cndmask_b32_e64 v28, 0, v28, s[12:13]
	v_cmp_nlt_f32_e64 s[12:13], s27, v6
	v_ldexp_f32 v32, v32, v47
	v_cmp_ngt_f32_e64 s[0:1], s26, v14
	v_ldexp_f32 v33, v33, v49
	v_cmp_ngt_f32_e64 s[2:3], s26, v16
	;; [unrolled: 2-line block ×6, first 2 shown]
	v_cndmask_b32_e32 v29, 0, v29, vcc
	v_cmp_nlt_f32_e32 vcc, s27, v12
	v_cndmask_b32_e64 v6, v11, v28, s[12:13]
	v_cndmask_b32_e64 v12, 0, v32, s[0:1]
	v_cmp_nlt_f32_e64 s[0:1], s27, v14
	v_cndmask_b32_e64 v14, 0, v33, s[2:3]
	v_cmp_nlt_f32_e64 s[2:3], s27, v16
	;; [unrolled: 2-line block ×6, first 2 shown]
	v_cndmask_b32_e32 v24, v11, v29, vcc
	v_fmac_f32_e32 v9, v6, v13
	s_waitcnt vmcnt(5)
	v_fmac_f32_e32 v8, v5, v6
	v_cndmask_b32_e64 v12, v11, v12, s[0:1]
	v_fmac_f32_e32 v9, v24, v15
	v_fmac_f32_e32 v8, v36, v24
	v_cndmask_b32_e64 v14, v11, v14, s[2:3]
	v_fmac_f32_e32 v9, v12, v17
	;; [unrolled: 3-line block ×3, first 2 shown]
	s_waitcnt vmcnt(4)
	v_fmac_f32_e32 v8, v38, v14
	v_cndmask_b32_e64 v18, v11, v18, s[6:7]
	v_fmac_f32_e32 v9, v16, v21
	s_waitcnt vmcnt(3)
	v_fmac_f32_e32 v8, v39, v16
	v_cndmask_b32_e64 v20, v11, v20, s[8:9]
	v_fmac_f32_e32 v9, v18, v23
	s_waitcnt vmcnt(2)
	v_fmac_f32_e32 v8, v40, v18
	s_add_i32 s28, s28, 8
	s_add_i32 s24, s24, 64
	v_cndmask_b32_e64 v22, v11, v22, s[10:11]
	v_fmac_f32_e32 v9, v20, v25
	s_waitcnt vmcnt(1)
	v_fmac_f32_e32 v8, v26, v20
	s_cmp_eq_u32 s22, s28
	v_add_u32_e32 v4, 0x380, v4
	v_fmac_f32_e32 v9, v22, v27
	s_waitcnt vmcnt(0)
	v_fmac_f32_e32 v8, v30, v22
	s_cbranch_scc0 .LBB23_24
; %bb.25:
	s_and_b32 s0, s21, 7
	s_cmp_eq_u32 s0, 0
	s_cbranch_scc0 .LBB23_28
	s_branch .LBB23_30
.LBB23_26:
	s_waitcnt lgkmcnt(0)
	v_mov_b32_e32 v1, 0x7fc00000
	s_branch .LBB23_31
.LBB23_27:
	s_mov_b32 s22, 0
	v_mov_b32_e32 v9, 0
	s_and_b32 s0, s21, 7
	s_cmp_eq_u32 s0, 0
	s_cbranch_scc1 .LBB23_30
.LBB23_28:
	s_lshl_b64 s[2:3], s[18:19], 2
	s_mul_i32 s1, s22, 0x70
	v_add_u32_e32 v2, s1, v0
	v_mov_b32_e32 v3, 0
	s_add_u32 s1, s16, s2
	v_lshlrev_b64 v[2:3], 2, v[2:3]
	s_addc_u32 s2, s17, s3
	v_mov_b32_e32 v4, s2
	v_add_co_u32_e32 v2, vcc, s1, v2
	s_lshl_b32 s1, s22, 3
	v_addc_co_u32_e32 v3, vcc, v4, v3, vcc
	s_add_i32 s1, s1, 0
	s_mov_b32 s2, 0x3fb8aa3b
	s_mov_b32 s3, 0xc2ce8ed0
	;; [unrolled: 1-line block ×3, first 2 shown]
	v_mov_b32_e32 v4, 0x7f800000
.LBB23_29:                              ; =>This Inner Loop Header: Depth=1
	global_load_dword v5, v[2:3], off
	v_mov_b32_e32 v6, s1
	ds_read_b64 v[6:7], v6
	v_add_co_u32_e32 v2, vcc, 0x1c0, v2
	v_addc_co_u32_e32 v3, vcc, 0, v3, vcc
	s_waitcnt lgkmcnt(0)
	v_sub_f32_e32 v6, v6, v1
	v_mul_f32_e32 v10, 0x3fb8aa3b, v6
	v_fma_f32 v11, v6, s2, -v10
	v_rndne_f32_e32 v12, v10
	v_fmac_f32_e32 v11, 0x32a5705f, v6
	v_sub_f32_e32 v10, v10, v12
	v_add_f32_e32 v10, v10, v11
	v_cvt_i32_f32_e32 v12, v12
	v_exp_f32_e32 v10, v10
	v_cmp_ngt_f32_e32 vcc, s3, v6
	s_add_i32 s1, s1, 8
	s_add_i32 s0, s0, -1
	v_ldexp_f32 v10, v10, v12
	v_cndmask_b32_e32 v10, 0, v10, vcc
	v_cmp_nlt_f32_e32 vcc, s4, v6
	v_cndmask_b32_e32 v6, v4, v10, vcc
	s_cmp_lg_u32 s0, 0
	v_fmac_f32_e32 v9, v6, v7
	s_waitcnt vmcnt(0)
	v_fmac_f32_e32 v8, v5, v6
	s_cbranch_scc1 .LBB23_29
.LBB23_30:
	s_waitcnt lgkmcnt(0)
	v_div_scale_f32 v1, s[0:1], v9, v9, v8
	v_rcp_f32_e32 v2, v1
	v_div_scale_f32 v3, vcc, v8, v9, v8
	v_fma_f32 v4, -v1, v2, 1.0
	v_fmac_f32_e32 v2, v4, v2
	v_mul_f32_e32 v4, v3, v2
	v_fma_f32 v5, -v1, v4, v3
	v_fmac_f32_e32 v4, v5, v2
	v_fma_f32 v1, -v1, v4, v3
	v_div_fmas_f32 v1, v1, v2, v4
	v_div_fixup_f32 v1, v1, v9, v8
.LBB23_31:
	s_mul_i32 s0, s20, 0x70
	s_ashr_i32 s1, s0, 31
	s_lshl_b64 s[0:1], s[0:1], 2
	s_add_u32 s0, s14, s0
	s_addc_u32 s1, s15, s1
	v_lshlrev_b32_e32 v0, 2, v0
	global_store_dword v0, v1, s[0:1]
	s_endpgm
	.section	.rodata,"a",@progbits
	.p2align	6, 0x0
	.amdhsa_kernel _ZL26flash_attn_combine_resultsILi112EEvPKfPK15HIP_vector_typeIfLj2EEPfi
		.amdhsa_group_segment_fixed_size 0
		.amdhsa_private_segment_fixed_size 0
		.amdhsa_kernarg_size 288
		.amdhsa_user_sgpr_count 6
		.amdhsa_user_sgpr_private_segment_buffer 1
		.amdhsa_user_sgpr_dispatch_ptr 0
		.amdhsa_user_sgpr_queue_ptr 0
		.amdhsa_user_sgpr_kernarg_segment_ptr 1
		.amdhsa_user_sgpr_dispatch_id 0
		.amdhsa_user_sgpr_flat_scratch_init 0
		.amdhsa_user_sgpr_kernarg_preload_length 0
		.amdhsa_user_sgpr_kernarg_preload_offset 0
		.amdhsa_user_sgpr_private_segment_size 0
		.amdhsa_uses_dynamic_stack 0
		.amdhsa_system_sgpr_private_segment_wavefront_offset 0
		.amdhsa_system_sgpr_workgroup_id_x 1
		.amdhsa_system_sgpr_workgroup_id_y 1
		.amdhsa_system_sgpr_workgroup_id_z 1
		.amdhsa_system_sgpr_workgroup_info 0
		.amdhsa_system_vgpr_workitem_id 0
		.amdhsa_next_free_vgpr 51
		.amdhsa_next_free_sgpr 29
		.amdhsa_accum_offset 52
		.amdhsa_reserve_vcc 1
		.amdhsa_reserve_flat_scratch 0
		.amdhsa_float_round_mode_32 0
		.amdhsa_float_round_mode_16_64 0
		.amdhsa_float_denorm_mode_32 3
		.amdhsa_float_denorm_mode_16_64 3
		.amdhsa_dx10_clamp 1
		.amdhsa_ieee_mode 1
		.amdhsa_fp16_overflow 0
		.amdhsa_tg_split 0
		.amdhsa_exception_fp_ieee_invalid_op 0
		.amdhsa_exception_fp_denorm_src 0
		.amdhsa_exception_fp_ieee_div_zero 0
		.amdhsa_exception_fp_ieee_overflow 0
		.amdhsa_exception_fp_ieee_underflow 0
		.amdhsa_exception_fp_ieee_inexact 0
		.amdhsa_exception_int_div_zero 0
	.end_amdhsa_kernel
	.section	.text._ZL26flash_attn_combine_resultsILi112EEvPKfPK15HIP_vector_typeIfLj2EEPfi,"axG",@progbits,_ZL26flash_attn_combine_resultsILi112EEvPKfPK15HIP_vector_typeIfLj2EEPfi,comdat
.Lfunc_end23:
	.size	_ZL26flash_attn_combine_resultsILi112EEvPKfPK15HIP_vector_typeIfLj2EEPfi, .Lfunc_end23-_ZL26flash_attn_combine_resultsILi112EEvPKfPK15HIP_vector_typeIfLj2EEPfi
                                        ; -- End function
	.section	.AMDGPU.csdata,"",@progbits
; Kernel info:
; codeLenInByte = 3144
; NumSgprs: 33
; NumVgprs: 51
; NumAgprs: 0
; TotalNumVgprs: 51
; ScratchSize: 0
; MemoryBound: 0
; FloatMode: 240
; IeeeMode: 1
; LDSByteSize: 0 bytes/workgroup (compile time only)
; SGPRBlocks: 4
; VGPRBlocks: 6
; NumSGPRsForWavesPerEU: 33
; NumVGPRsForWavesPerEU: 51
; AccumOffset: 52
; Occupancy: 8
; WaveLimiterHint : 1
; COMPUTE_PGM_RSRC2:SCRATCH_EN: 0
; COMPUTE_PGM_RSRC2:USER_SGPR: 6
; COMPUTE_PGM_RSRC2:TRAP_HANDLER: 0
; COMPUTE_PGM_RSRC2:TGID_X_EN: 1
; COMPUTE_PGM_RSRC2:TGID_Y_EN: 1
; COMPUTE_PGM_RSRC2:TGID_Z_EN: 1
; COMPUTE_PGM_RSRC2:TIDIG_COMP_CNT: 0
; COMPUTE_PGM_RSRC3_GFX90A:ACCUM_OFFSET: 12
; COMPUTE_PGM_RSRC3_GFX90A:TG_SPLIT: 0
	.section	.text._ZL18flash_attn_ext_f16ILi128ELi128ELi16ELi1ELb0ELb0EEvPKcS1_S1_S1_S1_PKiPfP15HIP_vector_typeIfLj2EEffffjfiS5_IjLj3EEiiiiiiiiiiiliiliiiiil,"axG",@progbits,_ZL18flash_attn_ext_f16ILi128ELi128ELi16ELi1ELb0ELb0EEvPKcS1_S1_S1_S1_PKiPfP15HIP_vector_typeIfLj2EEffffjfiS5_IjLj3EEiiiiiiiiiiiliiliiiiil,comdat
	.globl	_ZL18flash_attn_ext_f16ILi128ELi128ELi16ELi1ELb0ELb0EEvPKcS1_S1_S1_S1_PKiPfP15HIP_vector_typeIfLj2EEffffjfiS5_IjLj3EEiiiiiiiiiiiliiliiiiil ; -- Begin function _ZL18flash_attn_ext_f16ILi128ELi128ELi16ELi1ELb0ELb0EEvPKcS1_S1_S1_S1_PKiPfP15HIP_vector_typeIfLj2EEffffjfiS5_IjLj3EEiiiiiiiiiiiliiliiiiil
	.p2align	8
	.type	_ZL18flash_attn_ext_f16ILi128ELi128ELi16ELi1ELb0ELb0EEvPKcS1_S1_S1_S1_PKiPfP15HIP_vector_typeIfLj2EEffffjfiS5_IjLj3EEiiiiiiiiiiiliiliiiiil,@function
_ZL18flash_attn_ext_f16ILi128ELi128ELi16ELi1ELb0ELb0EEvPKcS1_S1_S1_S1_PKiPfP15HIP_vector_typeIfLj2EEffffjfiS5_IjLj3EEiiiiiiiiiiiliiliiiiil: ; @_ZL18flash_attn_ext_f16ILi128ELi128ELi16ELi1ELb0ELb0EEvPKcS1_S1_S1_S1_PKiPfP15HIP_vector_typeIfLj2EEffffjfiS5_IjLj3EEiiiiiiiiiiiliiliiiiil
; %bb.0:
	s_load_dwordx2 s[14:15], s[4:5], 0x80
	s_load_dwordx4 s[64:67], s[4:5], 0x64
	s_add_u32 flat_scratch_lo, s6, s9
	s_addc_u32 flat_scratch_hi, s7, 0
	s_add_u32 s0, s0, s9
	s_addc_u32 s1, s1, 0
	s_waitcnt lgkmcnt(0)
	s_abs_i32 s6, s15
	v_cvt_f32_u32_e32 v1, s6
	s_sub_i32 s10, 0, s6
	s_abs_i32 s9, s65
	s_xor_b32 s7, s65, s15
	v_rcp_iflag_f32_e32 v1, v1
	s_ashr_i32 s7, s7, 31
                                        ; implicit-def: $vgpr213 : SGPR spill to VGPR lane
	s_load_dword s68, s[4:5], 0xd0
	s_mov_b32 s69, s8
	v_mul_f32_e32 v1, 0x4f7ffffe, v1
	v_cvt_u32_f32_e32 v1, v1
	s_mov_b32 s8, 0
	s_waitcnt lgkmcnt(0)
	v_cvt_f32_u32_e32 v2, s68
	v_cvt_f32_ubyte0_e32 v3, 0
	v_readfirstlane_b32 s11, v1
	s_mul_i32 s10, s10, s11
	s_mul_hi_u32 s10, s11, s10
	s_add_i32 s11, s11, s10
	s_mul_hi_u32 s10, s9, s11
	s_mul_i32 s11, s10, s6
	s_sub_i32 s9, s9, s11
	s_add_i32 s12, s10, 1
	s_sub_i32 s11, s9, s6
	s_cmp_ge_u32 s9, s6
	s_cselect_b32 s10, s12, s10
	s_cselect_b32 s9, s11, s9
	s_add_i32 s11, s10, 1
	s_cmp_ge_u32 s9, s6
	s_cselect_b32 s6, s11, s10
	s_add_i32 s9, s14, 63
	s_xor_b32 s6, s6, s7
	s_ashr_i32 s10, s9, 31
	s_sub_i32 s7, s6, s7
	s_lshr_b32 s6, s10, 26
	s_add_i32 s9, s9, s6
	s_add_i32 s6, s64, 15
	s_lshr_b32 s6, s6, 4
	s_ashr_i32 s9, s9, 6
	v_writelane_b32 v213, s6, 0
	v_writelane_b32 v213, s9, 1
	s_mul_i32 s6, s6, s9
	v_writelane_b32 v213, s7, 2
	v_writelane_b32 v213, s6, 3
	s_mul_i32 s7, s6, s7
	s_mov_b32 s6, s14
	v_writelane_b32 v213, s6, 4
	v_writelane_b32 v213, s7, 5
	s_mul_i32 s6, s7, s15
	s_mul_i32 s10, s6, s66
	v_writelane_b32 v213, s7, 6
	s_ashr_i32 s11, s10, 31
	v_writelane_b32 v213, s6, 7
	s_mul_i32 s6, s11, s69
	s_mul_hi_u32 s7, s10, s69
	s_add_i32 s9, s7, s6
	s_mul_i32 s12, s10, s69
	s_cmp_lg_u64 s[8:9], 0
	s_cbranch_scc0 .LBB24_2
; %bb.1:
	v_madmk_f32 v1, v3, 0x4f800000, v2
	v_rcp_f32_e32 v1, v1
	s_sub_u32 s8, 0, s68
	s_subb_u32 s13, 0, 0
	s_mov_b64 s[6:7], 0
	v_mul_f32_e32 v1, 0x5f7ffffc, v1
	v_mul_f32_e32 v4, 0x2f800000, v1
	v_trunc_f32_e32 v4, v4
	v_madmk_f32 v1, v4, 0xcf800000, v1
	v_cvt_u32_f32_e32 v4, v4
	v_cvt_u32_f32_e32 v1, v1
	v_readfirstlane_b32 s14, v4
	v_readfirstlane_b32 s15, v1
	s_mul_hi_u32 s17, s8, s15
	s_mul_i32 s18, s8, s14
	s_mul_i32 s16, s13, s15
	s_add_i32 s17, s17, s18
	s_add_i32 s17, s17, s16
	s_mul_i32 s19, s8, s15
	s_mul_hi_u32 s16, s15, s17
	s_mul_i32 s18, s15, s17
	s_mul_hi_u32 s15, s15, s19
	s_add_u32 s15, s15, s18
	s_addc_u32 s16, 0, s16
	s_mul_hi_u32 s20, s14, s19
	s_mul_i32 s19, s14, s19
	s_add_u32 s15, s15, s19
	s_mul_hi_u32 s18, s14, s17
	s_addc_u32 s15, s16, s20
	s_addc_u32 s16, s18, 0
	s_mul_i32 s17, s14, s17
	s_add_u32 s15, s15, s17
	s_addc_u32 s16, 0, s16
	v_add_co_u32_e32 v1, vcc, s15, v1
	s_cmp_lg_u64 vcc, 0
	s_addc_u32 s14, s14, s16
	v_readfirstlane_b32 s16, v1
	s_mul_i32 s15, s8, s14
	s_mul_hi_u32 s17, s8, s16
	s_add_i32 s15, s17, s15
	s_mul_i32 s13, s13, s16
	s_add_i32 s15, s15, s13
	s_mul_i32 s8, s8, s16
	s_mul_hi_u32 s17, s14, s8
	s_mul_i32 s18, s14, s8
	s_mul_i32 s20, s16, s15
	s_mul_hi_u32 s8, s16, s8
	s_mul_hi_u32 s19, s16, s15
	s_add_u32 s8, s8, s20
	s_addc_u32 s16, 0, s19
	s_add_u32 s8, s8, s18
	s_mul_hi_u32 s13, s14, s15
	s_addc_u32 s8, s16, s17
	s_addc_u32 s13, s13, 0
	s_mul_i32 s15, s14, s15
	s_add_u32 s8, s8, s15
	s_addc_u32 s13, 0, s13
	v_add_co_u32_e32 v1, vcc, s8, v1
	s_cmp_lg_u64 vcc, 0
	s_addc_u32 s13, s14, s13
	s_ashr_i32 s14, s9, 31
	s_add_u32 s8, s12, s14
	s_mov_b32 s15, s14
	s_addc_u32 s9, s9, s14
	s_xor_b64 s[8:9], s[8:9], s[14:15]
	v_readfirstlane_b32 s18, v1
	s_mul_i32 s17, s8, s13
	s_mul_hi_u32 s19, s8, s18
	s_mul_hi_u32 s16, s8, s13
	s_add_u32 s17, s19, s17
	s_addc_u32 s16, 0, s16
	s_mul_hi_u32 s20, s9, s18
	s_mul_i32 s18, s9, s18
	s_add_u32 s17, s17, s18
	s_mul_hi_u32 s19, s9, s13
	s_addc_u32 s16, s16, s20
	s_addc_u32 s17, s19, 0
	s_mul_i32 s13, s9, s13
	s_add_u32 s13, s16, s13
	s_addc_u32 s16, 0, s17
	s_add_u32 s17, s13, 1
	s_addc_u32 s18, s16, 0
	s_add_u32 s19, s13, 2
	s_mul_i32 s21, s68, s16
	s_mul_hi_u32 s22, s68, s13
	s_addc_u32 s20, s16, 0
	s_add_i32 s22, s22, s21
	s_mul_i32 s21, s68, s13
	v_mov_b32_e32 v1, s21
	v_sub_co_u32_e32 v1, vcc, s8, v1
	s_cmp_lg_u64 vcc, 0
	s_subb_u32 s8, s9, s22
	v_subrev_co_u32_e32 v4, vcc, s68, v1
	s_cmp_lg_u64 vcc, 0
	s_subb_u32 s9, s8, 0
	v_readfirstlane_b32 s21, v4
	s_cmp_ge_u32 s21, s68
	s_cselect_b32 s21, -1, 0
	s_cmp_eq_u32 s9, 0
	s_cselect_b32 s9, s21, -1
	s_cmp_lg_u32 s9, 0
	s_cselect_b32 s9, s20, s18
	v_readfirstlane_b32 s18, v1
	s_cselect_b32 s17, s19, s17
	s_cmp_ge_u32 s18, s68
	s_cselect_b32 s18, -1, 0
	s_cmp_eq_u32 s8, 0
	s_cselect_b32 s8, s18, -1
	s_cmp_lg_u32 s8, 0
	s_cselect_b32 s9, s9, s16
	s_cselect_b32 s8, s17, s13
	s_xor_b64 s[8:9], s[8:9], s[14:15]
	s_sub_u32 s90, s8, s14
	s_branch .LBB24_3
.LBB24_2:
	s_mov_b64 s[6:7], -1
                                        ; implicit-def: $sgpr90_sgpr91
.LBB24_3:
	s_load_dwordx2 s[8:9], s[4:5], 0x74
	v_cvt_f32_u32_e32 v1, s68
	s_andn2_b64 vcc, exec, s[6:7]
	s_waitcnt lgkmcnt(0)
	v_writelane_b32 v213, s8, 8
	v_writelane_b32 v213, s9, 9
	s_cbranch_vccnz .LBB24_5
; %bb.4:
	v_rcp_iflag_f32_e32 v4, v1
	s_sub_i32 s6, 0, s68
	v_mul_f32_e32 v4, 0x4f7ffffe, v4
	v_cvt_u32_f32_e32 v4, v4
	v_readfirstlane_b32 s7, v4
	s_mul_i32 s6, s6, s7
	s_mul_hi_u32 s6, s7, s6
	s_add_i32 s7, s7, s6
	s_mul_hi_u32 s6, s12, s7
	s_mul_i32 s8, s6, s68
	s_sub_i32 s8, s12, s8
	s_add_i32 s7, s6, 1
	s_sub_i32 s9, s8, s68
	s_cmp_ge_u32 s8, s68
	s_cselect_b32 s6, s7, s6
	s_cselect_b32 s8, s9, s8
	s_add_i32 s7, s6, 1
	s_cmp_ge_u32 s8, s68
	s_cselect_b32 s90, s7, s6
.LBB24_5:
	s_add_i32 s6, s69, 1
	s_mul_i32 s7, s11, s6
	s_mul_hi_u32 s8, s10, s6
	s_add_i32 s9, s8, s7
	s_mov_b32 s8, 0
	s_cmp_lg_u64 s[8:9], 0
	s_mul_i32 s8, s10, s6
	s_cbranch_scc0 .LBB24_7
; %bb.6:
	v_madmk_f32 v2, v3, 0x4f800000, v2
	v_rcp_f32_e32 v2, v2
	s_sub_u32 s10, 0, s68
	s_subb_u32 s11, 0, 0
	s_mov_b64 s[6:7], 0
	v_mul_f32_e32 v2, 0x5f7ffffc, v2
	v_mul_f32_e32 v3, 0x2f800000, v2
	v_trunc_f32_e32 v3, v3
	v_madmk_f32 v2, v3, 0xcf800000, v2
	v_cvt_u32_f32_e32 v3, v3
	v_cvt_u32_f32_e32 v2, v2
	v_readfirstlane_b32 s12, v3
	v_readfirstlane_b32 s13, v2
	s_mul_hi_u32 s15, s10, s13
	s_mul_i32 s16, s10, s12
	s_mul_i32 s14, s11, s13
	s_add_i32 s15, s15, s16
	s_add_i32 s15, s15, s14
	s_mul_i32 s17, s10, s13
	s_mul_hi_u32 s14, s13, s15
	s_mul_i32 s16, s13, s15
	s_mul_hi_u32 s13, s13, s17
	s_add_u32 s13, s13, s16
	s_addc_u32 s14, 0, s14
	s_mul_hi_u32 s18, s12, s17
	s_mul_i32 s17, s12, s17
	s_add_u32 s13, s13, s17
	s_mul_hi_u32 s16, s12, s15
	s_addc_u32 s13, s14, s18
	s_addc_u32 s14, s16, 0
	s_mul_i32 s15, s12, s15
	s_add_u32 s13, s13, s15
	s_addc_u32 s14, 0, s14
	v_add_co_u32_e32 v2, vcc, s13, v2
	s_cmp_lg_u64 vcc, 0
	s_addc_u32 s12, s12, s14
	v_readfirstlane_b32 s14, v2
	s_mul_i32 s13, s10, s12
	s_mul_hi_u32 s15, s10, s14
	s_add_i32 s13, s15, s13
	s_mul_i32 s11, s11, s14
	s_add_i32 s13, s13, s11
	s_mul_i32 s10, s10, s14
	s_mul_hi_u32 s15, s12, s10
	s_mul_i32 s16, s12, s10
	s_mul_i32 s18, s14, s13
	s_mul_hi_u32 s10, s14, s10
	s_mul_hi_u32 s17, s14, s13
	s_add_u32 s10, s10, s18
	s_addc_u32 s14, 0, s17
	s_add_u32 s10, s10, s16
	s_mul_hi_u32 s11, s12, s13
	s_addc_u32 s10, s14, s15
	s_addc_u32 s11, s11, 0
	s_mul_i32 s13, s12, s13
	s_add_u32 s10, s10, s13
	s_addc_u32 s11, 0, s11
	v_add_co_u32_e32 v2, vcc, s10, v2
	s_cmp_lg_u64 vcc, 0
	s_addc_u32 s14, s12, s11
	s_ashr_i32 s10, s9, 31
	s_add_u32 s12, s8, s10
	s_mov_b32 s11, s10
	s_addc_u32 s13, s9, s10
	s_xor_b64 s[12:13], s[12:13], s[10:11]
	v_readfirstlane_b32 s16, v2
	s_mul_i32 s15, s12, s14
	s_mul_hi_u32 s17, s12, s16
	s_mul_hi_u32 s9, s12, s14
	s_add_u32 s15, s17, s15
	s_addc_u32 s9, 0, s9
	s_mul_hi_u32 s18, s13, s16
	s_mul_i32 s16, s13, s16
	s_add_u32 s15, s15, s16
	s_mul_hi_u32 s17, s13, s14
	s_addc_u32 s9, s9, s18
	s_addc_u32 s15, s17, 0
	s_mul_i32 s14, s13, s14
	s_add_u32 s9, s9, s14
	s_addc_u32 s14, 0, s15
	s_add_u32 s15, s9, 1
	s_addc_u32 s16, s14, 0
	s_add_u32 s17, s9, 2
	s_mul_i32 s19, s68, s14
	s_mul_hi_u32 s20, s68, s9
	s_addc_u32 s18, s14, 0
	s_add_i32 s20, s20, s19
	s_mul_i32 s19, s68, s9
	v_mov_b32_e32 v2, s19
	v_sub_co_u32_e32 v2, vcc, s12, v2
	s_cmp_lg_u64 vcc, 0
	s_subb_u32 s12, s13, s20
	v_subrev_co_u32_e32 v3, vcc, s68, v2
	s_cmp_lg_u64 vcc, 0
	s_subb_u32 s13, s12, 0
	v_readfirstlane_b32 s19, v3
	s_cmp_ge_u32 s19, s68
	s_cselect_b32 s19, -1, 0
	s_cmp_eq_u32 s13, 0
	s_cselect_b32 s13, s19, -1
	s_cmp_lg_u32 s13, 0
	s_cselect_b32 s13, s18, s16
	v_readfirstlane_b32 s16, v2
	s_cselect_b32 s15, s17, s15
	s_cmp_ge_u32 s16, s68
	s_cselect_b32 s16, -1, 0
	s_cmp_eq_u32 s12, 0
	s_cselect_b32 s12, s16, -1
	s_cmp_lg_u32 s12, 0
	s_cselect_b32 s13, s13, s14
	s_cselect_b32 s12, s15, s9
	s_xor_b64 s[12:13], s[12:13], s[10:11]
	s_sub_u32 s10, s12, s10
	v_writelane_b32 v213, s10, 12
	v_writelane_b32 v213, s11, 13
	s_branch .LBB24_8
.LBB24_7:
	s_mov_b64 s[6:7], -1
                                        ; implicit-def: $sgpr10_sgpr11
                                        ; kill: killed $sgpr10_sgpr11
.LBB24_8:
	s_load_dwordx2 s[10:11], s[4:5], 0x5c
	s_andn2_b64 vcc, exec, s[6:7]
	s_waitcnt lgkmcnt(0)
	v_writelane_b32 v213, s10, 10
	v_writelane_b32 v213, s11, 11
	s_cbranch_vccnz .LBB24_10
; %bb.9:
	v_rcp_iflag_f32_e32 v1, v1
	s_sub_i32 s6, 0, s68
	v_mul_f32_e32 v1, 0x4f7ffffe, v1
	v_cvt_u32_f32_e32 v1, v1
	v_readfirstlane_b32 s7, v1
	s_mul_i32 s6, s6, s7
	s_mul_hi_u32 s6, s7, s6
	s_add_i32 s7, s7, s6
	s_mul_hi_u32 s6, s8, s7
	s_mul_i32 s9, s6, s68
	s_sub_i32 s8, s8, s9
	s_add_i32 s7, s6, 1
	s_sub_i32 s9, s8, s68
	s_cmp_ge_u32 s8, s68
	s_cselect_b32 s6, s7, s6
	s_cselect_b32 s8, s9, s8
	s_add_i32 s7, s6, 1
	s_cmp_ge_u32 s8, s68
	s_cselect_b32 s6, s7, s6
	v_writelane_b32 v213, s6, 12
	v_writelane_b32 v213, s7, 13
.LBB24_10:
	s_load_dwordx16 s[48:63], s[4:5], 0x0
	s_load_dwordx4 s[20:23], s[4:5], 0x40
	s_load_dword s6, s[4:5], 0x50
	v_bfe_u32 v69, v0, 10, 10
	s_mov_b32 s99, 0
	v_lshlrev_b32_e32 v71, 2, v69
	v_add_u32_e32 v78, 4, v69
	s_waitcnt lgkmcnt(0)
	v_writelane_b32 v213, s6, 14
	s_load_dwordx2 s[6:7], s[4:5], 0x8c
	s_load_dwordx4 s[8:11], s[4:5], 0x98
	s_load_dwordx2 s[12:13], s[4:5], 0xa8
	s_load_dwordx2 s[18:19], s[4:5], 0xb8
	s_nop 0
	s_load_dwordx2 s[4:5], s[4:5], 0xc8
	v_add_u32_e32 v77, 8, v69
	s_waitcnt lgkmcnt(0)
	s_ashr_i32 s80, s6, 2
	s_ashr_i32 s66, s10, 2
	v_writelane_b32 v213, s12, 15
	v_writelane_b32 v213, s13, 16
	;; [unrolled: 1-line block ×4, first 2 shown]
	v_readlane_b32 s12, v213, 1
	s_abs_i32 s97, s12
	v_cvt_f32_u32_e32 v1, s97
	s_ashr_i32 s4, s67, 3
	v_writelane_b32 v213, s4, 19
	s_mov_b32 s5, s7
	v_rcp_iflag_f32_e32 v1, v1
	v_writelane_b32 v213, s4, 20
	v_writelane_b32 v213, s5, 21
	s_mov_b64 s[4:5], s[8:9]
	v_mul_f32_e32 v1, 0x4f7ffffe, v1
	s_mov_b32 s7, s11
	v_cvt_u32_f32_e32 v1, v1
	v_writelane_b32 v213, s4, 22
	v_writelane_b32 v213, s5, 23
	;; [unrolled: 1-line block ×4, first 2 shown]
	s_sub_i32 s6, 0, s97
	v_readfirstlane_b32 s7, v1
	s_mul_i32 s6, s6, s7
	s_ashr_i32 s5, s12, 31
	s_mul_hi_u32 s6, s7, s6
	v_writelane_b32 v213, s5, 26
	s_abs_i32 s5, s90
	s_add_i32 s37, s7, s6
	s_mul_hi_u32 s6, s5, s37
	s_mul_i32 s6, s6, s97
	s_sub_i32 s5, s5, s6
	s_ashr_i32 s72, s19, 1
	s_ashr_i32 s4, s90, 31
	s_sub_i32 s6, s5, s97
	s_cmp_ge_u32 s5, s97
	s_cselect_b32 s5, s6, s5
	s_sub_i32 s6, s5, s97
	s_cmp_ge_u32 s5, s97
	s_cselect_b32 s5, s6, s5
	s_xor_b32 s5, s5, s4
	s_sub_i32 s40, s5, s4
	v_readlane_b32 s4, v213, 12
	s_mov_b32 s10, s4
	s_sub_i32 s4, s4, s90
	s_add_i32 s6, s4, s40
	s_min_i32 s91, s12, s6
	s_cmp_gt_i32 s10, s90
	v_readlane_b32 s5, v213, 13
	s_cselect_b64 s[8:9], -1, 0
	s_cmp_le_i32 s10, s90
	v_cvt_f16_f32_e32 v1, s20
	s_cselect_b64 s[4:5], -1, 0
	s_cmp_gt_i32 s12, s6
	s_cselect_b64 s[6:7], -1, 0
	s_or_b64 s[4:5], s[6:7], s[4:5]
	s_and_b64 vcc, exec, s[4:5]
	v_pack_b32_f16 v75, v1, v1
	v_add_u32_e32 v76, 12, v69
	v_lshlrev_b32_e32 v67, 4, v69
	v_and_b32_e32 v73, 3, v69
	s_cbranch_vccz .LBB24_13
; %bb.11:
	s_andn2_b64 vcc, exec, s[8:9]
	s_cbranch_vccz .LBB24_269
.LBB24_12:
	s_endpgm
.LBB24_13:
	v_and_b32_e32 v22, 0x3ff, v0
	v_lshrrev_b32_e32 v5, 3, v22
	v_and_b32_e32 v2, 0x3f0, v71
	s_movk_i32 s9, 0x110
	v_and_b32_e32 v1, 15, v22
	v_and_b32_e32 v5, 30, v5
	v_mad_u32_u24 v3, v2, s9, 0
	v_mul_u32_u24_e32 v4, 0x110, v1
	v_lshlrev_b32_e32 v6, 2, v5
	s_cmp_lg_u64 s[54:55], 0
	v_add3_u32 v79, v3, v4, v6
	v_mul_u32_u24_e32 v3, 0x90, v69
	v_lshlrev_b32_e32 v24, 1, v22
	v_writelane_b32 v213, s68, 27
	s_cselect_b64 s[4:5], -1, 0
	v_add3_u32 v80, 0, v3, v24
	v_lshrrev_b32_e32 v3, 4, v22
	v_lshlrev_b32_e32 v7, 2, v22
	v_writelane_b32 v213, s4, 28
	v_add_u32_e32 v81, v71, v3
	v_and_b32_e32 v26, 60, v7
	v_writelane_b32 v213, s5, 29
	s_mul_i32 s4, s64, s65
	s_cmp_eq_u64 s[56:57], 0
	v_mul_u32_u24_e32 v3, 0x110, v81
	v_lshlrev_b32_e32 v7, 2, v26
	v_writelane_b32 v213, s4, 30
	s_cselect_b64 s[4:5], -1, 0
	v_add3_u32 v82, 0, v3, v7
	v_and_b32_e32 v3, 48, v67
	v_writelane_b32 v213, s4, 31
	v_mad_u32_u24 v7, v3, s9, 0
	v_writelane_b32 v213, s5, 32
	s_mov_b64 s[6:7], s[22:23]
	s_mov_b32 s5, s21
	v_add3_u32 v83, v7, v4, v6
	v_lshrrev_b32_e32 v4, 2, v22
	v_writelane_b32 v213, s4, 33
	v_and_b32_e32 v6, 60, v4
	v_writelane_b32 v213, s5, 34
	v_add_u32_e32 v84, v3, v6
	v_add_u16_e32 v3, v3, v6
	v_writelane_b32 v213, s6, 35
	v_or_b32_e32 v2, v2, v1
	v_lshrrev_b16_e32 v3, 1, v3
	v_writelane_b32 v213, s7, 36
	v_cmp_nle_f32_e64 s[4:5], s21, 0
	v_mul_u32_u24_e32 v2, 0x90, v2
	v_lshlrev_b32_e32 v3, 2, v3
	v_writelane_b32 v213, s4, 37
	s_cmp_lg_u64 s[58:59], 0
	v_add3_u32 v85, 0, v2, v3
	v_mul_u32_u24_e32 v2, 0x88, v6
	v_writelane_b32 v213, s5, 38
	s_cselect_b64 s[4:5], -1, 0
	v_or_b32_e32 v2, v2, v1
	v_or_b32_e32 v4, 3, v4
	s_lshl_b32 s98, s69, 4
	s_ashr_i32 s73, s72, 31
	s_ashr_i32 s81, s80, 31
	;; [unrolled: 1-line block ×3, first 2 shown]
	s_lshl_b32 s8, s80, 4
	s_lshl_b32 s14, s66, 4
	v_mul_u32_u24_e32 v3, 0x110, v6
	v_mul_u32_u24_e32 v4, 0x110, v4
	v_lshl_add_u32 v86, v2, 1, v7
	v_lshlrev_b32_e32 v2, 1, v1
	s_lshl_b64 s[10:11], s[98:99], 3
	v_add3_u32 v87, v7, v3, v2
	v_add3_u32 v88, v7, v4, v2
	s_add_u32 s9, s62, s10
	v_or_b32_e32 v2, v71, v22
	s_addc_u32 s10, s63, s11
	v_lshlrev_b32_e32 v2, 3, v2
	v_lshrrev_b32_e32 v89, 2, v69
	v_mov_b32_e32 v3, s10
	v_add_co_u32_e32 v28, vcc, s9, v2
	v_or_b32_e32 v2, v67, v1
	s_movk_i32 s9, 0x44
	v_add_u32_e32 v90, 1, v89
	v_addc_co_u32_e32 v29, vcc, 0, v3, vcc
	v_mad_u32_u24 v18, v2, s9, v5
	v_lshlrev_b32_e32 v2, 2, v90
	v_and_b32_e32 v3, 15, v90
	s_movk_i32 s10, 0x1c0
	v_add_u32_e32 v91, 2, v89
	v_and_or_b32 v19, v2, s10, v3
	v_lshlrev_b32_e32 v2, 2, v91
	v_and_b32_e32 v3, 15, v91
	v_add_u32_e32 v92, 3, v89
	v_and_or_b32 v20, v2, s10, v3
	v_lshlrev_b32_e32 v2, 2, v92
	v_and_b32_e32 v3, 15, v92
	;; [unrolled: 4-line block ×8, first 2 shown]
	v_add_u32_e32 v99, 10, v89
	v_writelane_b32 v213, s4, 39
	v_and_or_b32 v32, v2, s10, v3
	v_lshlrev_b32_e32 v2, 2, v99
	v_and_b32_e32 v3, 15, v99
	v_add_u32_e32 v100, 11, v89
	v_writelane_b32 v213, s5, 40
	v_and_or_b32 v33, v2, s10, v3
	v_lshlrev_b32_e32 v2, 2, v100
	v_and_b32_e32 v3, 15, v100
	;; [unrolled: 5-line block ×3, first 2 shown]
	v_add_u32_e32 v102, 13, v89
	v_and_or_b32 v35, v2, s10, v3
	v_lshlrev_b32_e32 v2, 2, v102
	v_and_b32_e32 v3, 15, v102
	v_add_u32_e32 v103, 14, v89
	v_readlane_b32 s21, v213, 7
	v_and_or_b32 v36, v2, s10, v3
	v_lshlrev_b32_e32 v2, 2, v103
	v_and_b32_e32 v3, 15, v103
	v_add_u32_e32 v104, 15, v89
	s_abs_i32 s70, s21
	v_readlane_b32 s19, v213, 3
	v_and_or_b32 v37, v2, s10, v3
	v_cvt_f32_u32_e32 v2, s70
	v_lshlrev_b32_e32 v4, 2, v104
	v_and_b32_e32 v5, 15, v104
	s_abs_i32 s24, s19
	v_and_or_b32 v38, v4, s10, v5
	v_cvt_f32_u32_e32 v4, s24
	v_rcp_iflag_f32_e32 v2, v2
	v_readlane_b32 s20, v213, 6
	s_abs_i32 s33, s20
	v_rcp_iflag_f32_e32 v4, v4
	v_mul_f32_e32 v2, 0x4f7ffffe, v2
	v_cvt_u32_f32_e32 v2, v2
	v_cvt_f32_u32_e32 v3, s33
	v_mul_f32_e32 v4, 0x4f7ffffe, v4
	v_cvt_u32_f32_e32 v4, v4
	v_readfirstlane_b32 s15, v2
	v_mul_lo_u32 v2, s80, v81
	v_mul_lo_u32 v10, s66, v81
	v_rcp_iflag_f32_e32 v3, v3
	s_mov_b32 s10, s18
	v_readfirstlane_b32 s17, v4
	v_add_u32_e32 v4, s8, v2
	v_add_u32_e32 v12, s14, v10
	v_writelane_b32 v213, s10, 42
	v_add_u32_e32 v6, s8, v4
	v_add_u32_e32 v14, s14, v12
	v_lshl_add_u32 v106, v18, 2, 0
	v_mad_u32_u24 v18, v69, s9, v22
	v_writelane_b32 v213, s11, 43
	v_add_u32_e32 v8, s8, v6
	v_add_u32_e32 v16, s14, v14
	s_movk_i32 s8, 0xc0
	s_lshl_b32 s14, s65, 6
	v_lshl_add_u32 v107, v18, 2, 0
	v_bfe_u32 v18, v69, 2, 4
	v_writelane_b32 v213, s14, 44
	v_and_or_b32 v18, v69, s8, v18
	s_ashr_i32 s8, s21, 31
	v_mul_f32_e32 v3, 0x4f7ffffe, v3
	s_abs_i32 s22, s18
	v_writelane_b32 v213, s8, 45
	s_sub_i32 s8, 0, s70
	v_cvt_u32_f32_e32 v3, v3
	v_cvt_f32_u32_e32 v5, s22
	s_mul_i32 s8, s8, s15
	s_mul_hi_u32 s8, s15, s8
	v_mul_u32_u24_e32 v108, 0x110, v18
	v_mad_u32_u24 v18, v18, s9, v22
	s_add_i32 s8, s15, s8
	v_lshl_add_u32 v109, v18, 2, 0
	v_mad_u32_u24 v18, v19, s9, v22
	v_writelane_b32 v213, s8, 46
	s_ashr_i32 s8, s20, 31
	v_readfirstlane_b32 s16, v3
	v_rcp_iflag_f32_e32 v3, v5
	v_lshl_add_u32 v111, v18, 2, 0
	v_mad_u32_u24 v18, v20, s9, v22
	v_writelane_b32 v213, s8, 47
	s_sub_i32 s8, 0, s33
	v_lshl_add_u32 v113, v18, 2, 0
	v_mad_u32_u24 v18, v21, s9, v22
	s_mul_i32 s8, s8, s16
	v_lshl_add_u32 v115, v18, 2, 0
	v_mad_u32_u24 v18, v23, s9, v22
	s_mul_hi_u32 s8, s16, s8
	v_lshl_add_u32 v117, v18, 2, 0
	v_mad_u32_u24 v18, v25, s9, v22
	s_add_i32 s8, s16, s8
	v_mul_f32_e32 v3, 0x4f7ffffe, v3
	v_lshl_add_u32 v119, v18, 2, 0
	v_mad_u32_u24 v18, v27, s9, v22
	v_writelane_b32 v213, s8, 48
	s_ashr_i32 s8, s19, 31
	v_cvt_u32_f32_e32 v5, v3
	v_ashrrev_i32_e32 v11, 31, v10
	v_lshl_add_u32 v121, v18, 2, 0
	v_mad_u32_u24 v18, v30, s9, v22
	v_writelane_b32 v213, s8, 49
	s_sub_i32 s8, 0, s24
	v_mul_u32_u24_e32 v122, 0x110, v30
	v_lshl_add_u32 v123, v18, 2, 0
	v_mul_u32_u24_e32 v124, 0x110, v31
	v_mad_u32_u24 v18, v31, s9, v22
	s_mul_i32 s8, s8, s17
	v_lshlrev_b64 v[30:31], 2, v[10:11]
	v_ashrrev_i32_e32 v13, 31, v12
	v_lshl_add_u32 v125, v18, 2, 0
	v_mad_u32_u24 v18, v32, s9, v22
	s_mul_hi_u32 s8, s17, s8
	v_mov_b32_e32 v10, s53
	v_add_co_u32_e32 v140, vcc, s52, v30
	v_mul_u32_u24_e32 v126, 0x110, v32
	v_lshl_add_u32 v127, v18, 2, 0
	v_mul_u32_u24_e32 v128, 0x110, v33
	v_mad_u32_u24 v18, v33, s9, v22
	s_add_i32 s8, s17, s8
	v_addc_co_u32_e32 v141, vcc, v10, v31, vcc
	v_lshlrev_b64 v[32:33], 2, v[12:13]
	v_readfirstlane_b32 s18, v5
	v_ashrrev_i32_e32 v15, 31, v14
	v_lshl_add_u32 v129, v18, 2, 0
	v_mad_u32_u24 v18, v34, s9, v22
	v_writelane_b32 v213, s8, 50
	s_sub_i32 s8, 0, s22
	v_add_co_u32_e32 v142, vcc, s52, v32
	v_mul_u32_u24_e32 v130, 0x110, v34
	v_lshl_add_u32 v131, v18, 2, 0
	v_mul_u32_u24_e32 v132, 0x110, v35
	v_mad_u32_u24 v18, v35, s9, v22
	s_mul_i32 s8, s8, s18
	v_addc_co_u32_e32 v143, vcc, v10, v33, vcc
	v_lshlrev_b64 v[34:35], 2, v[14:15]
	v_ashrrev_i32_e32 v17, 31, v16
	v_lshl_add_u32 v133, v18, 2, 0
	v_mad_u32_u24 v18, v36, s9, v22
	s_mul_hi_u32 s8, s18, s8
	v_add_co_u32_e32 v144, vcc, s52, v34
	v_mul_u32_u24_e32 v134, 0x110, v36
	v_lshl_add_u32 v135, v18, 2, 0
	v_mul_u32_u24_e32 v136, 0x110, v37
	v_mad_u32_u24 v18, v37, s9, v22
	v_writelane_b32 v213, s22, 51
	s_add_i32 s8, s18, s8
	v_addc_co_u32_e32 v145, vcc, v10, v35, vcc
	v_lshlrev_b64 v[36:37], 2, v[16:17]
	v_ashrrev_i32_e32 v3, 31, v2
	v_add_u32_e32 v39, v67, v22
	v_lshl_add_u32 v137, v18, 2, 0
	v_mad_u32_u24 v18, v38, s9, v22
	v_writelane_b32 v213, s8, 52
	v_add_co_u32_e32 v146, vcc, s52, v36
	v_cmp_eq_u32_e64 s[8:9], 0, v73
	v_mul_u32_u24_e32 v105, 0x110, v39
	v_mul_u32_u24_e32 v138, 0x110, v38
	v_addc_co_u32_e32 v147, vcc, v10, v37, vcc
	v_lshlrev_b64 v[38:39], 2, v[2:3]
	v_writelane_b32 v213, s8, 53
	v_ashrrev_i32_e32 v5, 31, v4
	v_mov_b32_e32 v2, s51
	v_add_co_u32_e32 v148, vcc, s50, v38
	v_writelane_b32 v213, s9, 54
	v_cmp_ne_u32_e64 s[8:9], 0, v73
	v_addc_co_u32_e32 v149, vcc, v2, v39, vcc
	v_lshlrev_b64 v[40:41], 2, v[4:5]
	v_writelane_b32 v213, s8, 55
	v_ashrrev_i32_e32 v7, 31, v6
	v_add_co_u32_e32 v150, vcc, s50, v40
	v_writelane_b32 v213, s9, 56
	v_cmp_gt_u32_e64 s[8:9], 16, v22
	v_addc_co_u32_e32 v151, vcc, v2, v41, vcc
	v_lshlrev_b64 v[42:43], 2, v[6:7]
	v_writelane_b32 v213, s8, 57
	v_ashrrev_i32_e32 v9, 31, v8
	v_add_co_u32_e32 v152, vcc, s50, v42
	v_writelane_b32 v213, s9, 58
	s_mov_b32 s8, s72
	v_addc_co_u32_e32 v153, vcc, v2, v43, vcc
	v_lshlrev_b64 v[44:45], 2, v[8:9]
	v_writelane_b32 v213, s8, 59
	v_add_co_u32_e32 v154, vcc, s50, v44
	v_writelane_b32 v213, s9, 60
	s_lshl_b64 s[8:9], s[72:73], 1
	s_mov_b64 s[74:75], src_private_base
	v_addc_co_u32_e32 v155, vcc, v2, v45, vcc
	v_mbcnt_lo_u32_b32 v2, -1, 0
	v_writelane_b32 v213, s8, 61
	v_cmp_gt_u32_e64 s[4:5], 64, v22
	s_mov_b32 s74, 0
	v_cmp_gt_u32_e64 s[6:7], 64, v81
	v_cmp_gt_u32_e64 s[38:39], 48, v81
	;; [unrolled: 1-line block ×4, first 2 shown]
	s_movk_i32 s92, 0x80
	v_mul_u32_u24_e32 v110, 0x110, v19
	v_mul_u32_u24_e32 v112, 0x110, v20
	v_mul_u32_u24_e32 v114, 0x110, v21
	v_mul_u32_u24_e32 v116, 0x110, v23
	v_mul_u32_u24_e32 v118, 0x110, v25
	v_mul_u32_u24_e32 v120, 0x110, v27
	v_lshl_add_u32 v139, v18, 2, 0
	s_mov_b32 s93, 0x42b17218
	s_mov_b32 s65, 0x3fb8aa3b
	;; [unrolled: 1-line block ×5, first 2 shown]
	v_mbcnt_hi_u32_b32 v156, -1, v2
	v_mov_b32_e32 v157, 0
	v_add_u32_e32 v158, 0x240, v80
	v_add_u32_e32 v159, 0x480, v80
	;; [unrolled: 1-line block ×16, first 2 shown]
	v_or_b32_e32 v174, 1, v84
	v_or_b32_e32 v175, 2, v84
	;; [unrolled: 1-line block ×3, first 2 shown]
	v_lshlrev_b32_e32 v46, 4, v1
	v_mov_b32_e32 v177, 0x3ecccdef
	v_mov_b32_e32 v178, 0x37000000
	;; [unrolled: 1-line block ×4, first 2 shown]
	v_cmp_gt_u32_e64 s[14:15], 64, v84
	v_cmp_gt_u32_e64 s[16:17], 63, v84
	;; [unrolled: 1-line block ×4, first 2 shown]
	v_writelane_b32 v213, s9, 62
	s_lshl_b64 s[84:85], s[66:67], 8
	s_lshl_b64 s[94:95], s[80:81], 8
	v_writelane_b32 v213, s37, 63
	s_branch .LBB24_16
.LBB24_14:                              ;   in Loop: Header=BB24_16 Depth=1
	s_or_b64 exec, exec, s[8:9]
	s_barrier
.LBB24_15:                              ;   in Loop: Header=BB24_16 Depth=1
	v_readlane_b32 s25, v213, 1
	s_add_i32 s8, s90, s25
	s_abs_i32 s22, s8
	v_readlane_b32 s37, v213, 63
	s_mul_hi_u32 s23, s22, s37
	s_mul_i32 s23, s23, s97
	s_sub_i32 s22, s22, s23
	s_ashr_i32 s9, s8, 31
	s_sub_i32 s23, s22, s97
	s_cmp_ge_u32 s22, s97
	s_cselect_b32 s22, s23, s22
	s_sub_i32 s23, s22, s97
	s_cmp_ge_u32 s22, s97
	s_cselect_b32 s22, s23, s22
	s_xor_b32 s22, s22, s9
	s_sub_i32 s9, s9, s22
	s_add_i32 s90, s8, s9
	v_readlane_b32 s8, v213, 12
	s_sub_i32 s22, s8, s90
	s_min_i32 s91, s25, s22
	v_readlane_b32 s9, v213, 13
	s_cmp_gt_i32 s8, s90
	s_cselect_b64 s[8:9], -1, 0
	s_cmp_le_i32 s25, s22
	s_cselect_b64 s[22:23], -1, 0
	s_and_b64 s[22:23], s[22:23], s[8:9]
	s_mov_b32 s40, 0
	s_and_b64 vcc, exec, s[22:23]
	s_cbranch_vccz .LBB24_268
.LBB24_16:                              ; =>This Loop Header: Depth=1
                                        ;     Child Loop BB24_169 Depth 2
                                        ;     Child Loop BB24_41 Depth 2
	s_ashr_i32 s8, s90, 31
	v_readlane_b32 s9, v213, 45
	s_xor_b32 s8, s8, s9
	s_abs_i32 s9, s90
	v_readlane_b32 s22, v213, 46
	s_mul_hi_u32 s22, s9, s22
	s_mul_i32 s23, s22, s70
	s_sub_i32 s9, s9, s23
	s_add_i32 s23, s22, 1
	s_sub_i32 s25, s9, s70
	s_cmp_ge_u32 s9, s70
	s_cselect_b32 s22, s23, s22
	s_cselect_b32 s9, s25, s9
	s_add_i32 s23, s22, 1
	s_cmp_ge_u32 s9, s70
	s_cselect_b32 s9, s23, s22
	s_xor_b32 s9, s9, s8
	s_sub_i32 s41, s9, s8
	v_readlane_b32 s8, v213, 28
	v_readlane_b32 s9, v213, 29
	s_ashr_i32 s42, s41, 31
	s_andn2_b64 vcc, exec, s[8:9]
	s_mov_b64 s[8:9], 0
	s_cbranch_vccnz .LBB24_18
; %bb.17:                               ;   in Loop: Header=BB24_16 Depth=1
	s_abs_i32 s8, s41
	v_readlane_b32 s9, v213, 52
	s_mul_hi_u32 s9, s8, s9
	v_readlane_b32 s22, v213, 51
	s_mul_i32 s9, s9, s22
	s_sub_i32 s8, s8, s9
	s_sub_i32 s9, s8, s22
	s_cmp_ge_u32 s8, s22
	s_cselect_b32 s8, s9, s8
	s_sub_i32 s9, s8, s22
	s_cmp_ge_u32 s8, s22
	s_cselect_b32 s8, s9, s8
	s_xor_b32 s8, s8, s42
	v_readlane_b32 s28, v213, 17
	s_sub_i32 s8, s8, s42
	v_readlane_b32 s29, v213, 18
	s_ashr_i32 s9, s8, 31
	s_mul_i32 s22, s8, s29
	s_mul_hi_u32 s23, s8, s28
	s_add_i32 s22, s23, s22
	s_mul_i32 s9, s9, s28
	s_add_i32 s22, s22, s9
	s_mul_i32 s8, s8, s28
	s_add_u32 s8, s54, s8
	s_addc_u32 s9, s55, s22
.LBB24_18:                              ;   in Loop: Header=BB24_16 Depth=1
	v_readlane_b32 s22, v213, 7
	s_mul_i32 s22, s41, s22
	s_sub_i32 s22, s90, s22
	s_ashr_i32 s23, s22, 31
	v_readlane_b32 s25, v213, 47
	s_xor_b32 s23, s23, s25
	s_abs_i32 s25, s22
	v_readlane_b32 s28, v213, 48
	s_mul_hi_u32 s28, s25, s28
	s_mul_i32 s29, s28, s33
	s_sub_i32 s25, s25, s29
	s_add_i32 s29, s28, 1
	s_sub_i32 s30, s25, s33
	s_cmp_ge_u32 s25, s33
	s_cselect_b32 s28, s29, s28
	s_cselect_b32 s25, s30, s25
	s_add_i32 s29, s28, 1
	s_cmp_ge_u32 s25, s33
	s_cselect_b32 s25, s29, s28
	s_xor_b32 s25, s25, s23
	s_sub_i32 s43, s25, s23
	v_readlane_b32 s23, v213, 6
	s_mul_i32 s23, s43, s23
	s_sub_i32 s22, s22, s23
	s_ashr_i32 s23, s22, 31
	v_readlane_b32 s25, v213, 49
	s_xor_b32 s23, s23, s25
	s_abs_i32 s25, s22
	v_readlane_b32 s28, v213, 50
	s_mul_hi_u32 s28, s25, s28
	s_mul_i32 s29, s28, s24
	s_sub_i32 s25, s25, s29
	s_add_i32 s29, s28, 1
	s_sub_i32 s30, s25, s24
	s_cmp_ge_u32 s25, s24
	s_cselect_b32 s28, s29, s28
	s_cselect_b32 s25, s30, s25
	s_add_i32 s29, s28, 1
	s_cmp_ge_u32 s25, s24
	s_cselect_b32 s25, s29, s28
	s_xor_b32 s25, s25, s23
	s_sub_i32 s23, s25, s23
	v_readlane_b32 s25, v213, 2
	v_readlane_b32 s28, v213, 37
	s_mul_i32 s25, s43, s25
	v_readlane_b32 s29, v213, 38
	s_add_i32 s36, s25, s23
	s_andn2_b64 vcc, exec, s[28:29]
	v_mov_b32_e32 v48, 1.0
	s_cbranch_vccnz .LBB24_20
; %bb.19:                               ;   in Loop: Header=BB24_16 Depth=1
	v_readlane_b32 s29, v213, 14
	s_sub_i32 s28, s36, s29
	s_lshl_b32 s28, s28, 1
	s_add_i32 s25, s36, 1
	s_or_b32 s30, s28, 1
	s_cmp_lt_u32 s36, s29
	v_readlane_b32 s44, v213, 33
	s_cselect_b64 vcc, -1, 0
	v_readlane_b32 s46, v213, 35
	v_readlane_b32 s47, v213, 36
	s_and_b64 s[28:29], vcc, exec
	v_mov_b32_e32 v1, s47
	v_mov_b32_e32 v2, s46
	s_cselect_b32 s25, s25, s30
	v_cndmask_b32_e32 v18, v1, v2, vcc
	v_cvt_f32_i32_e32 v1, s25
	v_cmp_neq_f32_e32 vcc, 1.0, v18
	s_mov_b32 s25, 0x3f2aaaab
	s_mov_b32 s30, 0x7f800000
	v_cndmask_b32_e32 v19, 1.0, v1, vcc
	v_cmp_eq_f32_e32 vcc, 0, v19
	v_cndmask_b32_e64 v20, |v18|, 1.0, vcc
	v_frexp_mant_f32_e32 v1, v20
	v_cmp_gt_f32_e64 s[28:29], s25, v1
	v_cndmask_b32_e64 v2, 1.0, 2.0, s[28:29]
	v_mul_f32_e32 v1, v1, v2
	v_add_f32_e32 v2, 1.0, v1
	v_rcp_f32_e32 v10, v2
	v_add_f32_e32 v3, -1.0, v2
	v_sub_f32_e32 v5, v1, v3
	v_add_f32_e32 v3, -1.0, v1
	v_mul_f32_e32 v1, v3, v10
	v_mul_f32_e32 v4, v2, v1
	v_fma_f32 v6, v1, v2, -v4
	v_fmac_f32_e32 v6, v1, v5
	v_add_f32_e32 v2, v4, v6
	v_sub_f32_e32 v5, v3, v2
	v_pk_add_f32 v[8:9], v[2:3], v[4:5] neg_lo:[0,1] neg_hi:[0,1]
	v_mov_b32_e32 v7, v2
	v_pk_add_f32 v[2:3], v[8:9], v[6:7] neg_lo:[0,1] neg_hi:[0,1]
	v_add_f32_e32 v2, v2, v3
	v_add_f32_e32 v2, v5, v2
	v_mul_f32_e32 v3, v10, v2
	v_add_f32_e32 v2, v1, v3
	v_sub_f32_e32 v1, v2, v1
	v_sub_f32_e32 v1, v3, v1
	v_mul_f32_e32 v3, v2, v2
	v_fma_f32 v5, v2, v2, -v3
	v_add_f32_e32 v4, v1, v1
	v_fmac_f32_e32 v5, v2, v4
	v_add_f32_e32 v4, v3, v5
	v_mov_b32_e32 v6, 0x3e91f4c4
	v_fmac_f32_e32 v6, 0x3e76c4e1, v4
	v_fma_f32 v6, v4, v6, v177
	v_sub_f32_e32 v3, v4, v3
	v_sub_f32_e32 v12, v5, v3
	v_mul_f32_e32 v3, v4, v6
	v_fma_f32 v5, v4, v6, -v3
	v_fmac_f32_e32 v5, v12, v6
	v_add_f32_e32 v6, v3, v5
	v_add_f32_e32 v7, 0x3f2aaaaa, v6
	v_sub_f32_e32 v3, v6, v3
	v_sub_f32_e32 v3, v5, v3
	v_add_f32_e32 v5, 0xbf2aaaaa, v7
	v_add_f32_e32 v3, 0x31739010, v3
	v_sub_f32_e32 v5, v6, v5
	v_pk_mul_f32 v[8:9], v[2:3], v[4:5]
	v_fma_f32 v6, v4, v2, -v8
	v_pk_add_f32 v[10:11], v[2:3], v[4:5]
	v_fmac_f32_e32 v6, v4, v1
	v_mov_b32_e32 v9, v11
	v_fmac_f32_e32 v6, v12, v2
	v_pk_add_f32 v[4:5], v[8:9], v[6:7]
	v_sub_f32_e32 v3, v4, v8
	v_sub_f32_e32 v3, v6, v3
	;; [unrolled: 1-line block ×3, first 2 shown]
	v_add_f32_e32 v10, v11, v6
	v_mov_b32_e32 v6, v5
	v_pk_mul_f32 v[6:7], v[4:5], v[6:7]
	v_cvt_f64_f32_e32 v[8:9], v20
	v_frexp_exp_i32_f64_e32 v7, v[8:9]
	v_subbrev_co_u32_e64 v7, s[28:29], 0, v7, s[28:29]
	v_cvt_f32_i32_e32 v7, v7
	v_fma_f32 v8, v4, v5, -v6
	v_fmac_f32_e32 v8, v4, v10
	s_mov_b32 s25, 0x3f317218
	v_mul_f32_e32 v4, 0x3f317218, v7
	v_fmac_f32_e32 v8, v3, v5
	v_fma_f32 v10, v7, s25, -v4
	v_fmac_f32_e32 v10, 0xb102e308, v7
	v_ldexp_f32 v11, v2, 1
	v_add_f32_e32 v5, v6, v8
	v_pk_add_f32 v[2:3], v[4:5], v[10:11]
	v_mov_b32_e32 v12, v5
	v_mov_b32_e32 v13, v3
	;; [unrolled: 1-line block ×3, first 2 shown]
	v_pk_add_f32 v[6:7], v[12:13], v[6:7] neg_lo:[0,1] neg_hi:[0,1]
	v_mov_b32_e32 v9, v5
	v_ldexp_f32 v1, v1, 1
	v_pk_add_f32 v[6:7], v[8:9], v[6:7] neg_lo:[0,1] neg_hi:[0,1]
	v_add_f32_e32 v1, v1, v6
	v_add_f32_e32 v5, v1, v7
	v_pk_add_f32 v[6:7], v[2:3], v[4:5] neg_lo:[0,1] neg_hi:[0,1]
	v_pk_add_f32 v[8:9], v[2:3], v[4:5]
	v_mov_b32_e32 v12, v6
	v_mov_b32_e32 v13, v9
	v_mov_b32_e32 v11, v2
	v_pk_add_f32 v[12:13], v[10:11], v[12:13]
	v_mov_b32_e32 v4, v13
	v_pk_add_f32 v[14:15], v[4:5], v[2:3] neg_lo:[0,1] neg_hi:[0,1]
	v_mov_b32_e32 v1, v14
	v_mov_b32_e32 v12, v9
	;; [unrolled: 1-line block ×4, first 2 shown]
	v_pk_add_f32 v[6:7], v[10:11], v[6:7] neg_lo:[0,1] neg_hi:[0,1]
	v_pk_add_f32 v[16:17], v[8:9], v[0:1] neg_lo:[0,1] neg_hi:[0,1]
	v_pk_add_f32 v[2:3], v[12:13], v[2:3] neg_lo:[0,1] neg_hi:[0,1]
	v_mov_b32_e32 v10, v5
	v_pk_add_f32 v[2:3], v[10:11], v[2:3] neg_lo:[0,1] neg_hi:[0,1]
	v_mov_b32_e32 v16, v6
	v_pk_add_f32 v[8:9], v[16:17], v[2:3]
	v_mov_b32_e32 v10, v9
	v_pk_add_f32 v[10:11], v[8:9], v[10:11]
	v_pk_add_f32 v[4:5], v[4:5], v[10:11]
	v_mov_b32_e32 v7, v13
	v_mov_b32_e32 v9, v4
	v_pk_add_f32 v[12:13], v[8:9], v[6:7] neg_lo:[0,1] neg_hi:[0,1]
	v_mov_b32_e32 v3, v10
	v_sub_f32_e32 v1, v8, v12
	v_pk_add_f32 v[2:3], v[2:3], v[12:13] neg_lo:[0,1] neg_hi:[0,1]
	v_sub_f32_e32 v1, v6, v1
	v_add_f32_e32 v1, v2, v1
	v_add_f32_e32 v1, v1, v3
	;; [unrolled: 1-line block ×3, first 2 shown]
	v_sub_f32_e32 v3, v2, v4
	v_sub_f32_e32 v1, v1, v3
	v_mul_f32_e32 v3, v19, v2
	v_fma_f32 v2, v19, v2, -v3
	v_fmac_f32_e32 v2, v19, v1
	s_movk_i32 s25, 0x204
	v_add_f32_e32 v1, v3, v2
	v_cmp_class_f32_e64 s[28:29], v3, s25
	v_sub_f32_e32 v4, v1, v3
	v_cndmask_b32_e64 v1, v1, v3, s[28:29]
	v_cmp_eq_f32_e64 s[28:29], s93, v1
	v_cndmask_b32_e64 v3, 0, v178, s[28:29]
	v_sub_f32_e32 v2, v2, v4
	v_sub_f32_e32 v4, v1, v3
	v_mul_f32_e32 v5, 0x3fb8aa3b, v4
	v_fma_f32 v6, v4, s65, -v5
	v_rndne_f32_e32 v7, v5
	v_fmac_f32_e32 v6, 0x32a5705f, v4
	v_sub_f32_e32 v5, v5, v7
	v_add_f32_e32 v5, v5, v6
	v_exp_f32_e32 v5, v5
	v_cvt_i32_f32_e32 v6, v7
	v_cmp_neq_f32_e64 s[28:29], |v1|, s30
	v_cndmask_b32_e64 v1, 0, v2, s[28:29]
	v_cmp_ngt_f32_e64 s[28:29], s26, v4
	v_ldexp_f32 v2, v5, v6
	v_cndmask_b32_e64 v2, 0, v2, s[28:29]
	v_cmp_nlt_f32_e64 s[28:29], s93, v4
	v_add_f32_e32 v1, v3, v1
	v_cndmask_b32_e64 v2, v179, v2, s[28:29]
	v_fma_f32 v1, v2, v1, v2
	v_cmp_class_f32_e64 s[28:29], v2, s25
	v_trunc_f32_e32 v3, v19
	v_cndmask_b32_e64 v1, v1, v2, s[28:29]
	v_cndmask_b32_e64 v2, v18, 1.0, vcc
	v_cmp_eq_f32_e32 vcc, v3, v19
	v_mul_f32_e32 v3, 0.5, v19
	v_trunc_f32_e32 v4, v3
	v_cmp_neq_f32_e64 s[28:29], v4, v3
	s_and_b64 s[28:29], vcc, s[28:29]
	v_cndmask_b32_e64 v3, 1.0, v2, s[28:29]
	s_brev_b32 s25, -2
	v_bfi_b32 v1, s25, v1, v3
	v_cndmask_b32_e32 v3, v180, v1, vcc
	v_cmp_gt_f32_e32 vcc, 0, v2
	v_cndmask_b32_e32 v1, v1, v3, vcc
	v_cmp_eq_f32_e32 vcc, s30, v20
	v_cmp_eq_f32_e64 s[30:31], 0, v2
	v_cmp_gt_f32_e64 s[34:35], 0, v19
	s_xor_b64 s[34:35], s[34:35], s[30:31]
	v_cndmask_b32_e64 v3, v179, 0, s[34:35]
	v_cndmask_b32_e64 v4, 0, v2, s[28:29]
	v_bfi_b32 v3, s25, v3, v4
	s_or_b64 vcc, vcc, s[30:31]
	v_cndmask_b32_e32 v1, v1, v3, vcc
	v_cmp_o_f32_e32 vcc, v2, v2
	v_cndmask_b32_e32 v48, v180, v1, vcc
	v_readlane_b32 s45, v213, 34
.LBB24_20:                              ;   in Loop: Header=BB24_16 Depth=1
	v_readlane_b32 s25, v213, 3
	s_mul_i32 s23, s23, s25
	s_sub_i32 s22, s22, s23
	s_ashr_i32 s23, s22, 31
	v_readlane_b32 s25, v213, 26
	s_abs_i32 s22, s22
	s_xor_b32 s23, s23, s25
	s_mul_hi_u32 s25, s22, s37
	s_mul_i32 s28, s25, s97
	s_sub_i32 s22, s22, s28
	s_add_i32 s28, s25, 1
	s_sub_i32 s29, s22, s97
	s_cmp_ge_u32 s22, s97
	s_cselect_b32 s25, s28, s25
	s_cselect_b32 s22, s29, s22
	s_add_i32 s28, s25, 1
	s_cmp_ge_u32 s22, s97
	s_cselect_b32 s22, s28, s25
	v_readlane_b32 s28, v213, 39
	s_xor_b32 s22, s22, s23
	v_readlane_b32 s29, v213, 40
	s_andn2_b64 vcc, exec, s[28:29]
	s_sub_i32 s76, s22, s23
	s_cbranch_vccnz .LBB24_22
; %bb.21:                               ;   in Loop: Header=BB24_16 Depth=1
	v_readlane_b32 s22, v213, 0
	s_mul_i32 s22, s41, s22
	s_add_i32 s22, s76, s22
	s_ashr_i32 s23, s22, 31
	s_lshl_b64 s[22:23], s[22:23], 2
	s_add_u32 s22, s58, s22
	s_addc_u32 s23, s59, s23
	global_load_dword v1, v157, s[22:23]
	s_waitcnt vmcnt(0)
	v_readfirstlane_b32 s22, v1
	s_ashr_i32 s23, s22, 31
	s_lshr_b32 s23, s23, 26
	s_add_i32 s22, s22, s23
	s_ashr_i32 s22, s22, 6
	s_min_i32 s91, s91, s22
.LBB24_22:                              ;   in Loop: Header=BB24_16 Depth=1
	v_readlane_b32 s22, v213, 30
	s_mul_i32 s22, s22, s41
	s_add_i32 s22, s36, s22
	s_lshl_b32 s98, s22, 6
	s_lshl_b64 s[22:23], s[98:99], 3
	s_add_u32 s22, s60, s22
                                        ; implicit-def: $vgpr212 : SGPR spill to VGPR lane
	v_readlane_b32 s28, v213, 15
	v_writelane_b32 v212, s22, 0
	s_addc_u32 s22, s61, s23
	v_readlane_b32 s29, v213, 16
	v_writelane_b32 v212, s22, 1
	s_mul_i32 s22, s41, s29
	s_mul_hi_u32 s23, s41, s28
	s_add_i32 s22, s23, s22
	s_mul_i32 s23, s42, s28
	v_readlane_b32 s44, v213, 22
	s_add_i32 s98, s22, s23
	s_mul_i32 s22, s41, s28
	v_readlane_b32 s47, v213, 25
	s_add_u32 s25, s52, s22
	s_mul_i32 s23, s43, s47
	v_writelane_b32 v212, s22, 2
	s_addc_u32 s28, s53, s98
	s_ashr_i32 s22, s23, 31
	s_add_u32 s83, s25, s23
	s_addc_u32 s89, s28, s22
	s_ashr_i32 s37, s36, 31
	s_lshl_b64 s[28:29], s[36:37], 2
	s_add_u32 s25, s56, s28
	s_addc_u32 s30, s57, s29
	v_readlane_b32 s28, v213, 31
	v_readlane_b32 s29, v213, 32
	s_and_b64 s[28:29], s[28:29], exec
	s_cselect_b32 s87, 0, s30
	v_readlane_b32 s30, v213, 8
	v_readlane_b32 s31, v213, 9
	s_cselect_b32 s86, 0, s25
	s_mul_i32 s25, s41, s31
	s_ashr_i32 s28, s25, 31
	s_add_u32 s25, s48, s25
	s_mul_i32 s29, s36, s30
	s_addc_u32 s28, s49, s28
	s_ashr_i32 s30, s29, 31
	v_readlane_b32 s45, v213, 23
	s_add_u32 s82, s25, s29
	s_addc_u32 s25, s28, s30
	s_mul_i32 s28, s41, s45
	s_mul_hi_u32 s29, s41, s44
	s_add_i32 s28, s29, s28
	s_mul_i32 s42, s42, s44
	v_readlane_b32 s30, v213, 20
	s_add_i32 s68, s28, s42
	s_mul_i32 s28, s41, s44
	v_readlane_b32 s31, v213, 21
	s_mov_b32 s79, s28
	s_add_u32 s28, s50, s28
	s_mul_i32 s71, s43, s31
	s_addc_u32 s29, s51, s68
	s_ashr_i32 s69, s71, 31
	s_add_u32 s77, s28, s71
	s_addc_u32 s96, s29, s69
	s_cmp_lg_u32 s40, 0
	v_readlane_b32 s46, v213, 24
	s_cbranch_scc0 .LBB24_49
; %bb.23:                               ;   in Loop: Header=BB24_16 Depth=1
	s_lshl_b32 s78, s76, 4
	v_add_u32_e32 v1, s78, v69
	v_cmp_le_i32_e32 vcc, s64, v1
	s_and_saveexec_b64 s[28:29], vcc
	s_xor_b64 s[28:29], exec, s[28:29]
	s_cbranch_execz .LBB24_25
; %bb.24:                               ;   in Loop: Header=BB24_16 Depth=1
	ds_write_b32 v107, v157
.LBB24_25:                              ;   in Loop: Header=BB24_16 Depth=1
	s_andn2_saveexec_b64 s[28:29], s[28:29]
	s_cbranch_execz .LBB24_27
; %bb.26:                               ;   in Loop: Header=BB24_16 Depth=1
	v_readlane_b32 s30, v213, 19
	v_mad_u64_u32 v[2:3], s[30:31], v1, s30, v[22:23]
	v_ashrrev_i32_e32 v3, 31, v2
	v_lshlrev_b64 v[2:3], 3, v[2:3]
	v_mov_b32_e32 v4, s25
	v_add_co_u32_e32 v2, vcc, s82, v2
	v_addc_co_u32_e32 v3, vcc, v4, v3, vcc
	global_load_dwordx2 v[2:3], v[2:3], off
	s_waitcnt vmcnt(0)
	v_cvt_f16_f32_e32 v2, v2
	v_cvt_f16_f32_e32 v3, v3
	v_pack_b32_f16 v2, v2, v3
	v_pk_mul_f16 v2, v75, v2
	ds_write_b32 v107, v2
.LBB24_27:                              ;   in Loop: Header=BB24_16 Depth=1
	s_or_b64 exec, exec, s[28:29]
	v_add_u32_e32 v23, s78, v78
	v_cmp_le_i32_e32 vcc, s64, v23
	s_and_saveexec_b64 s[28:29], vcc
	s_xor_b64 s[28:29], exec, s[28:29]
	s_cbranch_execz .LBB24_29
; %bb.28:                               ;   in Loop: Header=BB24_16 Depth=1
	ds_write_b32 v107, v157 offset:1088
.LBB24_29:                              ;   in Loop: Header=BB24_16 Depth=1
	s_andn2_saveexec_b64 s[28:29], s[28:29]
	s_cbranch_execz .LBB24_31
; %bb.30:                               ;   in Loop: Header=BB24_16 Depth=1
	v_readlane_b32 s30, v213, 19
	v_mad_u64_u32 v[2:3], s[30:31], v23, s30, v[22:23]
	v_ashrrev_i32_e32 v3, 31, v2
	v_lshlrev_b64 v[2:3], 3, v[2:3]
	v_mov_b32_e32 v4, s25
	v_add_co_u32_e32 v2, vcc, s82, v2
	v_addc_co_u32_e32 v3, vcc, v4, v3, vcc
	global_load_dwordx2 v[2:3], v[2:3], off
	s_waitcnt vmcnt(0)
	v_cvt_f16_f32_e32 v2, v2
	v_cvt_f16_f32_e32 v3, v3
	v_pack_b32_f16 v2, v2, v3
	v_pk_mul_f16 v2, v75, v2
	ds_write_b32 v107, v2 offset:1088
.LBB24_31:                              ;   in Loop: Header=BB24_16 Depth=1
	s_or_b64 exec, exec, s[28:29]
	v_add_u32_e32 v27, s78, v77
	v_cmp_le_i32_e32 vcc, s64, v27
	s_and_saveexec_b64 s[28:29], vcc
	s_xor_b64 s[28:29], exec, s[28:29]
	s_cbranch_execz .LBB24_33
; %bb.32:                               ;   in Loop: Header=BB24_16 Depth=1
	ds_write_b32 v107, v157 offset:2176
.LBB24_33:                              ;   in Loop: Header=BB24_16 Depth=1
	s_andn2_saveexec_b64 s[28:29], s[28:29]
	s_cbranch_execz .LBB24_35
; %bb.34:                               ;   in Loop: Header=BB24_16 Depth=1
	v_readlane_b32 s30, v213, 19
	v_mad_u64_u32 v[2:3], s[30:31], v27, s30, v[22:23]
	v_ashrrev_i32_e32 v3, 31, v2
	v_lshlrev_b64 v[2:3], 3, v[2:3]
	v_mov_b32_e32 v4, s25
	v_add_co_u32_e32 v2, vcc, s82, v2
	v_addc_co_u32_e32 v3, vcc, v4, v3, vcc
	global_load_dwordx2 v[2:3], v[2:3], off
	s_waitcnt vmcnt(0)
	v_cvt_f16_f32_e32 v2, v2
	v_cvt_f16_f32_e32 v3, v3
	v_pack_b32_f16 v2, v2, v3
	v_pk_mul_f16 v2, v75, v2
	ds_write_b32 v107, v2 offset:2176
.LBB24_35:                              ;   in Loop: Header=BB24_16 Depth=1
	;; [unrolled: 27-line block ×3, first 2 shown]
	s_or_b64 exec, exec, s[28:29]
	s_waitcnt lgkmcnt(0)
	s_barrier
	ds_read2_b64 v[14:17], v79 offset1:4
	ds_read2_b64 v[10:13], v79 offset0:8 offset1:12
	ds_read2_b64 v[6:9], v79 offset0:16 offset1:20
	;; [unrolled: 1-line block ×3, first 2 shown]
	s_add_i32 s41, s91, -1
	s_cmp_le_i32 s41, s40
	v_mov_b32_e32 v64, 0
	s_waitcnt lgkmcnt(0)
	s_barrier
	s_cbranch_scc1 .LBB24_50
; %bb.40:                               ;   in Loop: Header=BB24_16 Depth=1
	v_readlane_b32 s34, v213, 10
	v_mul_hi_u32 v47, s34, v27
	v_readlane_b32 s35, v213, 11
	v_add_u32_e32 v47, v27, v47
	v_lshrrev_b32_e32 v47, s35, v47
	v_readlane_b32 s28, v213, 59
	v_mul_lo_u32 v47, v47, s64
	v_readlane_b32 s29, v213, 60
	s_mov_b32 s36, s28
	v_sub_u32_e32 v47, v27, v47
	v_mad_i64_i32 v[56:57], s[28:29], v47, s36, 0
	v_mul_hi_u32 v47, s34, v25
	v_add_u32_e32 v47, v25, v47
	v_lshrrev_b32_e32 v47, s35, v47
	v_mul_lo_u32 v47, v47, s64
	v_lshlrev_b32_e32 v18, 1, v22
	v_sub_u32_e32 v47, v25, v47
	v_mov_b32_e32 v19, s9
	v_add_co_u32_e32 v60, vcc, s8, v18
	v_mad_i64_i32 v[58:59], s[28:29], v47, s36, 0
	v_and_b32_e32 v47, 64, v156
	v_addc_co_u32_e32 v61, vcc, 0, v19, vcc
	v_mul_hi_u32 v18, s34, v1
	v_mul_hi_u32 v20, s34, v23
	v_add_u32_e32 v47, 64, v47
	v_xor_b32_e32 v49, 32, v156
	v_add_u32_e32 v18, v1, v18
	v_add_u32_e32 v20, v23, v20
	v_cmp_lt_i32_e32 vcc, v49, v47
	v_lshrrev_b32_e32 v18, s35, v18
	v_lshrrev_b32_e32 v20, s35, v20
	v_cndmask_b32_e32 v49, v156, v49, vcc
	v_mul_lo_u32 v18, v18, s64
	v_mul_lo_u32 v20, v20, s64
	v_lshlrev_b32_e32 v62, 2, v49
	v_xor_b32_e32 v49, 16, v156
	v_sub_u32_e32 v18, v1, v18
	v_sub_u32_e32 v20, v23, v20
	v_cmp_lt_i32_e32 vcc, v49, v47
	s_cmp_lg_u64 s[8:9], 0
	v_mad_i64_i32 v[18:19], s[28:29], v18, s36, 0
	v_mad_i64_i32 v[20:21], s[28:29], v20, s36, 0
	v_cndmask_b32_e32 v47, v156, v49, vcc
	s_cselect_b64 s[30:31], -1, 0
	v_mov_b32_e32 v186, 0
	v_lshlrev_b32_e32 v63, 2, v47
	v_mov_b32_e32 v50, v48
	v_mov_b32_e32 v51, v48
	s_lshl_b32 s34, s40, 6
	v_mov_b32_e32 v191, 0
	v_mov_b32_e32 v192, 0xfeffffff
	v_lshlrev_b64 v[52:53], 1, v[18:19]
	v_lshlrev_b64 v[54:55], 1, v[20:21]
	;; [unrolled: 1-line block ×4, first 2 shown]
	v_mov_b32_e32 v189, 0
	v_mov_b32_e32 v188, 0
	;; [unrolled: 1-line block ×15, first 2 shown]
.LBB24_41:                              ;   Parent Loop BB24_16 Depth=1
                                        ; =>  This Inner Loop Header: Depth=2
	v_cndmask_b32_e64 v18, 0, 1, s[30:31]
	v_cmp_ne_u32_e64 s[28:29], 1, v18
	s_andn2_b64 vcc, exec, s[30:31]
	s_ashr_i32 s35, s34, 31
	s_cbranch_vccnz .LBB24_45
; %bb.42:                               ;   in Loop: Header=BB24_41 Depth=2
	v_mov_b32_e32 v18, 0
	v_mov_b32_e32 v19, 0
	;; [unrolled: 1-line block ×4, first 2 shown]
	s_and_saveexec_b64 s[36:37], s[4:5]
	s_cbranch_execz .LBB24_44
; %bb.43:                               ;   in Loop: Header=BB24_41 Depth=2
	s_lshl_b64 s[42:43], s[34:35], 1
	v_add_co_u32_e32 v47, vcc, s42, v60
	v_mov_b32_e32 v18, s43
	v_addc_co_u32_e32 v49, vcc, v61, v18, vcc
	v_add_co_u32_e32 v18, vcc, v47, v52
	v_addc_co_u32_e32 v19, vcc, v49, v53, vcc
	v_add_co_u32_e32 v20, vcc, v47, v54
	v_addc_co_u32_e32 v21, vcc, v49, v55, vcc
	flat_load_ushort v18, v[18:19]
	s_nop 0
	flat_load_ushort v19, v[20:21]
	v_add_co_u32_e32 v20, vcc, v47, v56
	v_addc_co_u32_e32 v21, vcc, v49, v57, vcc
	v_add_co_u32_e32 v194, vcc, v47, v58
	v_addc_co_u32_e32 v195, vcc, v49, v59, vcc
	flat_load_ushort v20, v[20:21]
	s_nop 0
	flat_load_ushort v21, v[194:195]
.LBB24_44:                              ;   in Loop: Header=BB24_41 Depth=2
	s_or_b64 exec, exec, s[36:37]
	s_waitcnt vmcnt(0) lgkmcnt(0)
	ds_write_b16 v80, v18 offset:17408
	ds_write_b16 v158, v19 offset:17408
	;; [unrolled: 1-line block ×4, first 2 shown]
.LBB24_45:                              ;   in Loop: Header=BB24_41 Depth=2
	s_mul_hi_i32 s37, s34, s80
	s_mul_i32 s36, s34, s80
	s_lshl_b64 s[36:37], s[36:37], 2
	s_add_u32 s35, s77, s36
	s_addc_u32 s36, s96, s37
	v_mov_b32_e32 v18, s36
	v_add_co_u32_e32 v19, vcc, s35, v38
	v_addc_co_u32_e32 v18, vcc, v18, v39, vcc
	v_lshlrev_b32_e32 v190, 2, v26
	v_add_co_u32_e32 v20, vcc, v19, v190
	v_addc_co_u32_e32 v18, vcc, 0, v18, vcc
	v_mov_b32_e32 v47, s75
	v_mov_b32_e32 v49, s74
	buffer_store_dword v157, off, s[0:3], 0
	buffer_store_dword v157, off, s[0:3], 0 offset:4
	buffer_store_dword v157, off, s[0:3], 0 offset:8
	;; [unrolled: 1-line block ×3, first 2 shown]
	v_cndmask_b32_e64 v19, v47, v18, s[6:7]
	v_cndmask_b32_e64 v18, v49, v20, s[6:7]
	flat_load_dwordx4 v[18:21], v[18:19]
	v_mov_b32_e32 v193, s36
	v_add_co_u32_e32 v194, vcc, s35, v40
	v_addc_co_u32_e32 v193, vcc, v193, v41, vcc
	v_add_co_u32_e32 v194, vcc, v194, v190
	v_addc_co_u32_e32 v193, vcc, 0, v193, vcc
	v_cndmask_b32_e64 v194, v49, v194, s[38:39]
	v_cndmask_b32_e64 v195, v47, v193, s[38:39]
	v_mov_b32_e32 v193, s36
	s_waitcnt vmcnt(0) lgkmcnt(0)
	ds_write_b128 v82, v[18:21]
	flat_load_dwordx4 v[18:21], v[194:195]
	v_add_co_u32_e32 v194, vcc, s35, v42
	v_addc_co_u32_e32 v193, vcc, v193, v43, vcc
	v_add_co_u32_e32 v194, vcc, v194, v190
	v_addc_co_u32_e32 v193, vcc, 0, v193, vcc
	v_cndmask_b32_e64 v194, v49, v194, s[10:11]
	v_cndmask_b32_e64 v195, v47, v193, s[10:11]
	v_mov_b32_e32 v193, s36
	s_waitcnt vmcnt(0) lgkmcnt(0)
	ds_write_b128 v162, v[18:21]
	flat_load_dwordx4 v[18:21], v[194:195]
	v_add_co_u32_e32 v194, vcc, s35, v44
	v_addc_co_u32_e32 v193, vcc, v193, v45, vcc
	v_add_co_u32_e32 v194, vcc, v194, v190
	v_addc_co_u32_e32 v193, vcc, 0, v193, vcc
	v_cndmask_b32_e64 v194, v49, v194, s[12:13]
	v_cndmask_b32_e64 v195, v47, v193, s[12:13]
	s_and_b64 vcc, exec, s[28:29]
	s_waitcnt vmcnt(0) lgkmcnt(0)
	ds_write_b128 v164, v[18:21]
	flat_load_dwordx4 v[18:21], v[194:195]
	s_waitcnt vmcnt(0) lgkmcnt(0)
	ds_write_b128 v166, v[18:21]
	s_waitcnt lgkmcnt(0)
	s_barrier
	ds_read2_b64 v[18:21], v83 offset1:4
	s_waitcnt lgkmcnt(0)
	v_mfma_f32_16x16x16f16 v[194:197], v[18:19], v[14:15], 0
	v_mfma_f32_16x16x16f16 v[18:21], v[20:21], v[16:17], v[194:197]
	s_nop 7
	s_nop 1
	ds_read2_b64 v[194:197], v83 offset0:8 offset1:12
	s_waitcnt lgkmcnt(0)
	v_mfma_f32_16x16x16f16 v[18:21], v[194:195], v[10:11], v[18:21]
	v_mfma_f32_16x16x16f16 v[18:21], v[196:197], v[12:13], v[18:21]
	ds_read2_b64 v[194:197], v83 offset0:16 offset1:20
	s_waitcnt lgkmcnt(0)
	v_mfma_f32_16x16x16f16 v[18:21], v[194:195], v[6:7], v[18:21]
	v_mfma_f32_16x16x16f16 v[18:21], v[196:197], v[8:9], v[18:21]
	ds_read2_b64 v[194:197], v83 offset0:24 offset1:28
	s_waitcnt lgkmcnt(0)
	s_barrier
	v_mfma_f32_16x16x16f16 v[18:21], v[194:195], v[2:3], v[18:21]
	v_mfma_f32_16x16x16f16 v[18:21], v[196:197], v[4:5], v[18:21]
	s_cbranch_vccnz .LBB24_47
; %bb.46:                               ;   in Loop: Header=BB24_41 Depth=2
	v_add_u32_e32 v47, 0x4400, v85
	ds_read2_b32 v[194:195], v47 offset1:1
	v_mov_b32_e32 v49, v48
	s_waitcnt lgkmcnt(0)
	v_cvt_f32_f16_e32 v196, v194
	v_cvt_f32_f16_e32 v198, v195
	v_cvt_f32_f16_sdwa v199, v195 dst_sel:DWORD dst_unused:UNUSED_PAD src0_sel:WORD_1
	v_cvt_f32_f16_sdwa v197, v194 dst_sel:DWORD dst_unused:UNUSED_PAD src0_sel:WORD_1
	s_nop 1
	v_pk_fma_f32 v[20:21], v[48:49], v[198:199], v[20:21]
	v_pk_fma_f32 v[18:19], v[50:51], v[196:197], v[18:19]
.LBB24_47:                              ;   in Loop: Header=BB24_41 Depth=2
	v_add_f32_e32 v47, 0x40051340, v18
	v_max_f32_e32 v49, v192, v192
	v_max_f32_e32 v47, v49, v47
	v_cndmask_b32_e64 v47, v192, v47, s[14:15]
	v_add_f32_e32 v49, 0x40051340, v19
	v_max_f32_e32 v193, v47, v47
	v_max_f32_e32 v49, v193, v49
	v_cndmask_b32_e64 v47, v47, v49, s[16:17]
	s_nop 1
	v_add_f32_e32 v49, 0x40051340, v20
	v_max_f32_e32 v193, v47, v47
	v_max_f32_e32 v49, v193, v49
	v_cndmask_b32_e64 v47, v47, v49, s[18:19]
	v_add_f32_e32 v49, 0x40051340, v21
	v_max_f32_e32 v193, v47, v47
	v_max_f32_e32 v49, v193, v49
	v_cndmask_b32_e64 v47, v47, v49, s[20:21]
	ds_bpermute_b32 v49, v62, v47
	v_max_f32_e32 v47, v47, v47
	v_cndmask_b32_e64 v20, v20, v20, s[16:17]
	v_cndmask_b32_e64 v21, v21, v21, s[16:17]
	s_mul_hi_i32 s29, s34, s66
	s_waitcnt lgkmcnt(0)
	v_max_f32_e32 v49, v49, v49
	v_max_f32_e32 v47, v47, v49
	ds_bpermute_b32 v49, v63, v47
	s_mul_i32 s28, s34, s66
	s_lshl_b64 s[28:29], s[28:29], 2
	s_add_u32 s28, s83, s28
	s_addc_u32 s29, s89, s29
	s_waitcnt lgkmcnt(0)
	v_max_f32_e32 v49, v49, v49
	v_max_f32_e32 v47, v47, v49
	v_sub_f32_e32 v18, v18, v47
	v_mul_f32_e32 v49, 0x3fb8aa3b, v18
	v_fma_f32 v193, v18, s65, -v49
	v_rndne_f32_e32 v194, v49
	v_fmac_f32_e32 v193, 0x32a5705f, v18
	v_sub_f32_e32 v49, v49, v194
	v_add_f32_e32 v49, v49, v193
	v_exp_f32_e32 v49, v49
	v_cvt_i32_f32_e32 v193, v194
	v_cmp_ngt_f32_e32 vcc, s26, v18
	v_sub_f32_e32 v19, v19, v47
	v_sub_f32_e32 v20, v20, v47
	v_ldexp_f32 v49, v49, v193
	v_cndmask_b32_e32 v49, 0, v49, vcc
	v_cmp_nlt_f32_e32 vcc, s93, v18
	v_cndmask_b32_e32 v18, v179, v49, vcc
	v_mul_f32_e32 v49, 0x3fb8aa3b, v19
	v_fma_f32 v193, v19, s65, -v49
	v_rndne_f32_e32 v194, v49
	v_fmac_f32_e32 v193, 0x32a5705f, v19
	v_sub_f32_e32 v49, v49, v194
	v_add_f32_e32 v49, v49, v193
	v_exp_f32_e32 v49, v49
	v_cvt_i32_f32_e32 v193, v194
	v_cmp_ngt_f32_e32 vcc, s26, v19
	v_cndmask_b32_e64 v18, 0, v18, s[14:15]
	buffer_store_dword v157, off, s[0:3], 0
	buffer_store_dword v157, off, s[0:3], 0 offset:4
	buffer_store_dword v157, off, s[0:3], 0 offset:8
	;; [unrolled: 1-line block ×3, first 2 shown]
	v_ldexp_f32 v49, v49, v193
	v_cndmask_b32_e32 v49, 0, v49, vcc
	v_cmp_nlt_f32_e32 vcc, s93, v19
	v_cndmask_b32_e32 v49, v179, v49, vcc
	v_mov_b32_e32 v19, s99
	v_add_f32_e32 v193, v49, v18
	v_cndmask_b32_e64 v194, v19, v49, s[16:17]
	v_mul_f32_e32 v49, 0x3fb8aa3b, v20
	v_cndmask_b32_e64 v19, v18, v193, s[16:17]
	v_fma_f32 v193, v20, s65, -v49
	v_rndne_f32_e32 v195, v49
	v_fmac_f32_e32 v193, 0x32a5705f, v20
	v_sub_f32_e32 v49, v49, v195
	v_add_f32_e32 v49, v49, v193
	v_exp_f32_e32 v49, v49
	v_cvt_i32_f32_e32 v193, v195
	v_cmp_ngt_f32_e32 vcc, s26, v20
	v_cvt_f16_f32_e32 v18, v18
	s_add_i32 s40, s40, 1
	v_ldexp_f32 v49, v49, v193
	v_cndmask_b32_e32 v49, 0, v49, vcc
	v_cmp_nlt_f32_e32 vcc, s93, v20
	v_cndmask_b32_e32 v49, v179, v49, vcc
	v_add_f32_e32 v193, v19, v49
	v_mov_b32_e32 v20, s99
	v_cndmask_b32_e64 v195, v20, v49, s[18:19]
	v_cndmask_b32_e64 v20, v19, v193, s[18:19]
	v_sub_f32_e32 v19, v21, v47
	v_mul_f32_e32 v21, 0x3fb8aa3b, v19
	v_fma_f32 v49, v19, s65, -v21
	v_rndne_f32_e32 v193, v21
	v_fmac_f32_e32 v49, 0x32a5705f, v19
	v_sub_f32_e32 v21, v21, v193
	v_add_f32_e32 v21, v21, v49
	v_exp_f32_e32 v21, v21
	v_cvt_i32_f32_e32 v49, v193
	v_cmp_ngt_f32_e32 vcc, s26, v19
	s_add_i32 s34, s34, 64
	s_cmp_lt_i32 s40, s41
	v_ldexp_f32 v21, v21, v49
	v_cndmask_b32_e32 v21, 0, v21, vcc
	v_cmp_nlt_f32_e32 vcc, s93, v19
	v_cndmask_b32_e32 v21, v179, v21, vcc
	v_mov_b32_e32 v19, s99
	v_add_f32_e32 v49, v20, v21
	v_cndmask_b32_e64 v19, v19, v21, s[20:21]
	v_sub_f32_e32 v21, v192, v47
	v_cndmask_b32_e64 v20, v20, v49, s[20:21]
	v_mul_f32_e32 v49, 0x3fb8aa3b, v21
	v_fma_f32 v192, v21, s65, -v49
	v_rndne_f32_e32 v193, v49
	v_fmac_f32_e32 v192, 0x32a5705f, v21
	v_sub_f32_e32 v49, v49, v193
	v_add_f32_e32 v49, v49, v192
	v_exp_f32_e32 v49, v49
	v_cvt_i32_f32_e32 v192, v193
	v_cmp_ngt_f32_e32 vcc, s26, v21
	v_cvt_f16_f32_e32 v19, v19
	v_ldexp_f32 v49, v49, v192
	v_cndmask_b32_e32 v49, 0, v49, vcc
	v_cmp_nlt_f32_e32 vcc, s93, v21
	v_cndmask_b32_e32 v49, v179, v49, vcc
	v_cmp_le_f32_e32 vcc, s27, v21
	v_cndmask_b32_e32 v21, 0, v49, vcc
	v_fmac_f32_e32 v20, v191, v21
	v_cvt_f16_f32_e32 v21, v21
	v_mov_b32_e32 v191, s75
	v_pk_mul_f16 v49, v21, v186 op_sel_hi:[0,1]
	v_cvt_f16_f32_e32 v186, v194
	v_pk_mul_f16 v65, v21, v65 op_sel_hi:[0,1]
	v_pk_mul_f16 v64, v21, v64 op_sel_hi:[0,1]
	;; [unrolled: 1-line block ×3, first 2 shown]
	v_pack_b32_f16 v18, v18, v186
	v_cvt_f16_f32_e32 v186, v195
	v_pk_mul_f16 v66, v21, v66 op_sel_hi:[0,1]
	v_pk_mul_f16 v72, v21, v72 op_sel_hi:[0,1]
	;; [unrolled: 1-line block ×12, first 2 shown]
	v_pack_b32_f16 v19, v186, v19
	v_add_co_u32_e32 v186, vcc, s28, v30
	v_mov_b32_e32 v189, s29
	v_addc_co_u32_e32 v189, vcc, v189, v31, vcc
	v_add_co_u32_e32 v186, vcc, v186, v190
	v_addc_co_u32_e32 v189, vcc, 0, v189, vcc
	v_cndmask_b32_e64 v193, v191, v189, s[6:7]
	v_mov_b32_e32 v189, s74
	v_cndmask_b32_e64 v192, v189, v186, s[6:7]
	flat_load_dwordx4 v[192:195], v[192:193]
	v_add_co_u32_e32 v186, vcc, s28, v32
	s_waitcnt vmcnt(0) lgkmcnt(0)
	ds_write_b128 v82, v[192:195]
	v_mov_b32_e32 v192, s29
	v_addc_co_u32_e32 v192, vcc, v192, v33, vcc
	v_add_co_u32_e32 v186, vcc, v186, v190
	v_addc_co_u32_e32 v192, vcc, 0, v192, vcc
	v_cndmask_b32_e64 v193, v191, v192, s[38:39]
	v_cndmask_b32_e64 v192, v189, v186, s[38:39]
	flat_load_dwordx4 v[192:195], v[192:193]
	v_add_co_u32_e32 v186, vcc, s28, v34
	s_waitcnt vmcnt(0) lgkmcnt(0)
	ds_write_b128 v162, v[192:195]
	v_mov_b32_e32 v192, s29
	v_addc_co_u32_e32 v192, vcc, v192, v35, vcc
	v_add_co_u32_e32 v186, vcc, v186, v190
	v_addc_co_u32_e32 v192, vcc, 0, v192, vcc
	v_cndmask_b32_e64 v193, v191, v192, s[10:11]
	;; [unrolled: 10-line block ×3, first 2 shown]
	v_cndmask_b32_e64 v190, v189, v186, s[12:13]
	flat_load_dwordx4 v[190:193], v[190:191]
	s_waitcnt vmcnt(0) lgkmcnt(0)
	ds_write_b128 v166, v[190:193]
	s_waitcnt lgkmcnt(0)
	s_barrier
	ds_read_u16 v186, v87 offset:272
	ds_read_u16 v189, v87 offset:544
	v_cvt_f32_f16_e32 v192, v64
	v_cvt_f32_f16_sdwa v193, v64 dst_sel:DWORD dst_unused:UNUSED_PAD src0_sel:WORD_1
	ds_read_u16 v64, v88
	ds_read_u16 v194, v88 offset:32
	v_cvt_f32_f16_e32 v190, v65
	v_cvt_f32_f16_sdwa v191, v65 dst_sel:DWORD dst_unused:UNUSED_PAD src0_sel:WORD_1
	s_waitcnt lgkmcnt(1)
	v_perm_b32 v65, v64, v189, s88
	ds_read_u16 v64, v86
	ds_read_u16 v189, v86 offset:32
	s_waitcnt lgkmcnt(1)
	v_perm_b32 v64, v186, v64, s88
	s_nop 1
	v_mfma_f32_16x16x16f16 v[190:193], v[64:65], v[18:19], v[190:193]
	s_nop 7
	s_nop 2
	v_cvt_f16_f32_e32 v64, v190
	v_cvt_f16_f32_e32 v65, v191
	;; [unrolled: 1-line block ×4, first 2 shown]
	v_cvt_f32_f16_sdwa v191, v68 dst_sel:DWORD dst_unused:UNUSED_PAD src0_sel:WORD_1
	v_pack_b32_f16 v65, v64, v65
	v_cvt_f32_f16_e32 v192, v66
	v_pack_b32_f16 v64, v186, v190
	ds_read_u16 v186, v167 offset:272
	ds_read_u16 v195, v167 offset:544
	v_cvt_f32_f16_e32 v190, v68
	v_cvt_f32_f16_sdwa v193, v66 dst_sel:DWORD dst_unused:UNUSED_PAD src0_sel:WORD_1
	s_waitcnt lgkmcnt(0)
	v_perm_b32 v195, v194, v195, s88
	v_perm_b32 v194, v186, v189, s88
	s_nop 1
	v_mfma_f32_16x16x16f16 v[190:193], v[194:195], v[18:19], v[190:193]
	s_nop 7
	s_nop 2
	v_cvt_f16_f32_e32 v66, v190
	v_cvt_f16_f32_e32 v68, v191
	v_cvt_f16_f32_e32 v186, v192
	v_cvt_f16_f32_e32 v189, v193
	v_cvt_f32_f16_e32 v190, v72
	v_pack_b32_f16 v68, v66, v68
	v_cvt_f32_f16_sdwa v191, v72 dst_sel:DWORD dst_unused:UNUSED_PAD src0_sel:WORD_1
	v_pack_b32_f16 v66, v186, v189
	ds_read_u16 v186, v86 offset:64
	ds_read_u16 v189, v168 offset:272
	ds_read_u16 v194, v168 offset:544
	ds_read_u16 v195, v88 offset:64
	v_cvt_f32_f16_e32 v192, v70
	v_cvt_f32_f16_sdwa v193, v70 dst_sel:DWORD dst_unused:UNUSED_PAD src0_sel:WORD_1
	s_waitcnt lgkmcnt(0)
	v_perm_b32 v195, v195, v194, s88
	v_perm_b32 v194, v189, v186, s88
	s_nop 1
	v_mfma_f32_16x16x16f16 v[190:193], v[194:195], v[18:19], v[190:193]
	s_nop 7
	s_nop 2
	v_cvt_f16_f32_e32 v70, v190
	v_cvt_f16_f32_e32 v72, v191
	v_cvt_f16_f32_e32 v186, v192
	v_cvt_f16_f32_e32 v189, v193
	v_cvt_f32_f16_e32 v190, v181
	v_pack_b32_f16 v72, v70, v72
	v_cvt_f32_f16_sdwa v191, v181 dst_sel:DWORD dst_unused:UNUSED_PAD src0_sel:WORD_1
	v_pack_b32_f16 v70, v186, v189
	ds_read_u16 v186, v86 offset:96
	ds_read_u16 v189, v169 offset:272
	;; [unrolled: 21-line block ×3, first 2 shown]
	ds_read_u16 v194, v170 offset:544
	ds_read_u16 v195, v88 offset:128
	v_cvt_f32_f16_e32 v192, v182
	v_cvt_f32_f16_sdwa v193, v182 dst_sel:DWORD dst_unused:UNUSED_PAD src0_sel:WORD_1
	s_waitcnt lgkmcnt(2)
	v_perm_b32 v182, v189, v186, s88
	s_waitcnt lgkmcnt(0)
	v_perm_b32 v183, v195, v194, s88
	s_nop 1
	v_mfma_f32_16x16x16f16 v[190:193], v[182:183], v[18:19], v[190:193]
	s_nop 7
	s_nop 2
	v_cvt_f16_f32_e32 v182, v190
	v_cvt_f16_f32_e32 v183, v191
	;; [unrolled: 1-line block ×4, first 2 shown]
	v_cvt_f32_f16_e32 v190, v185
	v_pack_b32_f16 v183, v182, v183
	v_cvt_f32_f16_sdwa v191, v185 dst_sel:DWORD dst_unused:UNUSED_PAD src0_sel:WORD_1
	v_pack_b32_f16 v182, v186, v189
	ds_read_u16 v186, v86 offset:160
	ds_read_u16 v189, v171 offset:272
	;; [unrolled: 1-line block ×4, first 2 shown]
	v_cvt_f32_f16_e32 v192, v184
	v_cvt_f32_f16_sdwa v193, v184 dst_sel:DWORD dst_unused:UNUSED_PAD src0_sel:WORD_1
	s_waitcnt lgkmcnt(2)
	v_perm_b32 v184, v189, v186, s88
	s_waitcnt lgkmcnt(0)
	v_perm_b32 v185, v195, v194, s88
	s_nop 1
	v_mfma_f32_16x16x16f16 v[190:193], v[184:185], v[18:19], v[190:193]
	s_nop 7
	s_nop 2
	v_cvt_f16_f32_e32 v184, v190
	v_cvt_f16_f32_e32 v185, v191
	;; [unrolled: 1-line block ×4, first 2 shown]
	v_cvt_f32_f16_e32 v192, v187
	v_pack_b32_f16 v185, v184, v185
	v_cvt_f32_f16_sdwa v193, v187 dst_sel:DWORD dst_unused:UNUSED_PAD src0_sel:WORD_1
	v_pack_b32_f16 v184, v186, v189
	ds_read_u16 v186, v86 offset:192
	ds_read_u16 v189, v172 offset:272
	;; [unrolled: 1-line block ×4, first 2 shown]
	v_cvt_f32_f16_e32 v190, v188
	v_cvt_f32_f16_sdwa v191, v188 dst_sel:DWORD dst_unused:UNUSED_PAD src0_sel:WORD_1
	s_waitcnt lgkmcnt(2)
	v_perm_b32 v186, v189, v186, s88
	s_waitcnt lgkmcnt(0)
	v_perm_b32 v187, v195, v194, s88
	s_nop 1
	v_mfma_f32_16x16x16f16 v[186:189], v[186:187], v[18:19], v[190:193]
	s_nop 6
	v_cvt_f32_f16_sdwa v191, v49 dst_sel:DWORD dst_unused:UNUSED_PAD src0_sel:WORD_1
	v_cvt_f32_f16_e32 v192, v21
	v_cvt_f32_f16_sdwa v193, v21 dst_sel:DWORD dst_unused:UNUSED_PAD src0_sel:WORD_1
	s_nop 0
	v_cvt_f16_f32_e32 v186, v186
	v_cvt_f16_f32_e32 v187, v187
	;; [unrolled: 1-line block ×4, first 2 shown]
	v_pack_b32_f16 v188, v186, v187
	v_pack_b32_f16 v187, v190, v189
	ds_read_u16 v186, v86 offset:224
	ds_read_u16 v189, v173 offset:272
	;; [unrolled: 1-line block ×4, first 2 shown]
	v_cvt_f32_f16_e32 v190, v49
	s_waitcnt lgkmcnt(0)
	s_barrier
	v_perm_b32 v195, v195, v194, s88
	v_perm_b32 v194, v189, v186, s88
	s_nop 1
	v_mfma_f32_16x16x16f16 v[190:193], v[194:195], v[18:19], v[190:193]
	s_nop 7
	s_nop 2
	v_cvt_f16_f32_e32 v18, v190
	v_cvt_f16_f32_e32 v19, v191
	;; [unrolled: 1-line block ×4, first 2 shown]
	v_pack_b32_f16 v186, v18, v19
	v_pack_b32_f16 v189, v21, v49
	s_cbranch_scc0 .LBB24_51
; %bb.48:                               ;   in Loop: Header=BB24_41 Depth=2
	v_mov_b32_e32 v191, v20
	v_mov_b32_e32 v192, v47
	s_branch .LBB24_41
.LBB24_49:                              ;   in Loop: Header=BB24_16 Depth=1
	s_cbranch_execz .LBB24_15
	s_branch .LBB24_148
.LBB24_50:                              ;   in Loop: Header=BB24_16 Depth=1
	v_mov_b32_e32 v20, 0
	v_mov_b32_e32 v47, 0xfeffffff
	;; [unrolled: 1-line block ×17, first 2 shown]
.LBB24_51:                              ;   in Loop: Header=BB24_16 Depth=1
	s_lshl_b32 s72, s40, 6
	v_readlane_b32 s28, v213, 4
	s_sub_i32 s44, s28, s72
	s_cmp_lg_u64 s[8:9], 0
	s_cselect_b64 s[40:41], -1, 0
	s_ashr_i32 s73, s72, 31
	s_cmp_eq_u64 s[8:9], 0
	v_readlane_b32 s29, v213, 5
	s_cbranch_scc1 .LBB24_57
; %bb.52:                               ;   in Loop: Header=BB24_16 Depth=1
	v_cmp_le_i32_e32 vcc, s44, v22
                                        ; implicit-def: $sgpr30
	s_and_saveexec_b64 s[28:29], vcc
	s_xor_b64 s[28:29], exec, s[28:29]
	s_cbranch_execz .LBB24_54
; %bb.53:                               ;   in Loop: Header=BB24_16 Depth=1
	ds_write_b16 v80, v157 offset:17408
	ds_write_b16 v158, v157 offset:17408
	s_mov_b32 s30, 0
                                        ; implicit-def: $vgpr1
                                        ; implicit-def: $vgpr23
                                        ; implicit-def: $vgpr27
                                        ; implicit-def: $vgpr25
.LBB24_54:                              ;   in Loop: Header=BB24_16 Depth=1
	s_or_saveexec_b64 s[28:29], s[28:29]
	v_mov_b32_e32 v18, s30
	v_mov_b32_e32 v19, s30
	s_xor_b64 exec, exec, s[28:29]
	s_cbranch_execz .LBB24_56
; %bb.55:                               ;   in Loop: Header=BB24_16 Depth=1
	s_lshl_b64 s[30:31], s[72:73], 1
	s_add_u32 s30, s8, s30
	s_addc_u32 s31, s9, s31
	v_lshlrev_b32_e32 v18, 1, v22
	v_add_co_u32_e32 v21, vcc, s30, v18
	v_mov_b32_e32 v18, s31
	v_readlane_b32 s34, v213, 10
	v_addc_co_u32_e32 v49, vcc, 0, v18, vcc
	v_mul_hi_u32 v18, s34, v1
	v_readlane_b32 s35, v213, 11
	v_add_u32_e32 v18, v1, v18
	v_lshrrev_b32_e32 v18, s35, v18
	v_mul_lo_u32 v18, v18, s64
	v_readlane_b32 s30, v213, 59
	v_sub_u32_e32 v1, v1, v18
	v_readlane_b32 s31, v213, 60
	s_mov_b32 s36, s30
	v_mad_i64_i32 v[18:19], s[30:31], v1, s36, 0
	v_lshlrev_b64 v[18:19], 1, v[18:19]
	v_add_co_u32_e32 v18, vcc, v21, v18
	v_addc_co_u32_e32 v19, vcc, v49, v19, vcc
	flat_load_ushort v1, v[18:19]
	v_mul_hi_u32 v18, s34, v23
	v_add_u32_e32 v18, v23, v18
	v_lshrrev_b32_e32 v18, s35, v18
	v_mul_lo_u32 v18, v18, s64
	v_sub_u32_e32 v18, v23, v18
	v_mad_i64_i32 v[18:19], s[30:31], v18, s36, 0
	v_lshlrev_b64 v[18:19], 1, v[18:19]
	v_add_co_u32_e32 v18, vcc, v21, v18
	v_addc_co_u32_e32 v19, vcc, v49, v19, vcc
	flat_load_ushort v18, v[18:19]
	s_waitcnt vmcnt(0) lgkmcnt(0)
	ds_write_b16 v80, v1 offset:17408
	ds_write_b16 v158, v18 offset:17408
	v_mul_hi_u32 v1, s34, v27
	v_add_u32_e32 v1, v27, v1
	v_lshrrev_b32_e32 v1, s35, v1
	v_mul_lo_u32 v1, v1, s64
	v_sub_u32_e32 v1, v27, v1
	v_mad_i64_i32 v[18:19], s[30:31], v1, s36, 0
	v_mul_hi_u32 v1, s34, v25
	v_add_u32_e32 v1, v25, v1
	v_lshrrev_b32_e32 v1, s35, v1
	v_mul_lo_u32 v1, v1, s64
	v_lshlrev_b64 v[18:19], 1, v[18:19]
	v_sub_u32_e32 v1, v25, v1
	v_add_co_u32_e32 v18, vcc, v21, v18
	v_mad_i64_i32 v[50:51], s[30:31], v1, s36, 0
	v_addc_co_u32_e32 v19, vcc, v49, v19, vcc
	v_lshlrev_b64 v[50:51], 1, v[50:51]
	v_add_co_u32_e32 v50, vcc, v21, v50
	v_addc_co_u32_e32 v51, vcc, v49, v51, vcc
	flat_load_ushort v18, v[18:19]
	s_nop 0
	flat_load_ushort v19, v[50:51]
.LBB24_56:                              ;   in Loop: Header=BB24_16 Depth=1
	s_or_b64 exec, exec, s[28:29]
	s_waitcnt vmcnt(0) lgkmcnt(0)
	ds_write_b16 v159, v18 offset:17408
	ds_write_b16 v160, v19 offset:17408
.LBB24_57:                              ;   in Loop: Header=BB24_16 Depth=1
	s_mul_hi_i32 s29, s72, s80
	s_mul_i32 s28, s72, s80
	s_lshl_b64 s[28:29], s[28:29], 2
	s_add_u32 s28, s77, s28
	s_addc_u32 s29, s96, s29
	v_mov_b32_e32 v1, s29
	v_add_co_u32_e32 v18, vcc, s28, v38
	v_addc_co_u32_e32 v1, vcc, v1, v39, vcc
	v_lshlrev_b32_e32 v25, 2, v26
	v_add_co_u32_e32 v18, vcc, v18, v25
	v_addc_co_u32_e32 v1, vcc, 0, v1, vcc
	v_mov_b32_e32 v21, s75
	v_cmp_gt_i32_e64 s[36:37], s44, v81
	v_cndmask_b32_e64 v19, v21, v1, s[36:37]
	v_mov_b32_e32 v1, s74
	buffer_store_dword v157, off, s[0:3], 0
	buffer_store_dword v157, off, s[0:3], 0 offset:4
	buffer_store_dword v157, off, s[0:3], 0 offset:8
	;; [unrolled: 1-line block ×3, first 2 shown]
	v_cndmask_b32_e64 v18, v1, v18, s[36:37]
	flat_load_dwordx4 v[50:53], v[18:19]
	v_mov_b32_e32 v18, s29
	v_add_co_u32_e32 v19, vcc, s28, v40
	v_addc_co_u32_e32 v18, vcc, v18, v41, vcc
	v_add_co_u32_e32 v23, vcc, v19, v25
	v_addc_co_u32_e32 v18, vcc, 0, v18, vcc
	v_cmp_gt_i32_e64 s[34:35], s44, v161
	v_cndmask_b32_e64 v19, v21, v18, s[34:35]
	v_cndmask_b32_e64 v18, v1, v23, s[34:35]
	v_cmp_gt_i32_e64 s[30:31], s44, v163
	s_waitcnt vmcnt(0) lgkmcnt(0)
	ds_write_b128 v82, v[50:53]
	flat_load_dwordx4 v[50:53], v[18:19]
	v_mov_b32_e32 v18, s29
	v_add_co_u32_e32 v19, vcc, s28, v42
	v_addc_co_u32_e32 v18, vcc, v18, v43, vcc
	v_add_co_u32_e32 v23, vcc, v19, v25
	v_addc_co_u32_e32 v18, vcc, 0, v18, vcc
	v_cndmask_b32_e64 v19, v21, v18, s[30:31]
	v_cndmask_b32_e64 v18, v1, v23, s[30:31]
	s_waitcnt vmcnt(0) lgkmcnt(0)
	ds_write_b128 v162, v[50:53]
	flat_load_dwordx4 v[50:53], v[18:19]
	v_mov_b32_e32 v18, s29
	v_add_co_u32_e32 v19, vcc, s28, v44
	v_addc_co_u32_e32 v18, vcc, v18, v45, vcc
	v_add_co_u32_e32 v23, vcc, v19, v25
	v_addc_co_u32_e32 v18, vcc, 0, v18, vcc
	v_cmp_gt_i32_e64 s[28:29], s44, v165
	v_cndmask_b32_e64 v19, v21, v18, s[28:29]
	v_cndmask_b32_e64 v18, v1, v23, s[28:29]
	s_andn2_b64 vcc, exec, s[40:41]
	s_waitcnt vmcnt(0) lgkmcnt(0)
	ds_write_b128 v164, v[50:53]
	flat_load_dwordx4 v[50:53], v[18:19]
	s_waitcnt vmcnt(0) lgkmcnt(0)
	ds_write_b128 v166, v[50:53]
	s_waitcnt lgkmcnt(0)
	s_barrier
	ds_read2_b64 v[50:53], v83 offset1:4
	s_waitcnt lgkmcnt(0)
	v_mfma_f32_16x16x16f16 v[54:57], v[50:51], v[14:15], 0
	v_mfma_f32_16x16x16f16 v[14:17], v[52:53], v[16:17], v[54:57]
	ds_read2_b64 v[50:53], v83 offset0:8 offset1:12
	s_waitcnt lgkmcnt(0)
	v_mfma_f32_16x16x16f16 v[14:17], v[50:51], v[10:11], v[14:17]
	v_mfma_f32_16x16x16f16 v[10:13], v[52:53], v[12:13], v[14:17]
	s_nop 7
	s_nop 1
	ds_read2_b64 v[14:17], v83 offset0:16 offset1:20
	s_waitcnt lgkmcnt(0)
	v_mfma_f32_16x16x16f16 v[10:13], v[14:15], v[6:7], v[10:13]
	v_mfma_f32_16x16x16f16 v[6:9], v[16:17], v[8:9], v[10:13]
	s_nop 7
	s_nop 1
	ds_read2_b64 v[10:13], v83 offset0:24 offset1:28
	s_waitcnt lgkmcnt(0)
	v_mfma_f32_16x16x16f16 v[6:9], v[10:11], v[2:3], v[6:9]
	s_barrier
	v_mfma_f32_16x16x16f16 v[2:5], v[12:13], v[4:5], v[6:9]
	s_cbranch_vccnz .LBB24_59
; %bb.58:                               ;   in Loop: Header=BB24_16 Depth=1
	v_add_u32_e32 v1, 0x4400, v85
	s_nop 6
	ds_read2_b32 v[6:7], v1 offset1:1
	s_waitcnt lgkmcnt(0)
	v_cvt_f32_f16_e32 v8, v6
	v_cvt_f32_f16_e32 v10, v7
	v_cvt_f32_f16_sdwa v11, v7 dst_sel:DWORD dst_unused:UNUSED_PAD src0_sel:WORD_1
	v_cvt_f32_f16_sdwa v9, v6 dst_sel:DWORD dst_unused:UNUSED_PAD src0_sel:WORD_1
	v_pk_fma_f32 v[4:5], v[48:49], v[10:11], v[4:5] op_sel_hi:[0,1,1]
	v_pk_fma_f32 v[2:3], v[48:49], v[8:9], v[2:3] op_sel_hi:[0,1,1]
.LBB24_59:                              ;   in Loop: Header=BB24_16 Depth=1
	v_add_f32_e32 v1, 0x40051340, v2
	s_nop 4
	v_max_f32_e32 v6, v47, v47
	v_cmp_gt_u32_e32 vcc, s44, v84
	v_max_f32_e32 v1, v6, v1
	v_cndmask_b32_e32 v1, v47, v1, vcc
	v_add_f32_e32 v6, 0x40051340, v3
	v_max_f32_e32 v7, v1, v1
	v_cmp_gt_u32_e64 s[40:41], s44, v174
	v_max_f32_e32 v6, v7, v6
	v_cndmask_b32_e64 v1, v1, v6, s[40:41]
	v_add_f32_e32 v6, 0x40051340, v4
	v_max_f32_e32 v7, v1, v1
	v_cmp_gt_u32_e64 s[42:43], s44, v175
	v_max_f32_e32 v6, v7, v6
	v_cndmask_b32_e64 v1, v1, v6, s[42:43]
	;; [unrolled: 5-line block ×3, first 2 shown]
	v_and_b32_e32 v6, 64, v156
	v_add_u32_e32 v6, 64, v6
	v_xor_b32_e32 v7, 32, v156
	v_cmp_lt_i32_e64 s[46:47], v7, v6
	v_cndmask_b32_e64 v7, v156, v7, s[46:47]
	v_lshlrev_b32_e32 v19, 2, v7
	ds_bpermute_b32 v7, v19, v1
	v_max_f32_e32 v1, v1, v1
	v_cndmask_b32_e64 v4, v4, v4, s[40:41]
	v_cndmask_b32_e64 v5, v5, v5, s[40:41]
	buffer_store_dword v157, off, s[0:3], 0
	buffer_store_dword v157, off, s[0:3], 0 offset:4
	buffer_store_dword v157, off, s[0:3], 0 offset:8
	;; [unrolled: 1-line block ×3, first 2 shown]
	s_waitcnt lgkmcnt(0)
	v_max_f32_e32 v7, v7, v7
	v_max_f32_e32 v1, v1, v7
	v_xor_b32_e32 v7, 16, v156
	v_cmp_lt_i32_e64 s[46:47], v7, v6
	v_cndmask_b32_e64 v6, v156, v7, s[46:47]
	v_lshlrev_b32_e32 v23, 2, v6
	ds_bpermute_b32 v6, v23, v1
	s_waitcnt lgkmcnt(0)
	v_max_f32_e32 v6, v6, v6
	v_max_f32_e32 v6, v1, v6
	v_sub_f32_e32 v1, v2, v6
	v_mul_f32_e32 v2, 0x3fb8aa3b, v1
	v_fma_f32 v7, v1, s65, -v2
	v_rndne_f32_e32 v8, v2
	v_fmac_f32_e32 v7, 0x32a5705f, v1
	v_sub_f32_e32 v2, v2, v8
	v_add_f32_e32 v2, v2, v7
	v_exp_f32_e32 v2, v2
	v_cvt_i32_f32_e32 v7, v8
	v_cmp_ngt_f32_e64 s[46:47], s26, v1
	v_ldexp_f32 v2, v2, v7
	v_cndmask_b32_e64 v2, 0, v2, s[46:47]
	v_cmp_nlt_f32_e64 s[46:47], s93, v1
	v_cndmask_b32_e64 v1, v179, v2, s[46:47]
	v_cndmask_b32_e32 v2, 0, v1, vcc
	v_sub_f32_e32 v1, v3, v6
	v_mul_f32_e32 v3, 0x3fb8aa3b, v1
	v_fma_f32 v7, v1, s65, -v3
	v_rndne_f32_e32 v8, v3
	v_fmac_f32_e32 v7, 0x32a5705f, v1
	v_sub_f32_e32 v3, v3, v8
	v_add_f32_e32 v3, v3, v7
	v_exp_f32_e32 v3, v3
	v_cvt_i32_f32_e32 v7, v8
	v_cmp_ngt_f32_e32 vcc, s26, v1
	v_ldexp_f32 v3, v3, v7
	v_cndmask_b32_e32 v3, 0, v3, vcc
	v_cmp_nlt_f32_e32 vcc, s93, v1
	v_cndmask_b32_e32 v3, v179, v3, vcc
	v_mov_b32_e32 v1, s99
	v_add_f32_e32 v7, v3, v2
	v_cndmask_b32_e64 v27, v1, v3, s[40:41]
	v_sub_f32_e32 v3, v4, v6
	v_mul_f32_e32 v4, 0x3fb8aa3b, v3
	v_cndmask_b32_e64 v1, v2, v7, s[40:41]
	v_fma_f32 v7, v3, s65, -v4
	v_rndne_f32_e32 v8, v4
	v_fmac_f32_e32 v7, 0x32a5705f, v3
	v_sub_f32_e32 v4, v4, v8
	v_add_f32_e32 v4, v4, v7
	v_exp_f32_e32 v4, v4
	v_cvt_i32_f32_e32 v7, v8
	v_cmp_ngt_f32_e32 vcc, s26, v3
	v_cvt_f16_f32_e32 v2, v2
	v_cvt_f16_f32_e32 v27, v27
	v_ldexp_f32 v4, v4, v7
	v_cndmask_b32_e32 v4, 0, v4, vcc
	v_cmp_nlt_f32_e32 vcc, s93, v3
	v_cndmask_b32_e32 v3, v179, v4, vcc
	v_mov_b32_e32 v4, s99
	v_add_f32_e32 v7, v1, v3
	v_cndmask_b32_e64 v49, v4, v3, s[42:43]
	v_sub_f32_e32 v3, v5, v6
	v_mul_f32_e32 v4, 0x3fb8aa3b, v3
	v_cndmask_b32_e64 v1, v1, v7, s[42:43]
	v_fma_f32 v5, v3, s65, -v4
	v_rndne_f32_e32 v7, v4
	v_fmac_f32_e32 v5, 0x32a5705f, v3
	v_sub_f32_e32 v4, v4, v7
	v_add_f32_e32 v4, v4, v5
	v_exp_f32_e32 v4, v4
	v_cvt_i32_f32_e32 v5, v7
	v_cmp_ngt_f32_e32 vcc, s26, v3
	v_pack_b32_f16 v2, v2, v27
	v_cvt_f16_f32_e32 v27, v49
	v_ldexp_f32 v4, v4, v5
	v_cndmask_b32_e32 v4, 0, v4, vcc
	v_cmp_nlt_f32_e32 vcc, s93, v3
	v_cndmask_b32_e32 v4, v179, v4, vcc
	v_add_f32_e32 v5, v1, v4
	v_mov_b32_e32 v3, s99
	v_cndmask_b32_e64 v7, v1, v5, s[44:45]
	v_sub_f32_e32 v1, v47, v6
	v_cndmask_b32_e64 v3, v3, v4, s[44:45]
	v_mul_f32_e32 v4, 0x3fb8aa3b, v1
	v_fma_f32 v5, v1, s65, -v4
	v_rndne_f32_e32 v8, v4
	v_fmac_f32_e32 v5, 0x32a5705f, v1
	v_sub_f32_e32 v4, v4, v8
	v_add_f32_e32 v4, v4, v5
	v_exp_f32_e32 v4, v4
	v_cvt_i32_f32_e32 v5, v8
	v_cvt_f16_f32_e32 v3, v3
	s_mul_hi_i32 s41, s72, s66
	s_mul_i32 s40, s72, s66
	v_ldexp_f32 v4, v4, v5
	v_cmp_ngt_f32_e32 vcc, s26, v1
	s_lshl_b64 s[40:41], s[40:41], 2
	v_cndmask_b32_e32 v4, 0, v4, vcc
	v_cmp_nlt_f32_e32 vcc, s93, v1
	s_add_u32 s40, s83, s40
	v_cndmask_b32_e32 v4, v179, v4, vcc
	v_cmp_le_f32_e32 vcc, s27, v1
	s_addc_u32 s41, s89, s41
	v_cndmask_b32_e32 v1, 0, v4, vcc
	v_pack_b32_f16 v3, v27, v3
	v_add_co_u32_e32 v27, vcc, s40, v30
	v_mov_b32_e32 v47, s41
	v_addc_co_u32_e32 v47, vcc, v47, v31, vcc
	v_add_co_u32_e32 v27, vcc, v27, v25
	v_addc_co_u32_e32 v47, vcc, 0, v47, vcc
	v_mov_b32_e32 v49, s75
	v_cndmask_b32_e64 v51, v49, v47, s[36:37]
	v_mov_b32_e32 v47, s74
	v_cndmask_b32_e64 v50, v47, v27, s[36:37]
	flat_load_dwordx4 v[50:53], v[50:51]
	v_add_co_u32_e32 v27, vcc, s40, v32
	v_fmac_f32_e32 v7, v20, v1
	v_cvt_f16_f32_e32 v20, v1
	s_cmp_eq_u64 s[86:87], 0
	v_pk_mul_f16 v1, v20, v64 op_sel_hi:[0,1]
	v_pk_mul_f16 v4, v20, v65 op_sel_hi:[0,1]
	;; [unrolled: 1-line block ×16, first 2 shown]
	s_waitcnt vmcnt(0) lgkmcnt(0)
	ds_write_b128 v82, v[50:53]
	v_mov_b32_e32 v50, s41
	v_addc_co_u32_e32 v50, vcc, v50, v33, vcc
	v_add_co_u32_e32 v27, vcc, v27, v25
	v_addc_co_u32_e32 v50, vcc, 0, v50, vcc
	v_cndmask_b32_e64 v51, v49, v50, s[34:35]
	v_cndmask_b32_e64 v50, v47, v27, s[34:35]
	flat_load_dwordx4 v[50:53], v[50:51]
	v_add_co_u32_e32 v27, vcc, s40, v34
	s_waitcnt vmcnt(0) lgkmcnt(0)
	ds_write_b128 v162, v[50:53]
	v_mov_b32_e32 v50, s41
	v_addc_co_u32_e32 v50, vcc, v50, v35, vcc
	v_add_co_u32_e32 v27, vcc, v27, v25
	v_addc_co_u32_e32 v50, vcc, 0, v50, vcc
	v_cndmask_b32_e64 v51, v49, v50, s[30:31]
	v_cndmask_b32_e64 v50, v47, v27, s[30:31]
	flat_load_dwordx4 v[50:53], v[50:51]
	v_add_co_u32_e32 v27, vcc, s40, v36
	v_readlane_b32 s30, v213, 53
	v_readlane_b32 s31, v213, 54
	s_waitcnt vmcnt(0) lgkmcnt(0)
	ds_write_b128 v164, v[50:53]
	v_mov_b32_e32 v50, s41
	v_addc_co_u32_e32 v50, vcc, v50, v37, vcc
	v_add_co_u32_e32 v25, vcc, v27, v25
	v_addc_co_u32_e32 v27, vcc, 0, v50, vcc
	v_cndmask_b32_e64 v51, v49, v27, s[28:29]
	v_cndmask_b32_e64 v50, v47, v25, s[28:29]
	flat_load_dwordx4 v[50:53], v[50:51]
	s_cselect_b64 s[28:29], -1, 0
	s_xor_b64 s[30:31], s[30:31], -1
	s_or_b64 s[28:29], s[30:31], s[28:29]
	s_waitcnt vmcnt(0) lgkmcnt(0)
	ds_write_b128 v166, v[50:53]
	s_waitcnt lgkmcnt(0)
	s_barrier
	ds_read_u16 v25, v87 offset:272
	ds_read_u16 v27, v87 offset:544
	v_cvt_f32_f16_e32 v52, v1
	v_cvt_f32_f16_sdwa v53, v1 dst_sel:DWORD dst_unused:UNUSED_PAD src0_sel:WORD_1
	ds_read_u16 v1, v88
	ds_read_u16 v47, v88 offset:32
	v_cvt_f32_f16_e32 v50, v4
	v_cvt_f32_f16_sdwa v51, v4 dst_sel:DWORD dst_unused:UNUSED_PAD src0_sel:WORD_1
	s_waitcnt lgkmcnt(1)
	v_perm_b32 v55, v1, v27, s88
	ds_read_u16 v1, v86
	ds_read_u16 v27, v86 offset:32
	s_waitcnt lgkmcnt(1)
	v_perm_b32 v54, v25, v1, s88
	s_nop 1
	v_mfma_f32_16x16x16f16 v[50:53], v[54:55], v[2:3], v[50:53]
	s_nop 7
	s_nop 2
	v_cvt_f16_f32_e32 v1, v50
	v_cvt_f16_f32_e32 v4, v51
	;; [unrolled: 1-line block ×4, first 2 shown]
	v_cvt_f32_f16_e32 v50, v8
	v_pack_b32_f16 v4, v1, v4
	v_cvt_f32_f16_sdwa v51, v8 dst_sel:DWORD dst_unused:UNUSED_PAD src0_sel:WORD_1
	v_pack_b32_f16 v1, v25, v49
	ds_read_u16 v25, v167 offset:272
	ds_read_u16 v49, v167 offset:544
	v_cvt_f32_f16_e32 v52, v5
	v_cvt_f32_f16_sdwa v53, v5 dst_sel:DWORD dst_unused:UNUSED_PAD src0_sel:WORD_1
	s_waitcnt lgkmcnt(1)
	v_perm_b32 v54, v25, v27, s88
	s_waitcnt lgkmcnt(0)
	v_perm_b32 v55, v47, v49, s88
	s_nop 1
	v_mfma_f32_16x16x16f16 v[50:53], v[54:55], v[2:3], v[50:53]
	s_nop 7
	s_nop 2
	v_cvt_f16_f32_e32 v5, v50
	v_cvt_f16_f32_e32 v8, v51
	v_cvt_f16_f32_e32 v25, v52
	v_cvt_f16_f32_e32 v27, v53
	v_cvt_f32_f16_e32 v50, v10
	v_pack_b32_f16 v8, v5, v8
	v_cvt_f32_f16_sdwa v51, v10 dst_sel:DWORD dst_unused:UNUSED_PAD src0_sel:WORD_1
	v_pack_b32_f16 v5, v25, v27
	ds_read_u16 v25, v86 offset:64
	ds_read_u16 v27, v168 offset:272
	ds_read_u16 v47, v168 offset:544
	ds_read_u16 v49, v88 offset:64
	v_cvt_f32_f16_e32 v52, v9
	v_cvt_f32_f16_sdwa v53, v9 dst_sel:DWORD dst_unused:UNUSED_PAD src0_sel:WORD_1
	s_waitcnt lgkmcnt(2)
	v_perm_b32 v54, v27, v25, s88
	s_waitcnt lgkmcnt(0)
	v_perm_b32 v55, v49, v47, s88
	s_nop 1
	v_mfma_f32_16x16x16f16 v[50:53], v[54:55], v[2:3], v[50:53]
	s_nop 7
	s_nop 2
	v_cvt_f16_f32_e32 v9, v50
	v_cvt_f16_f32_e32 v10, v51
	v_cvt_f16_f32_e32 v25, v52
	v_cvt_f16_f32_e32 v27, v53
	v_cvt_f32_f16_e32 v50, v12
	v_pack_b32_f16 v10, v9, v10
	v_cvt_f32_f16_sdwa v51, v12 dst_sel:DWORD dst_unused:UNUSED_PAD src0_sel:WORD_1
	v_pack_b32_f16 v9, v25, v27
	ds_read_u16 v25, v86 offset:96
	ds_read_u16 v27, v169 offset:272
	;; [unrolled: 22-line block ×6, first 2 shown]
	ds_read_u16 v47, v173 offset:544
	ds_read_u16 v49, v88 offset:224
	v_cvt_f32_f16_e32 v52, v20
	v_cvt_f32_f16_sdwa v53, v20 dst_sel:DWORD dst_unused:UNUSED_PAD src0_sel:WORD_1
	s_waitcnt lgkmcnt(2)
	v_perm_b32 v20, v27, v25, s88
	s_waitcnt lgkmcnt(0)
	v_perm_b32 v21, v49, v47, s88
	s_barrier
	s_nop 0
	v_mfma_f32_16x16x16f16 v[50:53], v[20:21], v[2:3], v[50:53]
	s_nop 7
	s_nop 2
	v_cvt_f16_f32_e32 v2, v50
	v_cvt_f16_f32_e32 v3, v51
	;; [unrolled: 1-line block ×4, first 2 shown]
	v_pack_b32_f16 v2, v2, v3
	v_pack_b32_f16 v3, v20, v21
	ds_bpermute_b32 v20, v19, v7
	s_waitcnt lgkmcnt(0)
	v_add_f32_e32 v7, v7, v20
	ds_bpermute_b32 v20, v23, v7
	s_waitcnt lgkmcnt(0)
	v_add_f32_e32 v7, v7, v20
	s_and_saveexec_b64 s[30:31], s[28:29]
	s_xor_b64 s[28:29], exec, s[30:31]
	s_andn2_saveexec_b64 s[28:29], s[28:29]
	s_cbranch_execz .LBB24_61
; %bb.60:                               ;   in Loop: Header=BB24_16 Depth=1
	global_load_dword v21, v157, s[86:87]
	v_max_f32_e32 v25, v6, v6
	s_waitcnt vmcnt(0)
	v_max_f32_e32 v20, v21, v21
	v_max_f32_e32 v20, v25, v20
	v_sub_f32_e32 v6, v6, v20
	v_mul_f32_e32 v25, 0x3fb8aa3b, v6
	v_fma_f32 v27, v6, s65, -v25
	v_rndne_f32_e32 v47, v25
	v_fmac_f32_e32 v27, 0x32a5705f, v6
	v_sub_f32_e32 v25, v25, v47
	v_add_f32_e32 v25, v25, v27
	v_exp_f32_e32 v25, v25
	v_cvt_i32_f32_e32 v27, v47
	v_cmp_ngt_f32_e32 vcc, s26, v6
	v_sub_f32_e32 v21, v21, v20
	v_ldexp_f32 v25, v25, v27
	v_cndmask_b32_e32 v25, 0, v25, vcc
	v_cmp_nlt_f32_e32 vcc, s93, v6
	v_cndmask_b32_e32 v25, v179, v25, vcc
	v_cmp_le_f32_e32 vcc, s27, v6
	v_cndmask_b32_e32 v6, 0, v25, vcc
	v_cvt_f16_f32_e32 v25, v6
	v_cmp_ngt_f32_e32 vcc, s26, v21
	v_pk_mul_f16 v4, v25, v4 op_sel_hi:[0,1]
	v_pk_mul_f16 v1, v25, v1 op_sel_hi:[0,1]
	;; [unrolled: 1-line block ×16, first 2 shown]
	v_mul_f32_e32 v25, 0x3fb8aa3b, v21
	v_fma_f32 v27, v21, s65, -v25
	v_rndne_f32_e32 v47, v25
	v_fmac_f32_e32 v27, 0x32a5705f, v21
	v_sub_f32_e32 v25, v25, v47
	v_add_f32_e32 v25, v25, v27
	v_exp_f32_e32 v25, v25
	v_cvt_i32_f32_e32 v27, v47
	v_ldexp_f32 v25, v25, v27
	v_cndmask_b32_e32 v25, 0, v25, vcc
	v_cmp_nlt_f32_e32 vcc, s93, v21
	v_cndmask_b32_e32 v21, v179, v25, vcc
	v_fmac_f32_e32 v21, v7, v6
	v_pk_mov_b32 v[6:7], v[20:21], v[20:21] op_sel:[0,1]
.LBB24_61:                              ;   in Loop: Header=BB24_16 Depth=1
	s_or_b64 exec, exec, s[28:29]
	s_mov_b64 s[28:29], exec
	v_readlane_b32 s30, v213, 57
	v_readlane_b32 s31, v213, 58
	s_and_b64 s[30:31], s[28:29], s[30:31]
	s_mov_b64 exec, s[30:31]
	s_cbranch_execz .LBB24_63
; %bb.62:                               ;   in Loop: Header=BB24_16 Depth=1
	v_add_u32_e32 v20, 0, v105
	ds_write2_b32 v20, v6, v7 offset0:64 offset1:65
.LBB24_63:                              ;   in Loop: Header=BB24_16 Depth=1
	s_or_b64 exec, exec, s[28:29]
	s_waitcnt lgkmcnt(0)
	s_barrier
	s_mov_b64 s[28:29], exec
	v_readlane_b32 s30, v213, 55
	v_readlane_b32 s31, v213, 56
	s_and_b64 s[30:31], s[28:29], s[30:31]
	s_xor_b64 s[28:29], s[30:31], s[28:29]
	s_mov_b64 exec, s[30:31]
	s_cbranch_execz .LBB24_65
; %bb.64:                               ;   in Loop: Header=BB24_16 Depth=1
	s_barrier
	s_waitcnt lgkmcnt(0)
                                        ; implicit-def: $vgpr19
                                        ; implicit-def: $vgpr23
.LBB24_65:                              ;   in Loop: Header=BB24_16 Depth=1
	s_andn2_saveexec_b64 s[28:29], s[28:29]
	s_cbranch_execz .LBB24_69
; %bb.66:                               ;   in Loop: Header=BB24_16 Depth=1
	v_add_u32_e32 v7, 0, v105
	ds_read_b64 v[20:21], v7 offset:256
	s_waitcnt lgkmcnt(0)
	s_barrier
	ds_bpermute_b32 v6, v19, v20
	v_max_f32_e32 v25, v20, v20
	s_waitcnt lgkmcnt(0)
	v_max_f32_e32 v6, v6, v6
	v_max_f32_e32 v6, v25, v6
	ds_bpermute_b32 v25, v23, v6
	s_waitcnt lgkmcnt(0)
	v_max_f32_e32 v25, v25, v25
	v_max_f32_e32 v6, v6, v25
	v_sub_f32_e32 v20, v20, v6
	v_mul_f32_e32 v25, 0x3fb8aa3b, v20
	v_fma_f32 v27, v20, s65, -v25
	v_rndne_f32_e32 v47, v25
	v_fmac_f32_e32 v27, 0x32a5705f, v20
	v_sub_f32_e32 v25, v25, v47
	v_add_f32_e32 v25, v25, v27
	v_cvt_i32_f32_e32 v47, v47
	v_exp_f32_e32 v25, v25
	v_cmp_ngt_f32_e32 vcc, s26, v20
	v_ldexp_f32 v25, v25, v47
	v_cndmask_b32_e32 v25, 0, v25, vcc
	v_cmp_nlt_f32_e32 vcc, s93, v20
	v_cndmask_b32_e32 v20, v179, v25, vcc
	v_mul_f32_e32 v25, v21, v20
	ds_bpermute_b32 v19, v19, v25
	s_waitcnt lgkmcnt(0)
	v_fmac_f32_e32 v19, v21, v20
	ds_bpermute_b32 v21, v23, v19
	s_waitcnt lgkmcnt(0)
	v_add_f32_e32 v21, v19, v21
	ds_write_b64 v7, v[20:21] offset:256
	s_mov_b64 s[30:31], exec
	v_readlane_b32 s34, v213, 57
	v_readlane_b32 s35, v213, 58
	s_and_b64 s[34:35], s[30:31], s[34:35]
	s_mov_b64 exec, s[34:35]
	s_cbranch_execz .LBB24_68
; %bb.67:                               ;   in Loop: Header=BB24_16 Depth=1
	v_mov_b32_e32 v7, v21
	global_store_dwordx2 v[28:29], v[6:7], off
.LBB24_68:                              ;   in Loop: Header=BB24_16 Depth=1
	s_or_b64 exec, exec, s[30:31]
.LBB24_69:                              ;   in Loop: Header=BB24_16 Depth=1
	s_or_b64 exec, exec, s[28:29]
	ds_write2_b32 v106, v4, v1 offset1:1
	ds_write2_b32 v106, v8, v5 offset0:8 offset1:9
	ds_write2_b32 v106, v10, v9 offset0:16 offset1:17
	;; [unrolled: 1-line block ×7, first 2 shown]
	s_waitcnt lgkmcnt(0)
	s_barrier
	s_mov_b64 s[28:29], exec
	v_readlane_b32 s30, v213, 53
	v_readlane_b32 s31, v213, 54
	s_and_b64 s[30:31], s[28:29], s[30:31]
	s_mov_b64 exec, s[30:31]
	s_cbranch_execz .LBB24_147
; %bb.70:                               ;   in Loop: Header=BB24_16 Depth=1
	v_add_u32_e32 v1, s78, v89
	v_cmp_gt_i32_e32 vcc, s64, v1
	v_mov_b32_e32 v2, 0x47
	s_and_saveexec_b64 s[30:31], vcc
	s_cbranch_execz .LBB24_72
; %bb.71:                               ;   in Loop: Header=BB24_16 Depth=1
	v_add_u32_e32 v6, 0, v108
	ds_read2st64_b32 v[2:3], v6 offset0:1 offset1:18
	ds_read2st64_b32 v[4:5], v109 offset1:17
	ds_read2st64_b32 v[6:7], v6 offset0:35 offset1:52
	ds_read2st64_b32 v[8:9], v109 offset0:34 offset1:51
	v_readlane_b32 s34, v213, 44
	v_mad_u64_u32 v[10:11], s[34:35], s34, v1, v[22:23]
	s_waitcnt lgkmcnt(2)
	v_cvt_f32_f16_sdwa v13, v4 dst_sel:DWORD dst_unused:UNUSED_PAD src0_sel:WORD_1
	v_cvt_f32_f16_e32 v12, v4
	v_cvt_f32_f16_sdwa v15, v5 dst_sel:DWORD dst_unused:UNUSED_PAD src0_sel:WORD_1
	v_cvt_f32_f16_e32 v14, v5
	s_waitcnt lgkmcnt(0)
	v_cvt_f32_f16_sdwa v5, v8 dst_sel:DWORD dst_unused:UNUSED_PAD src0_sel:WORD_1
	v_cvt_f32_f16_e32 v4, v8
	v_pk_fma_f32 v[12:13], v[2:3], v[12:13], 0 op_sel_hi:[0,1,0]
	v_mov_b32_e32 v2, v3
	v_pk_fma_f32 v[2:3], v[2:3], v[14:15], v[12:13] op_sel_hi:[0,1,1]
	v_ashrrev_i32_e32 v11, 31, v10
	v_pk_fma_f32 v[2:3], v[6:7], v[4:5], v[2:3] op_sel_hi:[0,1,1]
	v_cvt_f32_f16_sdwa v5, v9 dst_sel:DWORD dst_unused:UNUSED_PAD src0_sel:WORD_1
	v_cvt_f32_f16_e32 v4, v9
	v_lshlrev_b64 v[10:11], 3, v[10:11]
	v_readlane_b32 s34, v212, 0
	v_add_co_u32_e32 v10, vcc, s34, v10
	v_readlane_b32 s34, v212, 1
	v_mov_b32_e32 v1, s34
	v_mov_b32_e32 v6, v7
	v_addc_co_u32_e32 v11, vcc, v1, v11, vcc
	v_pk_fma_f32 v[2:3], v[6:7], v[4:5], v[2:3] op_sel_hi:[0,1,1]
	global_store_dwordx2 v[10:11], v[2:3], off
	v_mov_b32_e32 v2, 0
.LBB24_72:                              ;   in Loop: Header=BB24_16 Depth=1
	s_or_b64 exec, exec, s[30:31]
	s_movk_i32 s30, 0x47
	v_cmp_gt_i32_e32 vcc, s30, v2
	s_mov_b64 s[30:31], -1
	s_and_saveexec_b64 s[34:35], vcc
; %bb.73:                               ;   in Loop: Header=BB24_16 Depth=1
	v_cmp_eq_u32_e32 vcc, 0, v2
	s_orn2_b64 s[30:31], vcc, exec
; %bb.74:                               ;   in Loop: Header=BB24_16 Depth=1
	s_or_b64 exec, exec, s[34:35]
	s_and_b64 exec, exec, s[30:31]
	s_cbranch_execz .LBB24_147
; %bb.75:                               ;   in Loop: Header=BB24_16 Depth=1
	v_add_u32_e32 v1, s78, v90
	v_cmp_gt_i32_e32 vcc, s64, v1
	v_mov_b32_e32 v2, 0x47
	s_and_saveexec_b64 s[30:31], vcc
	s_cbranch_execz .LBB24_77
; %bb.76:                               ;   in Loop: Header=BB24_16 Depth=1
	v_add_u32_e32 v6, 0, v110
	ds_read2st64_b32 v[2:3], v6 offset0:1 offset1:18
	ds_read2st64_b32 v[4:5], v111 offset1:17
	ds_read2st64_b32 v[6:7], v6 offset0:35 offset1:52
	ds_read2st64_b32 v[8:9], v111 offset0:34 offset1:51
	v_readlane_b32 s34, v213, 44
	v_mad_u64_u32 v[10:11], s[34:35], s34, v1, v[22:23]
	s_waitcnt lgkmcnt(2)
	v_cvt_f32_f16_sdwa v13, v4 dst_sel:DWORD dst_unused:UNUSED_PAD src0_sel:WORD_1
	v_cvt_f32_f16_e32 v12, v4
	v_cvt_f32_f16_sdwa v15, v5 dst_sel:DWORD dst_unused:UNUSED_PAD src0_sel:WORD_1
	v_cvt_f32_f16_e32 v14, v5
	s_waitcnt lgkmcnt(0)
	v_cvt_f32_f16_sdwa v5, v8 dst_sel:DWORD dst_unused:UNUSED_PAD src0_sel:WORD_1
	v_cvt_f32_f16_e32 v4, v8
	v_pk_fma_f32 v[12:13], v[2:3], v[12:13], 0 op_sel_hi:[0,1,0]
	v_mov_b32_e32 v2, v3
	v_pk_fma_f32 v[2:3], v[2:3], v[14:15], v[12:13] op_sel_hi:[0,1,1]
	v_ashrrev_i32_e32 v11, 31, v10
	v_pk_fma_f32 v[2:3], v[6:7], v[4:5], v[2:3] op_sel_hi:[0,1,1]
	v_cvt_f32_f16_sdwa v5, v9 dst_sel:DWORD dst_unused:UNUSED_PAD src0_sel:WORD_1
	v_cvt_f32_f16_e32 v4, v9
	v_lshlrev_b64 v[10:11], 3, v[10:11]
	v_readlane_b32 s34, v212, 0
	v_add_co_u32_e32 v10, vcc, s34, v10
	v_readlane_b32 s34, v212, 1
	v_mov_b32_e32 v1, s34
	v_mov_b32_e32 v6, v7
	v_addc_co_u32_e32 v11, vcc, v1, v11, vcc
	v_pk_fma_f32 v[2:3], v[6:7], v[4:5], v[2:3] op_sel_hi:[0,1,1]
	global_store_dwordx2 v[10:11], v[2:3], off
	v_mov_b32_e32 v2, 0
.LBB24_77:                              ;   in Loop: Header=BB24_16 Depth=1
	s_or_b64 exec, exec, s[30:31]
	s_movk_i32 s30, 0x47
	v_cmp_gt_i32_e32 vcc, s30, v2
	s_mov_b64 s[30:31], -1
	s_and_saveexec_b64 s[34:35], vcc
; %bb.78:                               ;   in Loop: Header=BB24_16 Depth=1
	v_cmp_eq_u32_e32 vcc, 0, v2
	s_orn2_b64 s[30:31], vcc, exec
; %bb.79:                               ;   in Loop: Header=BB24_16 Depth=1
	s_or_b64 exec, exec, s[34:35]
	s_and_b64 exec, exec, s[30:31]
	;; [unrolled: 52-line block ×6, first 2 shown]
	s_cbranch_execz .LBB24_147
; %bb.100:                              ;   in Loop: Header=BB24_16 Depth=1
	v_add_u32_e32 v1, s78, v95
	v_cmp_gt_i32_e32 vcc, s64, v1
	v_mov_b32_e32 v2, 0x47
	s_and_saveexec_b64 s[30:31], vcc
	s_cbranch_execz .LBB24_102
; %bb.101:                              ;   in Loop: Header=BB24_16 Depth=1
	v_add_u32_e32 v6, 0, v120
	ds_read2st64_b32 v[2:3], v6 offset0:1 offset1:18
	ds_read2st64_b32 v[4:5], v121 offset1:17
	ds_read2st64_b32 v[6:7], v6 offset0:35 offset1:52
	ds_read2st64_b32 v[8:9], v121 offset0:34 offset1:51
	v_readlane_b32 s34, v213, 44
	v_mad_u64_u32 v[10:11], s[34:35], s34, v1, v[22:23]
	s_waitcnt lgkmcnt(2)
	v_cvt_f32_f16_sdwa v13, v4 dst_sel:DWORD dst_unused:UNUSED_PAD src0_sel:WORD_1
	v_cvt_f32_f16_e32 v12, v4
	v_cvt_f32_f16_sdwa v15, v5 dst_sel:DWORD dst_unused:UNUSED_PAD src0_sel:WORD_1
	v_cvt_f32_f16_e32 v14, v5
	s_waitcnt lgkmcnt(0)
	v_cvt_f32_f16_sdwa v5, v8 dst_sel:DWORD dst_unused:UNUSED_PAD src0_sel:WORD_1
	v_cvt_f32_f16_e32 v4, v8
	v_pk_fma_f32 v[12:13], v[2:3], v[12:13], 0 op_sel_hi:[0,1,0]
	v_mov_b32_e32 v2, v3
	v_pk_fma_f32 v[2:3], v[2:3], v[14:15], v[12:13] op_sel_hi:[0,1,1]
	v_ashrrev_i32_e32 v11, 31, v10
	v_pk_fma_f32 v[2:3], v[6:7], v[4:5], v[2:3] op_sel_hi:[0,1,1]
	v_cvt_f32_f16_sdwa v5, v9 dst_sel:DWORD dst_unused:UNUSED_PAD src0_sel:WORD_1
	v_cvt_f32_f16_e32 v4, v9
	v_lshlrev_b64 v[10:11], 3, v[10:11]
	v_readlane_b32 s34, v212, 0
	v_add_co_u32_e32 v10, vcc, s34, v10
	v_readlane_b32 s34, v212, 1
	v_mov_b32_e32 v1, s34
	v_mov_b32_e32 v6, v7
	v_addc_co_u32_e32 v11, vcc, v1, v11, vcc
	v_pk_fma_f32 v[2:3], v[6:7], v[4:5], v[2:3] op_sel_hi:[0,1,1]
	global_store_dwordx2 v[10:11], v[2:3], off
	v_mov_b32_e32 v2, 0
.LBB24_102:                             ;   in Loop: Header=BB24_16 Depth=1
	s_or_b64 exec, exec, s[30:31]
	s_movk_i32 s30, 0x47
	v_cmp_gt_i32_e32 vcc, s30, v2
	s_mov_b64 s[30:31], -1
	s_and_saveexec_b64 s[34:35], vcc
; %bb.103:                              ;   in Loop: Header=BB24_16 Depth=1
	v_cmp_eq_u32_e32 vcc, 0, v2
	s_orn2_b64 s[30:31], vcc, exec
; %bb.104:                              ;   in Loop: Header=BB24_16 Depth=1
	s_or_b64 exec, exec, s[34:35]
	s_and_b64 exec, exec, s[30:31]
	s_cbranch_execz .LBB24_147
; %bb.105:                              ;   in Loop: Header=BB24_16 Depth=1
	v_add_u32_e32 v1, s78, v96
	v_cmp_gt_i32_e32 vcc, s64, v1
	v_mov_b32_e32 v2, 0x47
	s_and_saveexec_b64 s[30:31], vcc
	s_cbranch_execz .LBB24_107
; %bb.106:                              ;   in Loop: Header=BB24_16 Depth=1
	v_add_u32_e32 v6, 0, v122
	ds_read2st64_b32 v[2:3], v6 offset0:1 offset1:18
	ds_read2st64_b32 v[4:5], v123 offset1:17
	ds_read2st64_b32 v[6:7], v6 offset0:35 offset1:52
	ds_read2st64_b32 v[8:9], v123 offset0:34 offset1:51
	v_readlane_b32 s34, v213, 44
	v_mad_u64_u32 v[10:11], s[34:35], s34, v1, v[22:23]
	s_waitcnt lgkmcnt(2)
	v_cvt_f32_f16_sdwa v13, v4 dst_sel:DWORD dst_unused:UNUSED_PAD src0_sel:WORD_1
	v_cvt_f32_f16_e32 v12, v4
	v_cvt_f32_f16_sdwa v15, v5 dst_sel:DWORD dst_unused:UNUSED_PAD src0_sel:WORD_1
	v_cvt_f32_f16_e32 v14, v5
	s_waitcnt lgkmcnt(0)
	v_cvt_f32_f16_sdwa v5, v8 dst_sel:DWORD dst_unused:UNUSED_PAD src0_sel:WORD_1
	v_cvt_f32_f16_e32 v4, v8
	v_pk_fma_f32 v[12:13], v[2:3], v[12:13], 0 op_sel_hi:[0,1,0]
	v_mov_b32_e32 v2, v3
	v_pk_fma_f32 v[2:3], v[2:3], v[14:15], v[12:13] op_sel_hi:[0,1,1]
	v_ashrrev_i32_e32 v11, 31, v10
	v_pk_fma_f32 v[2:3], v[6:7], v[4:5], v[2:3] op_sel_hi:[0,1,1]
	v_cvt_f32_f16_sdwa v5, v9 dst_sel:DWORD dst_unused:UNUSED_PAD src0_sel:WORD_1
	v_cvt_f32_f16_e32 v4, v9
	v_lshlrev_b64 v[10:11], 3, v[10:11]
	v_readlane_b32 s34, v212, 0
	v_add_co_u32_e32 v10, vcc, s34, v10
	v_readlane_b32 s34, v212, 1
	v_mov_b32_e32 v1, s34
	v_mov_b32_e32 v6, v7
	v_addc_co_u32_e32 v11, vcc, v1, v11, vcc
	v_pk_fma_f32 v[2:3], v[6:7], v[4:5], v[2:3] op_sel_hi:[0,1,1]
	global_store_dwordx2 v[10:11], v[2:3], off
	v_mov_b32_e32 v2, 0
.LBB24_107:                             ;   in Loop: Header=BB24_16 Depth=1
	s_or_b64 exec, exec, s[30:31]
	s_movk_i32 s30, 0x47
	v_cmp_gt_i32_e32 vcc, s30, v2
	s_mov_b64 s[30:31], -1
	s_and_saveexec_b64 s[34:35], vcc
; %bb.108:                              ;   in Loop: Header=BB24_16 Depth=1
	v_cmp_eq_u32_e32 vcc, 0, v2
	s_orn2_b64 s[30:31], vcc, exec
; %bb.109:                              ;   in Loop: Header=BB24_16 Depth=1
	s_or_b64 exec, exec, s[34:35]
	s_and_b64 exec, exec, s[30:31]
	;; [unrolled: 52-line block ×9, first 2 shown]
	s_cbranch_execz .LBB24_147
; %bb.145:                              ;   in Loop: Header=BB24_16 Depth=1
	v_add_u32_e32 v1, s78, v104
	v_cmp_gt_i32_e32 vcc, s64, v1
	s_and_b64 exec, exec, vcc
	s_cbranch_execz .LBB24_147
; %bb.146:                              ;   in Loop: Header=BB24_16 Depth=1
	v_add_u32_e32 v6, 0, v138
	ds_read2st64_b32 v[2:3], v6 offset0:1 offset1:18
	ds_read2st64_b32 v[4:5], v139 offset1:17
	ds_read2st64_b32 v[6:7], v6 offset0:35 offset1:52
	ds_read2st64_b32 v[8:9], v139 offset0:34 offset1:51
	v_readlane_b32 s30, v213, 44
	v_mad_u64_u32 v[10:11], s[30:31], s30, v1, v[22:23]
	s_waitcnt lgkmcnt(2)
	v_cvt_f32_f16_sdwa v13, v4 dst_sel:DWORD dst_unused:UNUSED_PAD src0_sel:WORD_1
	v_cvt_f32_f16_e32 v12, v4
	v_cvt_f32_f16_sdwa v15, v5 dst_sel:DWORD dst_unused:UNUSED_PAD src0_sel:WORD_1
	v_cvt_f32_f16_e32 v14, v5
	s_waitcnt lgkmcnt(0)
	v_cvt_f32_f16_sdwa v5, v8 dst_sel:DWORD dst_unused:UNUSED_PAD src0_sel:WORD_1
	v_cvt_f32_f16_e32 v4, v8
	v_pk_fma_f32 v[12:13], v[2:3], v[12:13], 0 op_sel_hi:[0,1,0]
	v_mov_b32_e32 v2, v3
	v_pk_fma_f32 v[2:3], v[2:3], v[14:15], v[12:13] op_sel_hi:[0,1,1]
	v_ashrrev_i32_e32 v11, 31, v10
	v_pk_fma_f32 v[2:3], v[6:7], v[4:5], v[2:3] op_sel_hi:[0,1,1]
	v_cvt_f32_f16_sdwa v5, v9 dst_sel:DWORD dst_unused:UNUSED_PAD src0_sel:WORD_1
	v_cvt_f32_f16_e32 v4, v9
	v_lshlrev_b64 v[10:11], 3, v[10:11]
	v_readlane_b32 s30, v212, 0
	v_add_co_u32_e32 v10, vcc, s30, v10
	v_readlane_b32 s30, v212, 1
	v_mov_b32_e32 v1, s30
	v_mov_b32_e32 v6, v7
	v_addc_co_u32_e32 v11, vcc, v1, v11, vcc
	v_pk_fma_f32 v[2:3], v[6:7], v[4:5], v[2:3] op_sel_hi:[0,1,1]
	global_store_dwordx2 v[10:11], v[2:3], off
.LBB24_147:                             ;   in Loop: Header=BB24_16 Depth=1
	s_or_b64 exec, exec, s[28:29]
	s_barrier
	s_branch .LBB24_15
.LBB24_148:                             ;   in Loop: Header=BB24_16 Depth=1
	s_lshl_b32 s72, s76, 4
	v_add_u32_e32 v181, s72, v69
	v_cmp_le_i32_e32 vcc, s64, v181
	s_and_saveexec_b64 s[28:29], vcc
	s_xor_b64 s[28:29], exec, s[28:29]
	s_cbranch_execz .LBB24_150
; %bb.149:                              ;   in Loop: Header=BB24_16 Depth=1
	ds_write_b32 v107, v157
.LBB24_150:                             ;   in Loop: Header=BB24_16 Depth=1
	s_andn2_saveexec_b64 s[28:29], s[28:29]
	s_cbranch_execz .LBB24_152
; %bb.151:                              ;   in Loop: Header=BB24_16 Depth=1
	v_readlane_b32 s30, v213, 19
	v_mad_u64_u32 v[2:3], s[30:31], v181, s30, v[22:23]
	v_ashrrev_i32_e32 v3, 31, v2
	v_lshlrev_b64 v[2:3], 3, v[2:3]
	v_mov_b32_e32 v1, s25
	v_add_co_u32_e32 v2, vcc, s82, v2
	v_addc_co_u32_e32 v3, vcc, v1, v3, vcc
	global_load_dwordx2 v[2:3], v[2:3], off
	s_waitcnt vmcnt(0)
	v_cvt_f16_f32_e32 v1, v2
	v_cvt_f16_f32_e32 v2, v3
	v_pack_b32_f16 v1, v1, v2
	v_pk_mul_f16 v1, v75, v1
	ds_write_b32 v107, v1
.LBB24_152:                             ;   in Loop: Header=BB24_16 Depth=1
	s_or_b64 exec, exec, s[28:29]
	v_add_u32_e32 v182, s72, v78
	v_cmp_le_i32_e32 vcc, s64, v182
	s_and_saveexec_b64 s[28:29], vcc
	s_xor_b64 s[28:29], exec, s[28:29]
	s_cbranch_execz .LBB24_154
; %bb.153:                              ;   in Loop: Header=BB24_16 Depth=1
	ds_write_b32 v107, v157 offset:1088
.LBB24_154:                             ;   in Loop: Header=BB24_16 Depth=1
	s_andn2_saveexec_b64 s[28:29], s[28:29]
	s_cbranch_execz .LBB24_156
; %bb.155:                              ;   in Loop: Header=BB24_16 Depth=1
	v_readlane_b32 s30, v213, 19
	v_mad_u64_u32 v[2:3], s[30:31], v182, s30, v[22:23]
	v_ashrrev_i32_e32 v3, 31, v2
	v_lshlrev_b64 v[2:3], 3, v[2:3]
	v_mov_b32_e32 v1, s25
	v_add_co_u32_e32 v2, vcc, s82, v2
	v_addc_co_u32_e32 v3, vcc, v1, v3, vcc
	global_load_dwordx2 v[2:3], v[2:3], off
	s_waitcnt vmcnt(0)
	v_cvt_f16_f32_e32 v1, v2
	v_cvt_f16_f32_e32 v2, v3
	v_pack_b32_f16 v1, v1, v2
	v_pk_mul_f16 v1, v75, v1
	ds_write_b32 v107, v1 offset:1088
.LBB24_156:                             ;   in Loop: Header=BB24_16 Depth=1
	s_or_b64 exec, exec, s[28:29]
	v_add_u32_e32 v184, s72, v77
	v_cmp_le_i32_e32 vcc, s64, v184
	s_and_saveexec_b64 s[28:29], vcc
	s_xor_b64 s[28:29], exec, s[28:29]
	s_cbranch_execz .LBB24_158
; %bb.157:                              ;   in Loop: Header=BB24_16 Depth=1
	ds_write_b32 v107, v157 offset:2176
.LBB24_158:                             ;   in Loop: Header=BB24_16 Depth=1
	s_andn2_saveexec_b64 s[28:29], s[28:29]
	s_cbranch_execz .LBB24_160
; %bb.159:                              ;   in Loop: Header=BB24_16 Depth=1
	v_readlane_b32 s30, v213, 19
	v_mad_u64_u32 v[2:3], s[30:31], v184, s30, v[22:23]
	v_ashrrev_i32_e32 v3, 31, v2
	v_lshlrev_b64 v[2:3], 3, v[2:3]
	v_mov_b32_e32 v1, s25
	v_add_co_u32_e32 v2, vcc, s82, v2
	v_addc_co_u32_e32 v3, vcc, v1, v3, vcc
	global_load_dwordx2 v[2:3], v[2:3], off
	s_waitcnt vmcnt(0)
	v_cvt_f16_f32_e32 v1, v2
	v_cvt_f16_f32_e32 v2, v3
	v_pack_b32_f16 v1, v1, v2
	v_pk_mul_f16 v1, v75, v1
	ds_write_b32 v107, v1 offset:2176
.LBB24_160:                             ;   in Loop: Header=BB24_16 Depth=1
	;; [unrolled: 27-line block ×3, first 2 shown]
	s_or_b64 exec, exec, s[28:29]
	s_waitcnt lgkmcnt(0)
	s_barrier
	ds_read2_b64 v[14:17], v79 offset1:4
	ds_read2_b64 v[10:13], v79 offset0:8 offset1:12
	ds_read2_b64 v[6:9], v79 offset0:16 offset1:20
	;; [unrolled: 1-line block ×3, first 2 shown]
	s_mov_b32 s25, 0
	s_cmp_lt_i32 s91, 2
	v_mov_b32_e32 v188, 0
	s_waitcnt lgkmcnt(0)
	s_barrier
	s_cbranch_scc1 .LBB24_173
; %bb.165:                              ;   in Loop: Header=BB24_16 Depth=1
	v_readlane_b32 s28, v213, 10
	v_mul_hi_u32 v18, s28, v182
	v_readlane_b32 s29, v213, 11
	v_add_u32_e32 v18, v182, v18
	v_lshrrev_b32_e32 v18, s29, v18
	v_mul_lo_u32 v18, v18, s64
	v_sub_u32_e32 v20, v182, v18
	v_mul_hi_u32 v18, s28, v184
	v_add_u32_e32 v18, v184, v18
	v_lshrrev_b32_e32 v18, s29, v18
	v_mul_lo_u32 v18, v18, s64
	v_sub_u32_e32 v21, v184, v18
	v_mul_hi_u32 v18, s28, v183
	v_add_u32_e32 v18, v183, v18
	v_lshrrev_b32_e32 v18, s29, v18
	v_mul_lo_u32 v18, v18, s64
	v_sub_u32_e32 v23, v183, v18
	v_and_b32_e32 v18, 64, v156
	v_add_u32_e32 v18, 64, v18
	v_xor_b32_e32 v19, 32, v156
	v_cmp_lt_i32_e32 vcc, v19, v18
	v_cndmask_b32_e32 v19, v156, v19, vcc
	v_mul_hi_u32 v1, s28, v181
	v_lshlrev_b32_e32 v185, 2, v19
	v_xor_b32_e32 v19, 16, v156
	v_add_u32_e32 v1, v181, v1
	v_cmp_lt_i32_e32 vcc, v19, v18
	v_lshrrev_b32_e32 v1, s29, v1
	v_cndmask_b32_e32 v18, v156, v19, vcc
	v_mul_lo_u32 v1, v1, s64
	v_lshlrev_b32_e32 v186, 2, v18
	v_mov_b32_e32 v19, s9
	v_add_co_u32_e32 v18, vcc, s8, v24
	v_readlane_b32 s28, v213, 61
	v_sub_u32_e32 v1, v181, v1
	v_addc_co_u32_e32 v19, vcc, 0, v19, vcc
	v_readlane_b32 s29, v213, 62
	s_mov_b32 s34, s28
	s_add_i32 s25, s91, -1
	v_mad_i64_i32 v[52:53], s[28:29], s34, v23, v[18:19]
	v_mad_i64_i32 v[54:55], s[28:29], s34, v21, v[18:19]
	;; [unrolled: 1-line block ×4, first 2 shown]
	s_cmp_lg_u64 s[8:9], 0
	v_readlane_b32 s28, v212, 2
	s_cselect_b64 s[30:31], -1, 0
	s_add_u32 s23, s28, s23
	s_addc_u32 s22, s98, s22
	v_mov_b32_e32 v1, s22
	v_add_co_u32_e32 v60, vcc, s23, v140
	v_addc_co_u32_e32 v1, vcc, v141, v1, vcc
	v_mov_b32_e32 v18, s22
	v_add_co_u32_e32 v62, vcc, s23, v142
	v_addc_co_u32_e32 v23, vcc, v143, v18, vcc
	v_add_co_u32_e32 v64, vcc, s23, v144
	v_addc_co_u32_e32 v25, vcc, v145, v18, vcc
	v_add_co_u32_e32 v66, vcc, s23, v146
	s_add_u32 s22, s79, s71
	v_addc_co_u32_e32 v27, vcc, v147, v18, vcc
	s_addc_u32 s23, s68, s69
	v_mov_b32_e32 v18, s23
	v_add_co_u32_e32 v68, vcc, s22, v148
	v_addc_co_u32_e32 v47, vcc, v149, v18, vcc
	v_add_co_u32_e32 v70, vcc, s22, v150
	v_addc_co_u32_e32 v61, vcc, v151, v18, vcc
	;; [unrolled: 2-line block ×3, first 2 shown]
	v_add_co_u32_e32 v74, vcc, s22, v154
	v_mov_b32_e32 v187, 0
	v_mov_b32_e32 v50, v48
	;; [unrolled: 1-line block ×3, first 2 shown]
	v_addc_co_u32_e32 v65, vcc, v155, v18, vcc
	v_mov_b32_e32 v203, 0
	v_mov_b32_e32 v204, 0xfeffffff
	s_mov_b32 s22, s25
	v_mov_b32_e32 v202, 0
	v_mov_b32_e32 v201, 0
	;; [unrolled: 1-line block ×15, first 2 shown]
	v_cndmask_b32_e64 v18, 0, 1, s[30:31]
	v_cmp_ne_u32_e64 s[28:29], 1, v18
	s_andn2_b64 vcc, exec, s[30:31]
	s_cbranch_vccnz .LBB24_169
.LBB24_166:                             ;   in Loop: Header=BB24_16 Depth=1
	v_mov_b32_e32 v18, 0
	v_mov_b32_e32 v19, 0
	;; [unrolled: 1-line block ×4, first 2 shown]
	s_and_saveexec_b64 s[34:35], s[4:5]
	s_cbranch_execz .LBB24_168
; %bb.167:                              ;   in Loop: Header=BB24_16 Depth=1
	flat_load_ushort v18, v[58:59]
	flat_load_ushort v19, v[56:57]
	;; [unrolled: 1-line block ×4, first 2 shown]
.LBB24_168:                             ;   in Loop: Header=BB24_16 Depth=1
	s_or_b64 exec, exec, s[34:35]
	s_waitcnt vmcnt(0) lgkmcnt(0)
	ds_write_b16 v80, v18 offset:17408
	ds_write_b16 v158, v19 offset:17408
	;; [unrolled: 1-line block ×4, first 2 shown]
.LBB24_169:                             ;   Parent Loop BB24_16 Depth=1
                                        ; =>  This Inner Loop Header: Depth=2
	v_add_co_u32_e32 v18, vcc, v68, v46
	v_addc_co_u32_e32 v19, vcc, 0, v47, vcc
	v_mov_b32_e32 v49, s75
	v_mov_b32_e32 v205, s74
	buffer_store_dword v157, off, s[0:3], 0
	buffer_store_dword v157, off, s[0:3], 0 offset:4
	buffer_store_dword v157, off, s[0:3], 0 offset:8
	;; [unrolled: 1-line block ×3, first 2 shown]
	v_cndmask_b32_e64 v19, v49, v19, s[6:7]
	v_cndmask_b32_e64 v18, v205, v18, s[6:7]
	flat_load_dwordx4 v[18:21], v[18:19]
	v_add_co_u32_e32 v206, vcc, v70, v46
	v_addc_co_u32_e32 v207, vcc, 0, v61, vcc
	v_cndmask_b32_e64 v207, v49, v207, s[38:39]
	v_cndmask_b32_e64 v206, v205, v206, s[38:39]
	s_waitcnt vmcnt(0) lgkmcnt(0)
	ds_write_b128 v82, v[18:21]
	flat_load_dwordx4 v[18:21], v[206:207]
	v_add_co_u32_e32 v206, vcc, v72, v46
	v_addc_co_u32_e32 v207, vcc, 0, v63, vcc
	v_cndmask_b32_e64 v207, v49, v207, s[10:11]
	v_cndmask_b32_e64 v206, v205, v206, s[10:11]
	s_waitcnt vmcnt(0) lgkmcnt(0)
	ds_write_b128 v162, v[18:21]
	flat_load_dwordx4 v[18:21], v[206:207]
	v_add_co_u32_e32 v206, vcc, v74, v46
	v_addc_co_u32_e32 v207, vcc, 0, v65, vcc
	v_cndmask_b32_e64 v207, v49, v207, s[12:13]
	v_cndmask_b32_e64 v206, v205, v206, s[12:13]
	s_and_b64 vcc, exec, s[28:29]
	s_waitcnt vmcnt(0) lgkmcnt(0)
	ds_write_b128 v164, v[18:21]
	flat_load_dwordx4 v[18:21], v[206:207]
	s_waitcnt vmcnt(0) lgkmcnt(0)
	ds_write_b128 v166, v[18:21]
	s_waitcnt lgkmcnt(0)
	s_barrier
	ds_read2_b64 v[18:21], v83 offset1:4
	s_waitcnt lgkmcnt(0)
	v_mfma_f32_16x16x16f16 v[206:209], v[18:19], v[14:15], 0
	v_mfma_f32_16x16x16f16 v[18:21], v[20:21], v[16:17], v[206:209]
	s_nop 7
	s_nop 1
	ds_read2_b64 v[206:209], v83 offset0:8 offset1:12
	s_waitcnt lgkmcnt(0)
	v_mfma_f32_16x16x16f16 v[18:21], v[206:207], v[10:11], v[18:21]
	v_mfma_f32_16x16x16f16 v[18:21], v[208:209], v[12:13], v[18:21]
	ds_read2_b64 v[206:209], v83 offset0:16 offset1:20
	s_waitcnt lgkmcnt(0)
	v_mfma_f32_16x16x16f16 v[18:21], v[206:207], v[6:7], v[18:21]
	v_mfma_f32_16x16x16f16 v[18:21], v[208:209], v[8:9], v[18:21]
	ds_read2_b64 v[206:209], v83 offset0:24 offset1:28
	s_waitcnt lgkmcnt(0)
	s_barrier
	v_mfma_f32_16x16x16f16 v[18:21], v[206:207], v[2:3], v[18:21]
	v_mfma_f32_16x16x16f16 v[18:21], v[208:209], v[4:5], v[18:21]
	s_cbranch_vccnz .LBB24_171
; %bb.170:                              ;   in Loop: Header=BB24_169 Depth=2
	v_add_u32_e32 v49, 0x4400, v85
	ds_read2_b32 v[206:207], v49 offset1:1
	v_mov_b32_e32 v49, v48
	s_waitcnt lgkmcnt(0)
	v_cvt_f32_f16_e32 v208, v206
	v_cvt_f32_f16_e32 v210, v207
	v_cvt_f32_f16_sdwa v211, v207 dst_sel:DWORD dst_unused:UNUSED_PAD src0_sel:WORD_1
	v_cvt_f32_f16_sdwa v209, v206 dst_sel:DWORD dst_unused:UNUSED_PAD src0_sel:WORD_1
	s_nop 1
	v_pk_fma_f32 v[20:21], v[48:49], v[210:211], v[20:21]
	v_pk_fma_f32 v[18:19], v[50:51], v[208:209], v[18:19]
.LBB24_171:                             ;   in Loop: Header=BB24_169 Depth=2
	v_add_f32_e32 v49, 0x40051340, v18
	v_max_f32_e32 v205, v204, v204
	v_max_f32_e32 v49, v205, v49
	v_cndmask_b32_e64 v49, v204, v49, s[14:15]
	v_add_f32_e32 v205, 0x40051340, v19
	v_max_f32_e32 v206, v49, v49
	v_max_f32_e32 v205, v206, v205
	v_cndmask_b32_e64 v49, v49, v205, s[16:17]
	s_nop 1
	v_add_f32_e32 v205, 0x40051340, v20
	v_max_f32_e32 v206, v49, v49
	v_max_f32_e32 v205, v206, v205
	v_cndmask_b32_e64 v49, v49, v205, s[18:19]
	v_add_f32_e32 v205, 0x40051340, v21
	v_max_f32_e32 v206, v49, v49
	v_max_f32_e32 v205, v206, v205
	v_cndmask_b32_e64 v49, v49, v205, s[20:21]
	ds_bpermute_b32 v205, v185, v49
	v_max_f32_e32 v49, v49, v49
	v_cndmask_b32_e64 v20, v20, v20, s[16:17]
	v_cndmask_b32_e64 v21, v21, v21, s[16:17]
	buffer_store_dword v157, off, s[0:3], 0
	buffer_store_dword v157, off, s[0:3], 0 offset:4
	buffer_store_dword v157, off, s[0:3], 0 offset:8
	;; [unrolled: 1-line block ×3, first 2 shown]
	s_waitcnt lgkmcnt(0)
	v_max_f32_e32 v205, v205, v205
	v_max_f32_e32 v49, v49, v205
	ds_bpermute_b32 v205, v186, v49
	s_add_i32 s22, s22, -1
	s_cmp_lg_u32 s22, 0
	s_waitcnt lgkmcnt(0)
	v_max_f32_e32 v205, v205, v205
	v_max_f32_e32 v49, v49, v205
	v_sub_f32_e32 v18, v18, v49
	v_mul_f32_e32 v205, 0x3fb8aa3b, v18
	v_fma_f32 v206, v18, s65, -v205
	v_rndne_f32_e32 v207, v205
	v_fmac_f32_e32 v206, 0x32a5705f, v18
	v_sub_f32_e32 v205, v205, v207
	v_add_f32_e32 v205, v205, v206
	v_exp_f32_e32 v205, v205
	v_cvt_i32_f32_e32 v206, v207
	v_cmp_ngt_f32_e32 vcc, s26, v18
	v_sub_f32_e32 v19, v19, v49
	v_sub_f32_e32 v20, v20, v49
	v_ldexp_f32 v205, v205, v206
	v_cndmask_b32_e32 v205, 0, v205, vcc
	v_cmp_nlt_f32_e32 vcc, s93, v18
	v_cndmask_b32_e32 v18, v179, v205, vcc
	v_mul_f32_e32 v205, 0x3fb8aa3b, v19
	v_fma_f32 v206, v19, s65, -v205
	v_rndne_f32_e32 v207, v205
	v_fmac_f32_e32 v206, 0x32a5705f, v19
	v_sub_f32_e32 v205, v205, v207
	v_add_f32_e32 v205, v205, v206
	v_exp_f32_e32 v205, v205
	v_cvt_i32_f32_e32 v206, v207
	v_cmp_ngt_f32_e32 vcc, s26, v19
	v_cndmask_b32_e64 v18, 0, v18, s[14:15]
	v_ldexp_f32 v205, v205, v206
	v_cndmask_b32_e32 v205, 0, v205, vcc
	v_cmp_nlt_f32_e32 vcc, s93, v19
	v_cndmask_b32_e32 v205, v179, v205, vcc
	v_add_f32_e32 v206, v205, v18
	v_mov_b32_e32 v19, s99
	v_cndmask_b32_e64 v205, v19, v205, s[16:17]
	v_cndmask_b32_e64 v19, v18, v206, s[16:17]
	v_mul_f32_e32 v206, 0x3fb8aa3b, v20
	v_fma_f32 v207, v20, s65, -v206
	v_rndne_f32_e32 v208, v206
	v_fmac_f32_e32 v207, 0x32a5705f, v20
	v_sub_f32_e32 v206, v206, v208
	v_add_f32_e32 v206, v206, v207
	v_exp_f32_e32 v206, v206
	v_cvt_i32_f32_e32 v207, v208
	v_cmp_ngt_f32_e32 vcc, s26, v20
	v_cvt_f16_f32_e32 v18, v18
	v_ldexp_f32 v206, v206, v207
	v_cndmask_b32_e32 v206, 0, v206, vcc
	v_cmp_nlt_f32_e32 vcc, s93, v20
	v_cndmask_b32_e32 v206, v179, v206, vcc
	v_add_f32_e32 v207, v19, v206
	v_mov_b32_e32 v20, s99
	v_cndmask_b32_e64 v206, v20, v206, s[18:19]
	v_cndmask_b32_e64 v20, v19, v207, s[18:19]
	v_sub_f32_e32 v19, v21, v49
	v_mul_f32_e32 v21, 0x3fb8aa3b, v19
	v_fma_f32 v207, v19, s65, -v21
	v_rndne_f32_e32 v208, v21
	v_fmac_f32_e32 v207, 0x32a5705f, v19
	v_sub_f32_e32 v21, v21, v208
	v_add_f32_e32 v21, v21, v207
	v_exp_f32_e32 v21, v21
	v_cvt_i32_f32_e32 v207, v208
	v_cmp_ngt_f32_e32 vcc, s26, v19
	v_ldexp_f32 v21, v21, v207
	v_cndmask_b32_e32 v21, 0, v21, vcc
	v_cmp_nlt_f32_e32 vcc, s93, v19
	v_cndmask_b32_e32 v21, v179, v21, vcc
	v_mov_b32_e32 v19, s99
	v_add_f32_e32 v207, v20, v21
	v_cndmask_b32_e64 v19, v19, v21, s[20:21]
	v_sub_f32_e32 v21, v204, v49
	v_mul_f32_e32 v204, 0x3fb8aa3b, v21
	v_cndmask_b32_e64 v20, v20, v207, s[20:21]
	v_fma_f32 v207, v21, s65, -v204
	v_rndne_f32_e32 v208, v204
	v_fmac_f32_e32 v207, 0x32a5705f, v21
	v_sub_f32_e32 v204, v204, v208
	v_add_f32_e32 v204, v204, v207
	v_exp_f32_e32 v204, v204
	v_cvt_i32_f32_e32 v207, v208
	v_cmp_ngt_f32_e32 vcc, s26, v21
	v_cvt_f16_f32_e32 v19, v19
	v_ldexp_f32 v204, v204, v207
	v_cndmask_b32_e32 v204, 0, v204, vcc
	v_cmp_nlt_f32_e32 vcc, s93, v21
	v_cndmask_b32_e32 v204, v179, v204, vcc
	v_cmp_le_f32_e32 vcc, s27, v21
	v_cndmask_b32_e32 v21, 0, v204, vcc
	v_fmac_f32_e32 v20, v203, v21
	v_cvt_f16_f32_e32 v21, v21
	v_mov_b32_e32 v207, s74
	v_pk_mul_f16 v189, v21, v189 op_sel_hi:[0,1]
	v_pk_mul_f16 v188, v21, v188 op_sel_hi:[0,1]
	;; [unrolled: 1-line block ×16, first 2 shown]
	v_cvt_f16_f32_e32 v202, v205
	v_pack_b32_f16 v18, v18, v202
	v_cvt_f16_f32_e32 v202, v206
	v_mov_b32_e32 v206, s75
	v_pack_b32_f16 v19, v202, v19
	v_add_co_u32_e32 v202, vcc, v60, v46
	v_addc_co_u32_e32 v203, vcc, 0, v1, vcc
	v_cndmask_b32_e64 v203, v206, v203, s[6:7]
	v_cndmask_b32_e64 v202, v207, v202, s[6:7]
	flat_load_dwordx4 v[202:205], v[202:203]
	s_waitcnt vmcnt(0) lgkmcnt(0)
	ds_write_b128 v82, v[202:205]
	v_add_co_u32_e32 v202, vcc, v62, v46
	v_addc_co_u32_e32 v203, vcc, 0, v23, vcc
	v_cndmask_b32_e64 v203, v206, v203, s[38:39]
	v_cndmask_b32_e64 v202, v207, v202, s[38:39]
	flat_load_dwordx4 v[202:205], v[202:203]
	s_waitcnt vmcnt(0) lgkmcnt(0)
	ds_write_b128 v162, v[202:205]
	;; [unrolled: 7-line block ×3, first 2 shown]
	v_add_co_u32_e32 v202, vcc, v66, v46
	v_addc_co_u32_e32 v203, vcc, 0, v27, vcc
	v_cndmask_b32_e64 v203, v206, v203, s[12:13]
	v_cndmask_b32_e64 v202, v207, v202, s[12:13]
	flat_load_dwordx4 v[202:205], v[202:203]
	v_add_co_u32_e32 v52, vcc, s92, v52
	v_addc_co_u32_e32 v53, vcc, 0, v53, vcc
	v_add_co_u32_e32 v54, vcc, s92, v54
	v_addc_co_u32_e32 v55, vcc, 0, v55, vcc
	;; [unrolled: 2-line block ×4, first 2 shown]
	v_add_co_u32_e32 v60, vcc, s84, v60
	s_waitcnt vmcnt(0) lgkmcnt(0)
	ds_write_b128 v166, v[202:205]
	s_waitcnt lgkmcnt(0)
	s_barrier
	ds_read_u16 v206, v87 offset:272
	ds_read_u16 v207, v87 offset:544
	v_cvt_f32_f16_e32 v204, v188
	v_cvt_f32_f16_sdwa v205, v188 dst_sel:DWORD dst_unused:UNUSED_PAD src0_sel:WORD_1
	ds_read_u16 v188, v88
	ds_read_u16 v208, v88 offset:32
	v_cvt_f32_f16_e32 v202, v189
	v_cvt_f32_f16_sdwa v203, v189 dst_sel:DWORD dst_unused:UNUSED_PAD src0_sel:WORD_1
	s_waitcnt lgkmcnt(1)
	v_perm_b32 v189, v188, v207, s88
	ds_read_u16 v188, v86
	ds_read_u16 v207, v86 offset:32
	s_waitcnt lgkmcnt(1)
	v_perm_b32 v188, v206, v188, s88
	s_nop 1
	v_mfma_f32_16x16x16f16 v[202:205], v[188:189], v[18:19], v[202:205]
	ds_read_u16 v206, v167 offset:272
	ds_read_u16 v209, v167 offset:544
	s_nop 7
	s_nop 0
	v_cvt_f16_f32_e32 v188, v202
	v_cvt_f16_f32_e32 v189, v203
	v_cvt_f16_f32_e32 v202, v204
	v_cvt_f16_f32_e32 v203, v205
	v_cvt_f32_f16_e32 v204, v190
	v_pack_b32_f16 v189, v188, v189
	v_cvt_f32_f16_sdwa v205, v190 dst_sel:DWORD dst_unused:UNUSED_PAD src0_sel:WORD_1
	v_pack_b32_f16 v188, v202, v203
	v_cvt_f32_f16_e32 v202, v191
	v_cvt_f32_f16_sdwa v203, v191 dst_sel:DWORD dst_unused:UNUSED_PAD src0_sel:WORD_1
	s_waitcnt lgkmcnt(0)
	v_perm_b32 v191, v208, v209, s88
	v_perm_b32 v190, v206, v207, s88
	ds_read_u16 v206, v86 offset:64
	ds_read_u16 v207, v168 offset:272
	ds_read_u16 v208, v168 offset:544
	ds_read_u16 v209, v88 offset:64
	v_mfma_f32_16x16x16f16 v[202:205], v[190:191], v[18:19], v[202:205]
	s_nop 7
	s_nop 2
	v_cvt_f16_f32_e32 v190, v202
	v_cvt_f16_f32_e32 v191, v203
	v_cvt_f16_f32_e32 v202, v204
	v_cvt_f16_f32_e32 v203, v205
	v_cvt_f32_f16_e32 v204, v192
	v_pack_b32_f16 v191, v190, v191
	v_cvt_f32_f16_sdwa v205, v192 dst_sel:DWORD dst_unused:UNUSED_PAD src0_sel:WORD_1
	v_pack_b32_f16 v190, v202, v203
	v_cvt_f32_f16_e32 v202, v193
	v_cvt_f32_f16_sdwa v203, v193 dst_sel:DWORD dst_unused:UNUSED_PAD src0_sel:WORD_1
	s_waitcnt lgkmcnt(0)
	v_perm_b32 v193, v209, v208, s88
	v_perm_b32 v192, v207, v206, s88
	ds_read_u16 v206, v86 offset:96
	ds_read_u16 v207, v169 offset:272
	ds_read_u16 v208, v169 offset:544
	ds_read_u16 v209, v88 offset:96
	v_mfma_f32_16x16x16f16 v[202:205], v[192:193], v[18:19], v[202:205]
	;; [unrolled: 20-line block ×6, first 2 shown]
	s_waitcnt lgkmcnt(0)
	v_perm_b32 v207, v209, v207, s88
	v_perm_b32 v206, v208, v206, s88
	s_nop 3
	v_cvt_f32_f16_e32 v204, v21
	v_cvt_f32_f16_sdwa v205, v21 dst_sel:DWORD dst_unused:UNUSED_PAD src0_sel:WORD_1
	s_barrier
	s_nop 0
	v_cvt_f16_f32_e32 v200, v200
	v_cvt_f16_f32_e32 v201, v201
	;; [unrolled: 1-line block ×4, first 2 shown]
	v_pack_b32_f16 v201, v200, v201
	v_pack_b32_f16 v200, v202, v203
	v_cvt_f32_f16_e32 v202, v187
	v_cvt_f32_f16_sdwa v203, v187 dst_sel:DWORD dst_unused:UNUSED_PAD src0_sel:WORD_1
	s_nop 1
	v_mfma_f32_16x16x16f16 v[202:205], v[206:207], v[18:19], v[202:205]
	s_nop 7
	s_nop 2
	v_cvt_f16_f32_e32 v18, v202
	v_cvt_f16_f32_e32 v19, v203
	;; [unrolled: 1-line block ×4, first 2 shown]
	v_pack_b32_f16 v187, v18, v19
	v_mov_b32_e32 v18, s85
	v_addc_co_u32_e32 v1, vcc, v1, v18, vcc
	v_add_co_u32_e32 v62, vcc, s84, v62
	v_addc_co_u32_e32 v23, vcc, v23, v18, vcc
	v_add_co_u32_e32 v64, vcc, s84, v64
	;; [unrolled: 2-line block ×4, first 2 shown]
	v_mov_b32_e32 v18, s95
	v_addc_co_u32_e32 v47, vcc, v47, v18, vcc
	v_add_co_u32_e32 v70, vcc, s94, v70
	v_addc_co_u32_e32 v61, vcc, v61, v18, vcc
	v_add_co_u32_e32 v72, vcc, s94, v72
	;; [unrolled: 2-line block ×3, first 2 shown]
	v_pack_b32_f16 v202, v21, v202
	v_addc_co_u32_e32 v65, vcc, v65, v18, vcc
	s_cbranch_scc0 .LBB24_174
; %bb.172:                              ;   in Loop: Header=BB24_169 Depth=2
	v_mov_b32_e32 v203, v20
	v_mov_b32_e32 v204, v49
	v_cndmask_b32_e64 v18, 0, 1, s[30:31]
	v_cmp_ne_u32_e64 s[28:29], 1, v18
	s_andn2_b64 vcc, exec, s[30:31]
	s_cbranch_vccz .LBB24_166
	s_branch .LBB24_169
.LBB24_173:                             ;   in Loop: Header=BB24_16 Depth=1
	v_mov_b32_e32 v20, 0
	v_mov_b32_e32 v49, 0xfeffffff
	;; [unrolled: 1-line block ×17, first 2 shown]
.LBB24_174:                             ;   in Loop: Header=BB24_16 Depth=1
	s_lshl_b32 s98, s25, 6
	v_readlane_b32 s22, v213, 4
	s_sub_i32 s22, s22, s98
	s_cmp_lg_u64 s[8:9], 0
	s_cselect_b64 s[40:41], -1, 0
	s_cmp_eq_u64 s[8:9], 0
	v_readlane_b32 s23, v213, 5
	s_cbranch_scc1 .LBB24_180
; %bb.175:                              ;   in Loop: Header=BB24_16 Depth=1
	v_cmp_le_i32_e32 vcc, s22, v22
                                        ; implicit-def: $sgpr23
	s_and_saveexec_b64 s[28:29], vcc
	s_xor_b64 s[28:29], exec, s[28:29]
	s_cbranch_execz .LBB24_177
; %bb.176:                              ;   in Loop: Header=BB24_16 Depth=1
	ds_write_b16 v80, v157 offset:17408
	ds_write_b16 v158, v157 offset:17408
	s_mov_b32 s23, 0
                                        ; implicit-def: $vgpr181
                                        ; implicit-def: $vgpr182
                                        ; implicit-def: $vgpr184
                                        ; implicit-def: $vgpr183
.LBB24_177:                             ;   in Loop: Header=BB24_16 Depth=1
	s_or_saveexec_b64 s[28:29], s[28:29]
	v_mov_b32_e32 v1, s23
	v_mov_b32_e32 v18, s23
	s_xor_b64 exec, exec, s[28:29]
	s_cbranch_execz .LBB24_179
; %bb.178:                              ;   in Loop: Header=BB24_16 Depth=1
	s_lshl_b64 s[30:31], s[98:99], 1
	s_add_u32 s8, s8, s30
	s_addc_u32 s9, s9, s31
	v_lshlrev_b32_e32 v1, 1, v22
	v_add_co_u32_e32 v21, vcc, s8, v1
	v_mov_b32_e32 v1, s9
	v_readlane_b32 s30, v213, 10
	v_addc_co_u32_e32 v23, vcc, 0, v1, vcc
	v_mul_hi_u32 v1, s30, v181
	v_readlane_b32 s31, v213, 11
	v_add_u32_e32 v1, v181, v1
	v_lshrrev_b32_e32 v1, s31, v1
	v_mul_lo_u32 v1, v1, s64
	v_readlane_b32 s8, v213, 59
	v_sub_u32_e32 v1, v181, v1
	v_readlane_b32 s9, v213, 60
	s_mov_b32 s34, s8
	v_mad_i64_i32 v[18:19], s[8:9], v1, s34, 0
	v_lshlrev_b64 v[18:19], 1, v[18:19]
	v_add_co_u32_e32 v18, vcc, v21, v18
	v_addc_co_u32_e32 v19, vcc, v23, v19, vcc
	flat_load_ushort v1, v[18:19]
	v_mul_hi_u32 v18, s30, v182
	v_add_u32_e32 v18, v182, v18
	v_lshrrev_b32_e32 v18, s31, v18
	v_mul_lo_u32 v18, v18, s64
	v_sub_u32_e32 v18, v182, v18
	v_mad_i64_i32 v[18:19], s[8:9], v18, s34, 0
	v_lshlrev_b64 v[18:19], 1, v[18:19]
	v_add_co_u32_e32 v18, vcc, v21, v18
	v_addc_co_u32_e32 v19, vcc, v23, v19, vcc
	flat_load_ushort v18, v[18:19]
	s_waitcnt vmcnt(0) lgkmcnt(0)
	ds_write_b16 v80, v1 offset:17408
	ds_write_b16 v158, v18 offset:17408
	v_mul_hi_u32 v1, s30, v184
	v_add_u32_e32 v1, v184, v1
	v_lshrrev_b32_e32 v1, s31, v1
	v_mul_lo_u32 v1, v1, s64
	v_sub_u32_e32 v1, v184, v1
	v_mad_i64_i32 v[18:19], s[8:9], v1, s34, 0
	v_lshlrev_b64 v[18:19], 1, v[18:19]
	v_add_co_u32_e32 v18, vcc, v21, v18
	v_addc_co_u32_e32 v19, vcc, v23, v19, vcc
	flat_load_ushort v1, v[18:19]
	v_mul_hi_u32 v18, s30, v183
	v_add_u32_e32 v18, v183, v18
	v_lshrrev_b32_e32 v18, s31, v18
	v_mul_lo_u32 v18, v18, s64
	v_sub_u32_e32 v18, v183, v18
	v_mad_i64_i32 v[18:19], s[8:9], v18, s34, 0
	v_lshlrev_b64 v[18:19], 1, v[18:19]
	v_add_co_u32_e32 v18, vcc, v21, v18
	v_addc_co_u32_e32 v19, vcc, v23, v19, vcc
	flat_load_ushort v18, v[18:19]
.LBB24_179:                             ;   in Loop: Header=BB24_16 Depth=1
	s_or_b64 exec, exec, s[28:29]
	s_waitcnt vmcnt(0) lgkmcnt(0)
	ds_write_b16 v159, v1 offset:17408
	ds_write_b16 v160, v18 offset:17408
.LBB24_180:                             ;   in Loop: Header=BB24_16 Depth=1
	s_mul_i32 s8, s98, s81
	s_mul_hi_u32 s9, s98, s80
	s_add_i32 s9, s9, s8
	s_mul_i32 s8, s98, s80
	s_lshl_b64 s[8:9], s[8:9], 2
	s_add_u32 s8, s77, s8
	s_addc_u32 s9, s96, s9
	v_mov_b32_e32 v1, s9
	v_add_co_u32_e32 v18, vcc, s8, v38
	v_addc_co_u32_e32 v1, vcc, v1, v39, vcc
	v_lshlrev_b32_e32 v25, 2, v26
	v_add_co_u32_e32 v18, vcc, v18, v25
	v_addc_co_u32_e32 v1, vcc, 0, v1, vcc
	v_mov_b32_e32 v21, s75
	v_cmp_gt_i32_e64 s[36:37], s22, v81
	v_cndmask_b32_e64 v19, v21, v1, s[36:37]
	v_mov_b32_e32 v1, s74
	buffer_store_dword v157, off, s[0:3], 0
	buffer_store_dword v157, off, s[0:3], 0 offset:4
	buffer_store_dword v157, off, s[0:3], 0 offset:8
	;; [unrolled: 1-line block ×3, first 2 shown]
	v_cndmask_b32_e64 v18, v1, v18, s[36:37]
	flat_load_dwordx4 v[50:53], v[18:19]
	v_mov_b32_e32 v18, s9
	v_add_co_u32_e32 v19, vcc, s8, v40
	v_addc_co_u32_e32 v18, vcc, v18, v41, vcc
	v_add_co_u32_e32 v23, vcc, v19, v25
	v_addc_co_u32_e32 v18, vcc, 0, v18, vcc
	v_cmp_gt_i32_e64 s[34:35], s22, v161
	v_cndmask_b32_e64 v19, v21, v18, s[34:35]
	v_cndmask_b32_e64 v18, v1, v23, s[34:35]
	v_cmp_gt_i32_e64 s[30:31], s22, v163
	v_cmp_gt_i32_e64 s[28:29], s22, v165
	s_waitcnt vmcnt(0) lgkmcnt(0)
	ds_write_b128 v82, v[50:53]
	flat_load_dwordx4 v[50:53], v[18:19]
	v_mov_b32_e32 v18, s9
	v_add_co_u32_e32 v19, vcc, s8, v42
	v_addc_co_u32_e32 v18, vcc, v18, v43, vcc
	v_add_co_u32_e32 v23, vcc, v19, v25
	v_addc_co_u32_e32 v18, vcc, 0, v18, vcc
	v_cndmask_b32_e64 v19, v21, v18, s[30:31]
	v_cndmask_b32_e64 v18, v1, v23, s[30:31]
	s_waitcnt vmcnt(0) lgkmcnt(0)
	ds_write_b128 v162, v[50:53]
	flat_load_dwordx4 v[50:53], v[18:19]
	v_mov_b32_e32 v18, s9
	v_add_co_u32_e32 v19, vcc, s8, v44
	v_addc_co_u32_e32 v18, vcc, v18, v45, vcc
	v_add_co_u32_e32 v23, vcc, v19, v25
	v_addc_co_u32_e32 v18, vcc, 0, v18, vcc
	v_cndmask_b32_e64 v19, v21, v18, s[28:29]
	v_cndmask_b32_e64 v18, v1, v23, s[28:29]
	s_andn2_b64 vcc, exec, s[40:41]
	s_waitcnt vmcnt(0) lgkmcnt(0)
	ds_write_b128 v164, v[50:53]
	flat_load_dwordx4 v[50:53], v[18:19]
	s_waitcnt vmcnt(0) lgkmcnt(0)
	ds_write_b128 v166, v[50:53]
	s_waitcnt lgkmcnt(0)
	s_barrier
	ds_read2_b64 v[50:53], v83 offset1:4
	s_waitcnt lgkmcnt(0)
	v_mfma_f32_16x16x16f16 v[54:57], v[50:51], v[14:15], 0
	v_mfma_f32_16x16x16f16 v[14:17], v[52:53], v[16:17], v[54:57]
	ds_read2_b64 v[50:53], v83 offset0:8 offset1:12
	s_waitcnt lgkmcnt(0)
	v_mfma_f32_16x16x16f16 v[14:17], v[50:51], v[10:11], v[14:17]
	v_mfma_f32_16x16x16f16 v[10:13], v[52:53], v[12:13], v[14:17]
	s_nop 7
	s_nop 1
	ds_read2_b64 v[14:17], v83 offset0:16 offset1:20
	s_waitcnt lgkmcnt(0)
	v_mfma_f32_16x16x16f16 v[10:13], v[14:15], v[6:7], v[10:13]
	v_mfma_f32_16x16x16f16 v[6:9], v[16:17], v[8:9], v[10:13]
	s_nop 7
	s_nop 1
	ds_read2_b64 v[10:13], v83 offset0:24 offset1:28
	s_waitcnt lgkmcnt(0)
	v_mfma_f32_16x16x16f16 v[6:9], v[10:11], v[2:3], v[6:9]
	s_barrier
	v_mfma_f32_16x16x16f16 v[2:5], v[12:13], v[4:5], v[6:9]
	s_cbranch_vccnz .LBB24_182
; %bb.181:                              ;   in Loop: Header=BB24_16 Depth=1
	v_add_u32_e32 v1, 0x4400, v85
	s_nop 6
	ds_read2_b32 v[6:7], v1 offset1:1
	s_waitcnt lgkmcnt(0)
	v_cvt_f32_f16_e32 v8, v6
	v_cvt_f32_f16_e32 v10, v7
	v_cvt_f32_f16_sdwa v11, v7 dst_sel:DWORD dst_unused:UNUSED_PAD src0_sel:WORD_1
	v_cvt_f32_f16_sdwa v9, v6 dst_sel:DWORD dst_unused:UNUSED_PAD src0_sel:WORD_1
	v_pk_fma_f32 v[4:5], v[48:49], v[10:11], v[4:5] op_sel_hi:[0,1,1]
	v_pk_fma_f32 v[2:3], v[48:49], v[8:9], v[2:3] op_sel_hi:[0,1,1]
.LBB24_182:                             ;   in Loop: Header=BB24_16 Depth=1
	v_add_f32_e32 v1, 0x40051340, v2
	s_nop 4
	v_max_f32_e32 v6, v49, v49
	v_cmp_gt_u32_e32 vcc, s22, v84
	v_max_f32_e32 v1, v6, v1
	v_cndmask_b32_e32 v1, v49, v1, vcc
	v_add_f32_e32 v6, 0x40051340, v3
	v_max_f32_e32 v7, v1, v1
	v_cmp_gt_u32_e64 s[40:41], s22, v174
	v_max_f32_e32 v6, v7, v6
	v_cndmask_b32_e64 v1, v1, v6, s[40:41]
	v_add_f32_e32 v6, 0x40051340, v4
	v_max_f32_e32 v7, v1, v1
	v_cmp_gt_u32_e64 s[42:43], s22, v175
	v_max_f32_e32 v6, v7, v6
	v_cndmask_b32_e64 v1, v1, v6, s[42:43]
	;; [unrolled: 5-line block ×3, first 2 shown]
	v_and_b32_e32 v6, 64, v156
	v_add_u32_e32 v6, 64, v6
	v_xor_b32_e32 v7, 32, v156
	v_cmp_lt_i32_e64 s[46:47], v7, v6
	v_cndmask_b32_e64 v7, v156, v7, s[46:47]
	v_lshlrev_b32_e32 v19, 2, v7
	ds_bpermute_b32 v7, v19, v1
	v_max_f32_e32 v1, v1, v1
	v_cndmask_b32_e64 v4, v4, v4, s[40:41]
	v_cndmask_b32_e64 v5, v5, v5, s[40:41]
	s_mul_i32 s8, s98, s67
	s_waitcnt lgkmcnt(0)
	v_max_f32_e32 v7, v7, v7
	v_max_f32_e32 v1, v1, v7
	v_xor_b32_e32 v7, 16, v156
	v_cmp_lt_i32_e64 s[46:47], v7, v6
	v_cndmask_b32_e64 v6, v156, v7, s[46:47]
	v_lshlrev_b32_e32 v23, 2, v6
	ds_bpermute_b32 v6, v23, v1
	s_mul_hi_u32 s9, s98, s66
	s_add_i32 s9, s9, s8
	s_mul_i32 s8, s98, s66
	s_lshl_b64 s[8:9], s[8:9], 2
	s_waitcnt lgkmcnt(0)
	v_max_f32_e32 v6, v6, v6
	v_max_f32_e32 v6, v1, v6
	v_sub_f32_e32 v1, v2, v6
	v_mul_f32_e32 v2, 0x3fb8aa3b, v1
	v_fma_f32 v7, v1, s65, -v2
	v_rndne_f32_e32 v8, v2
	v_fmac_f32_e32 v7, 0x32a5705f, v1
	v_sub_f32_e32 v2, v2, v8
	v_add_f32_e32 v2, v2, v7
	v_exp_f32_e32 v2, v2
	v_cvt_i32_f32_e32 v7, v8
	v_cmp_ngt_f32_e64 s[46:47], s26, v1
	s_add_u32 s8, s83, s8
	s_addc_u32 s9, s89, s9
	v_ldexp_f32 v2, v2, v7
	v_cndmask_b32_e64 v2, 0, v2, s[46:47]
	v_cmp_nlt_f32_e64 s[46:47], s93, v1
	v_cndmask_b32_e64 v1, v179, v2, s[46:47]
	v_cndmask_b32_e32 v2, 0, v1, vcc
	v_sub_f32_e32 v1, v3, v6
	v_mul_f32_e32 v3, 0x3fb8aa3b, v1
	v_fma_f32 v7, v1, s65, -v3
	v_rndne_f32_e32 v8, v3
	v_fmac_f32_e32 v7, 0x32a5705f, v1
	v_sub_f32_e32 v3, v3, v8
	v_add_f32_e32 v3, v3, v7
	v_exp_f32_e32 v3, v3
	v_cvt_i32_f32_e32 v7, v8
	v_cmp_ngt_f32_e32 vcc, s26, v1
	v_mov_b32_e32 v52, s75
	buffer_store_dword v157, off, s[0:3], 0
	buffer_store_dword v157, off, s[0:3], 0 offset:4
	buffer_store_dword v157, off, s[0:3], 0 offset:8
	;; [unrolled: 1-line block ×3, first 2 shown]
	v_ldexp_f32 v3, v3, v7
	v_cndmask_b32_e32 v3, 0, v3, vcc
	v_cmp_nlt_f32_e32 vcc, s93, v1
	v_cndmask_b32_e32 v3, v179, v3, vcc
	v_mov_b32_e32 v1, s99
	v_add_f32_e32 v7, v3, v2
	v_cndmask_b32_e64 v27, v1, v3, s[40:41]
	v_sub_f32_e32 v3, v4, v6
	v_mul_f32_e32 v4, 0x3fb8aa3b, v3
	v_cndmask_b32_e64 v1, v2, v7, s[40:41]
	v_fma_f32 v7, v3, s65, -v4
	v_rndne_f32_e32 v8, v4
	v_fmac_f32_e32 v7, 0x32a5705f, v3
	v_sub_f32_e32 v4, v4, v8
	v_add_f32_e32 v4, v4, v7
	v_exp_f32_e32 v4, v4
	v_cvt_i32_f32_e32 v7, v8
	v_cmp_ngt_f32_e32 vcc, s26, v3
	v_cvt_f16_f32_e32 v2, v2
	v_cvt_f16_f32_e32 v27, v27
	v_ldexp_f32 v4, v4, v7
	v_cndmask_b32_e32 v4, 0, v4, vcc
	v_cmp_nlt_f32_e32 vcc, s93, v3
	v_cndmask_b32_e32 v3, v179, v4, vcc
	v_mov_b32_e32 v4, s99
	v_add_f32_e32 v7, v1, v3
	v_cndmask_b32_e64 v47, v4, v3, s[42:43]
	v_sub_f32_e32 v3, v5, v6
	v_mul_f32_e32 v4, 0x3fb8aa3b, v3
	v_cndmask_b32_e64 v1, v1, v7, s[42:43]
	v_fma_f32 v5, v3, s65, -v4
	v_rndne_f32_e32 v7, v4
	v_fmac_f32_e32 v5, 0x32a5705f, v3
	v_sub_f32_e32 v4, v4, v7
	v_add_f32_e32 v4, v4, v5
	v_exp_f32_e32 v4, v4
	v_cvt_i32_f32_e32 v5, v7
	v_cmp_ngt_f32_e32 vcc, s26, v3
	v_pack_b32_f16 v2, v2, v27
	v_cvt_f16_f32_e32 v27, v47
	v_ldexp_f32 v4, v4, v5
	v_cndmask_b32_e32 v4, 0, v4, vcc
	v_cmp_nlt_f32_e32 vcc, s93, v3
	v_cndmask_b32_e32 v4, v179, v4, vcc
	v_add_f32_e32 v5, v1, v4
	v_mov_b32_e32 v3, s99
	v_cndmask_b32_e64 v7, v1, v5, s[44:45]
	v_sub_f32_e32 v1, v49, v6
	v_cndmask_b32_e64 v3, v3, v4, s[44:45]
	v_mul_f32_e32 v4, 0x3fb8aa3b, v1
	v_fma_f32 v5, v1, s65, -v4
	v_rndne_f32_e32 v8, v4
	v_fmac_f32_e32 v5, 0x32a5705f, v1
	v_sub_f32_e32 v4, v4, v8
	v_add_f32_e32 v4, v4, v5
	v_exp_f32_e32 v4, v4
	v_cvt_i32_f32_e32 v5, v8
	v_cvt_f16_f32_e32 v3, v3
	v_cmp_ngt_f32_e32 vcc, s26, v1
	v_mov_b32_e32 v47, s9
	v_ldexp_f32 v4, v4, v5
	v_cndmask_b32_e32 v4, 0, v4, vcc
	v_cmp_nlt_f32_e32 vcc, s93, v1
	v_cndmask_b32_e32 v4, v179, v4, vcc
	v_cmp_le_f32_e32 vcc, s27, v1
	v_cndmask_b32_e32 v1, 0, v4, vcc
	v_pack_b32_f16 v3, v27, v3
	v_add_co_u32_e32 v27, vcc, s8, v30
	v_addc_co_u32_e32 v47, vcc, v47, v31, vcc
	v_add_co_u32_e32 v27, vcc, v27, v25
	v_addc_co_u32_e32 v47, vcc, 0, v47, vcc
	v_cndmask_b32_e64 v49, v52, v47, s[36:37]
	v_mov_b32_e32 v47, s74
	v_cndmask_b32_e64 v48, v47, v27, s[36:37]
	flat_load_dwordx4 v[48:51], v[48:49]
	v_add_co_u32_e32 v27, vcc, s8, v32
	v_fmac_f32_e32 v7, v20, v1
	v_cvt_f16_f32_e32 v20, v1
	v_readlane_b32 s22, v213, 53
	s_cmp_eq_u64 s[86:87], 0
	v_readlane_b32 s23, v213, 54
	v_pk_mul_f16 v1, v20, v188 op_sel_hi:[0,1]
	v_pk_mul_f16 v4, v20, v189 op_sel_hi:[0,1]
	;; [unrolled: 1-line block ×16, first 2 shown]
	s_waitcnt vmcnt(0) lgkmcnt(0)
	ds_write_b128 v82, v[48:51]
	v_mov_b32_e32 v48, s9
	v_addc_co_u32_e32 v48, vcc, v48, v33, vcc
	v_add_co_u32_e32 v27, vcc, v27, v25
	v_addc_co_u32_e32 v48, vcc, 0, v48, vcc
	v_cndmask_b32_e64 v49, v52, v48, s[34:35]
	v_cndmask_b32_e64 v48, v47, v27, s[34:35]
	flat_load_dwordx4 v[48:51], v[48:49]
	v_add_co_u32_e32 v27, vcc, s8, v34
	s_waitcnt vmcnt(0) lgkmcnt(0)
	ds_write_b128 v162, v[48:51]
	v_mov_b32_e32 v48, s9
	v_addc_co_u32_e32 v48, vcc, v48, v35, vcc
	v_add_co_u32_e32 v27, vcc, v27, v25
	v_addc_co_u32_e32 v48, vcc, 0, v48, vcc
	v_cndmask_b32_e64 v49, v52, v48, s[30:31]
	v_cndmask_b32_e64 v48, v47, v27, s[30:31]
	flat_load_dwordx4 v[48:51], v[48:49]
	v_add_co_u32_e32 v27, vcc, s8, v36
	s_waitcnt vmcnt(0) lgkmcnt(0)
	ds_write_b128 v164, v[48:51]
	v_mov_b32_e32 v48, s9
	v_addc_co_u32_e32 v48, vcc, v48, v37, vcc
	v_add_co_u32_e32 v25, vcc, v27, v25
	v_addc_co_u32_e32 v27, vcc, 0, v48, vcc
	v_cndmask_b32_e64 v49, v52, v27, s[28:29]
	v_cndmask_b32_e64 v48, v47, v25, s[28:29]
	flat_load_dwordx4 v[48:51], v[48:49]
	s_cselect_b64 s[8:9], -1, 0
	s_xor_b64 s[22:23], s[22:23], -1
	s_or_b64 s[8:9], s[22:23], s[8:9]
	s_waitcnt vmcnt(0) lgkmcnt(0)
	ds_write_b128 v166, v[48:51]
	s_waitcnt lgkmcnt(0)
	s_barrier
	ds_read_u16 v25, v87 offset:272
	ds_read_u16 v27, v87 offset:544
	v_cvt_f32_f16_e32 v50, v1
	v_cvt_f32_f16_sdwa v51, v1 dst_sel:DWORD dst_unused:UNUSED_PAD src0_sel:WORD_1
	ds_read_u16 v1, v88
	ds_read_u16 v47, v88 offset:32
	v_cvt_f32_f16_e32 v48, v4
	v_cvt_f32_f16_sdwa v49, v4 dst_sel:DWORD dst_unused:UNUSED_PAD src0_sel:WORD_1
	s_waitcnt lgkmcnt(1)
	v_perm_b32 v53, v1, v27, s88
	ds_read_u16 v1, v86
	ds_read_u16 v27, v86 offset:32
	s_waitcnt lgkmcnt(1)
	v_perm_b32 v52, v25, v1, s88
	s_nop 1
	v_mfma_f32_16x16x16f16 v[48:51], v[52:53], v[2:3], v[48:51]
	s_nop 7
	s_nop 2
	v_cvt_f16_f32_e32 v1, v48
	v_cvt_f16_f32_e32 v4, v49
	v_cvt_f16_f32_e32 v25, v50
	v_cvt_f16_f32_e32 v48, v51
	v_cvt_f32_f16_sdwa v49, v8 dst_sel:DWORD dst_unused:UNUSED_PAD src0_sel:WORD_1
	v_pack_b32_f16 v4, v1, v4
	v_cvt_f32_f16_e32 v50, v5
	v_pack_b32_f16 v1, v25, v48
	ds_read_u16 v25, v167 offset:272
	ds_read_u16 v52, v167 offset:544
	v_cvt_f32_f16_e32 v48, v8
	v_cvt_f32_f16_sdwa v51, v5 dst_sel:DWORD dst_unused:UNUSED_PAD src0_sel:WORD_1
	s_waitcnt lgkmcnt(0)
	v_perm_b32 v53, v47, v52, s88
	v_perm_b32 v52, v25, v27, s88
	s_nop 1
	v_mfma_f32_16x16x16f16 v[48:51], v[52:53], v[2:3], v[48:51]
	s_nop 7
	s_nop 2
	v_cvt_f16_f32_e32 v5, v48
	v_cvt_f16_f32_e32 v8, v49
	v_cvt_f16_f32_e32 v25, v50
	v_cvt_f16_f32_e32 v27, v51
	v_cvt_f32_f16_e32 v48, v10
	v_pack_b32_f16 v8, v5, v8
	v_cvt_f32_f16_sdwa v49, v10 dst_sel:DWORD dst_unused:UNUSED_PAD src0_sel:WORD_1
	v_pack_b32_f16 v5, v25, v27
	ds_read_u16 v25, v86 offset:64
	ds_read_u16 v27, v168 offset:272
	ds_read_u16 v47, v168 offset:544
	ds_read_u16 v52, v88 offset:64
	v_cvt_f32_f16_e32 v50, v9
	v_cvt_f32_f16_sdwa v51, v9 dst_sel:DWORD dst_unused:UNUSED_PAD src0_sel:WORD_1
	s_waitcnt lgkmcnt(0)
	v_perm_b32 v53, v52, v47, s88
	v_perm_b32 v52, v27, v25, s88
	s_nop 1
	v_mfma_f32_16x16x16f16 v[48:51], v[52:53], v[2:3], v[48:51]
	s_nop 7
	s_nop 2
	v_cvt_f16_f32_e32 v9, v48
	v_cvt_f16_f32_e32 v10, v49
	v_cvt_f16_f32_e32 v25, v50
	v_cvt_f16_f32_e32 v27, v51
	v_cvt_f32_f16_e32 v48, v12
	v_pack_b32_f16 v10, v9, v10
	v_cvt_f32_f16_sdwa v49, v12 dst_sel:DWORD dst_unused:UNUSED_PAD src0_sel:WORD_1
	v_pack_b32_f16 v9, v25, v27
	ds_read_u16 v25, v86 offset:96
	ds_read_u16 v27, v169 offset:272
	;; [unrolled: 21-line block ×6, first 2 shown]
	ds_read_u16 v47, v173 offset:544
	ds_read_u16 v52, v88 offset:224
	v_cvt_f32_f16_e32 v50, v20
	v_cvt_f32_f16_sdwa v51, v20 dst_sel:DWORD dst_unused:UNUSED_PAD src0_sel:WORD_1
	s_waitcnt lgkmcnt(2)
	v_perm_b32 v20, v27, v25, s88
	s_waitcnt lgkmcnt(0)
	v_perm_b32 v21, v52, v47, s88
	s_barrier
	s_nop 0
	v_mfma_f32_16x16x16f16 v[48:51], v[20:21], v[2:3], v[48:51]
	s_nop 7
	s_nop 2
	v_cvt_f16_f32_e32 v2, v48
	v_cvt_f16_f32_e32 v3, v49
	;; [unrolled: 1-line block ×4, first 2 shown]
	v_pack_b32_f16 v2, v2, v3
	v_pack_b32_f16 v3, v20, v21
	ds_bpermute_b32 v20, v19, v7
	s_waitcnt lgkmcnt(0)
	v_add_f32_e32 v7, v7, v20
	ds_bpermute_b32 v20, v23, v7
	s_waitcnt lgkmcnt(0)
	v_add_f32_e32 v7, v7, v20
	s_and_saveexec_b64 s[22:23], s[8:9]
	s_xor_b64 s[8:9], exec, s[22:23]
	s_andn2_saveexec_b64 s[8:9], s[8:9]
	s_cbranch_execz .LBB24_184
; %bb.183:                              ;   in Loop: Header=BB24_16 Depth=1
	global_load_dword v21, v157, s[86:87]
	v_max_f32_e32 v25, v6, v6
	s_waitcnt vmcnt(0)
	v_max_f32_e32 v20, v21, v21
	v_max_f32_e32 v20, v25, v20
	v_sub_f32_e32 v6, v6, v20
	v_mul_f32_e32 v25, 0x3fb8aa3b, v6
	v_fma_f32 v27, v6, s65, -v25
	v_rndne_f32_e32 v47, v25
	v_fmac_f32_e32 v27, 0x32a5705f, v6
	v_sub_f32_e32 v25, v25, v47
	v_add_f32_e32 v25, v25, v27
	v_exp_f32_e32 v25, v25
	v_cvt_i32_f32_e32 v27, v47
	v_cmp_ngt_f32_e32 vcc, s26, v6
	v_sub_f32_e32 v21, v21, v20
	v_ldexp_f32 v25, v25, v27
	v_cndmask_b32_e32 v25, 0, v25, vcc
	v_cmp_nlt_f32_e32 vcc, s93, v6
	v_cndmask_b32_e32 v25, v179, v25, vcc
	v_cmp_le_f32_e32 vcc, s27, v6
	v_cndmask_b32_e32 v6, 0, v25, vcc
	v_cvt_f16_f32_e32 v25, v6
	v_cmp_ngt_f32_e32 vcc, s26, v21
	v_pk_mul_f16 v4, v25, v4 op_sel_hi:[0,1]
	v_pk_mul_f16 v1, v25, v1 op_sel_hi:[0,1]
	;; [unrolled: 1-line block ×16, first 2 shown]
	v_mul_f32_e32 v25, 0x3fb8aa3b, v21
	v_fma_f32 v27, v21, s65, -v25
	v_rndne_f32_e32 v47, v25
	v_fmac_f32_e32 v27, 0x32a5705f, v21
	v_sub_f32_e32 v25, v25, v47
	v_add_f32_e32 v25, v25, v27
	v_exp_f32_e32 v25, v25
	v_cvt_i32_f32_e32 v27, v47
	v_ldexp_f32 v25, v25, v27
	v_cndmask_b32_e32 v25, 0, v25, vcc
	v_cmp_nlt_f32_e32 vcc, s93, v21
	v_cndmask_b32_e32 v21, v179, v25, vcc
	v_fmac_f32_e32 v21, v7, v6
	v_pk_mov_b32 v[6:7], v[20:21], v[20:21] op_sel:[0,1]
.LBB24_184:                             ;   in Loop: Header=BB24_16 Depth=1
	s_or_b64 exec, exec, s[8:9]
	s_mov_b64 s[8:9], exec
	v_readlane_b32 s22, v213, 57
	v_readlane_b32 s23, v213, 58
	s_and_b64 s[22:23], s[8:9], s[22:23]
	s_mov_b64 exec, s[22:23]
	s_cbranch_execz .LBB24_186
; %bb.185:                              ;   in Loop: Header=BB24_16 Depth=1
	v_add_u32_e32 v20, 0, v105
	ds_write2_b32 v20, v6, v7 offset0:64 offset1:65
.LBB24_186:                             ;   in Loop: Header=BB24_16 Depth=1
	s_or_b64 exec, exec, s[8:9]
	s_waitcnt lgkmcnt(0)
	s_barrier
	s_mov_b64 s[8:9], exec
	v_readlane_b32 s22, v213, 55
	v_readlane_b32 s23, v213, 56
	s_and_b64 s[22:23], s[8:9], s[22:23]
	s_xor_b64 s[8:9], s[22:23], s[8:9]
	s_mov_b64 exec, s[22:23]
	s_cbranch_execz .LBB24_188
; %bb.187:                              ;   in Loop: Header=BB24_16 Depth=1
	s_barrier
	s_waitcnt lgkmcnt(0)
                                        ; implicit-def: $vgpr19
                                        ; implicit-def: $vgpr23
.LBB24_188:                             ;   in Loop: Header=BB24_16 Depth=1
	s_andn2_saveexec_b64 s[8:9], s[8:9]
	s_cbranch_execz .LBB24_190
; %bb.189:                              ;   in Loop: Header=BB24_16 Depth=1
	v_add_u32_e32 v20, 0, v105
	ds_read_b64 v[6:7], v20 offset:256
	s_waitcnt lgkmcnt(0)
	s_barrier
	ds_bpermute_b32 v21, v19, v6
	v_max_f32_e32 v25, v6, v6
	s_waitcnt lgkmcnt(0)
	v_max_f32_e32 v21, v21, v21
	v_max_f32_e32 v21, v25, v21
	ds_bpermute_b32 v25, v23, v21
	s_waitcnt lgkmcnt(0)
	v_max_f32_e32 v25, v25, v25
	v_max_f32_e32 v21, v21, v25
	v_sub_f32_e32 v6, v6, v21
	v_mul_f32_e32 v21, 0x3fb8aa3b, v6
	v_fma_f32 v25, v6, s65, -v21
	v_rndne_f32_e32 v27, v21
	v_fmac_f32_e32 v25, 0x32a5705f, v6
	v_sub_f32_e32 v21, v21, v27
	v_add_f32_e32 v21, v21, v25
	v_cvt_i32_f32_e32 v27, v27
	v_exp_f32_e32 v21, v21
	v_cmp_ngt_f32_e32 vcc, s26, v6
	v_ldexp_f32 v21, v21, v27
	v_cndmask_b32_e32 v21, 0, v21, vcc
	v_cmp_nlt_f32_e32 vcc, s93, v6
	v_cndmask_b32_e32 v6, v179, v21, vcc
	v_mul_f32_e32 v21, v7, v6
	ds_bpermute_b32 v19, v19, v21
	s_waitcnt lgkmcnt(0)
	v_fmac_f32_e32 v19, v7, v6
	ds_bpermute_b32 v7, v23, v19
	s_waitcnt lgkmcnt(0)
	v_add_f32_e32 v7, v19, v7
	ds_write_b64 v20, v[6:7] offset:256
.LBB24_190:                             ;   in Loop: Header=BB24_16 Depth=1
	s_or_b64 exec, exec, s[8:9]
	ds_write2_b32 v106, v4, v1 offset1:1
	ds_write2_b32 v106, v8, v5 offset0:8 offset1:9
	ds_write2_b32 v106, v10, v9 offset0:16 offset1:17
	;; [unrolled: 1-line block ×7, first 2 shown]
	s_waitcnt lgkmcnt(0)
	s_barrier
	s_mov_b64 s[8:9], exec
	v_readlane_b32 s22, v213, 53
	v_readlane_b32 s23, v213, 54
	s_and_b64 s[22:23], s[8:9], s[22:23]
	s_mov_b64 exec, s[22:23]
	s_cbranch_execz .LBB24_14
; %bb.191:                              ;   in Loop: Header=BB24_16 Depth=1
	v_add_u32_e32 v1, s72, v89
	v_cmp_gt_i32_e32 vcc, s64, v1
	v_mov_b32_e32 v2, 0x47
	s_and_saveexec_b64 s[28:29], vcc
	s_cbranch_execz .LBB24_193
; %bb.192:                              ;   in Loop: Header=BB24_16 Depth=1
	v_add_u32_e32 v10, 0, v108
	ds_read2_b32 v[2:3], v10 offset0:64 offset1:65
	ds_read2st64_b32 v[4:5], v109 offset1:17
	ds_read2st64_b32 v[6:7], v10 offset0:18 offset1:35
	ds_read2st64_b32 v[8:9], v109 offset0:34 offset1:51
	ds_read_b32 v10, v10 offset:13312
	v_readlane_b32 s22, v213, 44
	s_waitcnt lgkmcnt(3)
	v_cvt_f32_f16_sdwa v15, v4 dst_sel:DWORD dst_unused:UNUSED_PAD src0_sel:WORD_1
	v_cvt_f32_f16_e32 v14, v4
	v_cvt_f32_f16_sdwa v17, v5 dst_sel:DWORD dst_unused:UNUSED_PAD src0_sel:WORD_1
	v_cvt_f32_f16_e32 v16, v5
	v_mad_u64_u32 v[12:13], s[22:23], s22, v1, v[22:23]
	v_pk_fma_f32 v[14:15], v[2:3], v[14:15], 0 op_sel_hi:[0,1,0]
	s_waitcnt lgkmcnt(2)
	v_pk_fma_f32 v[4:5], v[6:7], v[16:17], v[14:15] op_sel_hi:[0,1,1]
	s_waitcnt lgkmcnt(1)
	v_cvt_f32_f16_sdwa v15, v8 dst_sel:DWORD dst_unused:UNUSED_PAD src0_sel:WORD_1
	v_cvt_f32_f16_e32 v14, v8
	v_mov_b32_e32 v2, v7
	v_cvt_f32_f16_sdwa v7, v9 dst_sel:DWORD dst_unused:UNUSED_PAD src0_sel:WORD_1
	v_cvt_f32_f16_e32 v6, v9
	v_ashrrev_i32_e32 v13, 31, v12
	v_lshlrev_b64 v[12:13], 3, v[12:13]
	v_readlane_b32 s22, v212, 0
	v_add_co_u32_e32 v12, vcc, s22, v12
	v_readlane_b32 s22, v212, 1
	v_pk_fma_f32 v[4:5], v[2:3], v[14:15], v[4:5] op_sel_hi:[0,1,1]
	v_mov_b32_e32 v1, s22
	s_waitcnt lgkmcnt(0)
	v_pk_fma_f32 v[4:5], v[10:11], v[6:7], v[4:5] op_sel_hi:[0,1,1]
	v_addc_co_u32_e32 v13, vcc, v1, v13, vcc
	v_div_scale_f32 v1, s[22:23], v3, v3, v5
	v_rcp_f32_e32 v2, v1
	v_fma_f32 v6, -v1, v2, 1.0
	v_fmac_f32_e32 v2, v6, v2
	v_div_scale_f32 v6, vcc, v5, v3, v5
	v_mul_f32_e32 v7, v6, v2
	v_fma_f32 v8, -v1, v7, v6
	v_fmac_f32_e32 v7, v8, v2
	v_fma_f32 v1, -v1, v7, v6
	v_div_fmas_f32 v1, v1, v2, v7
	v_div_fixup_f32 v5, v1, v3, v5
	v_div_scale_f32 v1, s[22:23], v3, v3, v4
	v_rcp_f32_e32 v2, v1
	v_fma_f32 v6, -v1, v2, 1.0
	v_fmac_f32_e32 v2, v6, v2
	v_div_scale_f32 v6, vcc, v4, v3, v4
	v_mul_f32_e32 v7, v6, v2
	v_fma_f32 v8, -v1, v7, v6
	v_fmac_f32_e32 v7, v8, v2
	v_fma_f32 v1, -v1, v7, v6
	v_div_fmas_f32 v1, v1, v2, v7
	v_div_fixup_f32 v4, v1, v3, v4
	v_mov_b32_e32 v2, 0
	global_store_dwordx2 v[12:13], v[4:5], off
.LBB24_193:                             ;   in Loop: Header=BB24_16 Depth=1
	s_or_b64 exec, exec, s[28:29]
	s_movk_i32 s22, 0x47
	v_cmp_gt_i32_e32 vcc, s22, v2
	s_mov_b64 s[28:29], -1
	s_and_saveexec_b64 s[30:31], vcc
; %bb.194:                              ;   in Loop: Header=BB24_16 Depth=1
	v_cmp_eq_u32_e32 vcc, 0, v2
	s_orn2_b64 s[28:29], vcc, exec
; %bb.195:                              ;   in Loop: Header=BB24_16 Depth=1
	s_or_b64 exec, exec, s[30:31]
	s_and_b64 exec, exec, s[28:29]
	s_cbranch_execz .LBB24_14
; %bb.196:                              ;   in Loop: Header=BB24_16 Depth=1
	v_add_u32_e32 v1, s72, v90
	v_cmp_gt_i32_e32 vcc, s64, v1
	v_mov_b32_e32 v2, 0x47
	s_and_saveexec_b64 s[28:29], vcc
	s_cbranch_execz .LBB24_198
; %bb.197:                              ;   in Loop: Header=BB24_16 Depth=1
	v_add_u32_e32 v10, 0, v110
	ds_read2_b32 v[2:3], v10 offset0:64 offset1:65
	ds_read2st64_b32 v[4:5], v111 offset1:17
	ds_read2st64_b32 v[6:7], v10 offset0:18 offset1:35
	ds_read2st64_b32 v[8:9], v111 offset0:34 offset1:51
	ds_read_b32 v10, v10 offset:13312
	v_readlane_b32 s22, v213, 44
	s_waitcnt lgkmcnt(3)
	v_cvt_f32_f16_sdwa v15, v4 dst_sel:DWORD dst_unused:UNUSED_PAD src0_sel:WORD_1
	v_cvt_f32_f16_e32 v14, v4
	v_cvt_f32_f16_sdwa v17, v5 dst_sel:DWORD dst_unused:UNUSED_PAD src0_sel:WORD_1
	v_cvt_f32_f16_e32 v16, v5
	v_mad_u64_u32 v[12:13], s[22:23], s22, v1, v[22:23]
	v_pk_fma_f32 v[14:15], v[2:3], v[14:15], 0 op_sel_hi:[0,1,0]
	s_waitcnt lgkmcnt(2)
	v_pk_fma_f32 v[4:5], v[6:7], v[16:17], v[14:15] op_sel_hi:[0,1,1]
	s_waitcnt lgkmcnt(1)
	v_cvt_f32_f16_sdwa v15, v8 dst_sel:DWORD dst_unused:UNUSED_PAD src0_sel:WORD_1
	v_cvt_f32_f16_e32 v14, v8
	v_mov_b32_e32 v2, v7
	v_cvt_f32_f16_sdwa v7, v9 dst_sel:DWORD dst_unused:UNUSED_PAD src0_sel:WORD_1
	v_cvt_f32_f16_e32 v6, v9
	v_ashrrev_i32_e32 v13, 31, v12
	v_lshlrev_b64 v[12:13], 3, v[12:13]
	v_readlane_b32 s22, v212, 0
	v_add_co_u32_e32 v12, vcc, s22, v12
	v_readlane_b32 s22, v212, 1
	v_pk_fma_f32 v[4:5], v[2:3], v[14:15], v[4:5] op_sel_hi:[0,1,1]
	v_mov_b32_e32 v1, s22
	s_waitcnt lgkmcnt(0)
	v_pk_fma_f32 v[4:5], v[10:11], v[6:7], v[4:5] op_sel_hi:[0,1,1]
	v_addc_co_u32_e32 v13, vcc, v1, v13, vcc
	v_div_scale_f32 v1, s[22:23], v3, v3, v5
	v_rcp_f32_e32 v2, v1
	v_fma_f32 v6, -v1, v2, 1.0
	v_fmac_f32_e32 v2, v6, v2
	v_div_scale_f32 v6, vcc, v5, v3, v5
	v_mul_f32_e32 v7, v6, v2
	v_fma_f32 v8, -v1, v7, v6
	v_fmac_f32_e32 v7, v8, v2
	v_fma_f32 v1, -v1, v7, v6
	v_div_fmas_f32 v1, v1, v2, v7
	v_div_fixup_f32 v5, v1, v3, v5
	v_div_scale_f32 v1, s[22:23], v3, v3, v4
	v_rcp_f32_e32 v2, v1
	v_fma_f32 v6, -v1, v2, 1.0
	v_fmac_f32_e32 v2, v6, v2
	v_div_scale_f32 v6, vcc, v4, v3, v4
	v_mul_f32_e32 v7, v6, v2
	v_fma_f32 v8, -v1, v7, v6
	v_fmac_f32_e32 v7, v8, v2
	v_fma_f32 v1, -v1, v7, v6
	v_div_fmas_f32 v1, v1, v2, v7
	v_div_fixup_f32 v4, v1, v3, v4
	v_mov_b32_e32 v2, 0
	global_store_dwordx2 v[12:13], v[4:5], off
.LBB24_198:                             ;   in Loop: Header=BB24_16 Depth=1
	s_or_b64 exec, exec, s[28:29]
	s_movk_i32 s22, 0x47
	v_cmp_gt_i32_e32 vcc, s22, v2
	s_mov_b64 s[28:29], -1
	s_and_saveexec_b64 s[30:31], vcc
; %bb.199:                              ;   in Loop: Header=BB24_16 Depth=1
	v_cmp_eq_u32_e32 vcc, 0, v2
	s_orn2_b64 s[28:29], vcc, exec
; %bb.200:                              ;   in Loop: Header=BB24_16 Depth=1
	s_or_b64 exec, exec, s[30:31]
	s_and_b64 exec, exec, s[28:29]
	s_cbranch_execz .LBB24_14
; %bb.201:                              ;   in Loop: Header=BB24_16 Depth=1
	v_add_u32_e32 v1, s72, v91
	v_cmp_gt_i32_e32 vcc, s64, v1
	v_mov_b32_e32 v2, 0x47
	s_and_saveexec_b64 s[28:29], vcc
	s_cbranch_execz .LBB24_203
; %bb.202:                              ;   in Loop: Header=BB24_16 Depth=1
	v_add_u32_e32 v10, 0, v112
	ds_read2_b32 v[2:3], v10 offset0:64 offset1:65
	ds_read2st64_b32 v[4:5], v113 offset1:17
	ds_read2st64_b32 v[6:7], v10 offset0:18 offset1:35
	ds_read2st64_b32 v[8:9], v113 offset0:34 offset1:51
	ds_read_b32 v10, v10 offset:13312
	v_readlane_b32 s22, v213, 44
	s_waitcnt lgkmcnt(3)
	v_cvt_f32_f16_sdwa v15, v4 dst_sel:DWORD dst_unused:UNUSED_PAD src0_sel:WORD_1
	v_cvt_f32_f16_e32 v14, v4
	v_cvt_f32_f16_sdwa v17, v5 dst_sel:DWORD dst_unused:UNUSED_PAD src0_sel:WORD_1
	v_cvt_f32_f16_e32 v16, v5
	v_mad_u64_u32 v[12:13], s[22:23], s22, v1, v[22:23]
	v_pk_fma_f32 v[14:15], v[2:3], v[14:15], 0 op_sel_hi:[0,1,0]
	s_waitcnt lgkmcnt(2)
	v_pk_fma_f32 v[4:5], v[6:7], v[16:17], v[14:15] op_sel_hi:[0,1,1]
	s_waitcnt lgkmcnt(1)
	v_cvt_f32_f16_sdwa v15, v8 dst_sel:DWORD dst_unused:UNUSED_PAD src0_sel:WORD_1
	v_cvt_f32_f16_e32 v14, v8
	v_mov_b32_e32 v2, v7
	v_cvt_f32_f16_sdwa v7, v9 dst_sel:DWORD dst_unused:UNUSED_PAD src0_sel:WORD_1
	v_cvt_f32_f16_e32 v6, v9
	v_ashrrev_i32_e32 v13, 31, v12
	v_lshlrev_b64 v[12:13], 3, v[12:13]
	v_readlane_b32 s22, v212, 0
	v_add_co_u32_e32 v12, vcc, s22, v12
	v_readlane_b32 s22, v212, 1
	v_pk_fma_f32 v[4:5], v[2:3], v[14:15], v[4:5] op_sel_hi:[0,1,1]
	v_mov_b32_e32 v1, s22
	s_waitcnt lgkmcnt(0)
	v_pk_fma_f32 v[4:5], v[10:11], v[6:7], v[4:5] op_sel_hi:[0,1,1]
	v_addc_co_u32_e32 v13, vcc, v1, v13, vcc
	v_div_scale_f32 v1, s[22:23], v3, v3, v5
	v_rcp_f32_e32 v2, v1
	v_fma_f32 v6, -v1, v2, 1.0
	v_fmac_f32_e32 v2, v6, v2
	v_div_scale_f32 v6, vcc, v5, v3, v5
	v_mul_f32_e32 v7, v6, v2
	v_fma_f32 v8, -v1, v7, v6
	v_fmac_f32_e32 v7, v8, v2
	v_fma_f32 v1, -v1, v7, v6
	v_div_fmas_f32 v1, v1, v2, v7
	v_div_fixup_f32 v5, v1, v3, v5
	v_div_scale_f32 v1, s[22:23], v3, v3, v4
	v_rcp_f32_e32 v2, v1
	v_fma_f32 v6, -v1, v2, 1.0
	v_fmac_f32_e32 v2, v6, v2
	v_div_scale_f32 v6, vcc, v4, v3, v4
	v_mul_f32_e32 v7, v6, v2
	v_fma_f32 v8, -v1, v7, v6
	v_fmac_f32_e32 v7, v8, v2
	v_fma_f32 v1, -v1, v7, v6
	v_div_fmas_f32 v1, v1, v2, v7
	v_div_fixup_f32 v4, v1, v3, v4
	v_mov_b32_e32 v2, 0
	global_store_dwordx2 v[12:13], v[4:5], off
.LBB24_203:                             ;   in Loop: Header=BB24_16 Depth=1
	s_or_b64 exec, exec, s[28:29]
	s_movk_i32 s22, 0x47
	v_cmp_gt_i32_e32 vcc, s22, v2
	s_mov_b64 s[28:29], -1
	s_and_saveexec_b64 s[30:31], vcc
; %bb.204:                              ;   in Loop: Header=BB24_16 Depth=1
	v_cmp_eq_u32_e32 vcc, 0, v2
	s_orn2_b64 s[28:29], vcc, exec
; %bb.205:                              ;   in Loop: Header=BB24_16 Depth=1
	s_or_b64 exec, exec, s[30:31]
	s_and_b64 exec, exec, s[28:29]
	s_cbranch_execz .LBB24_14
; %bb.206:                              ;   in Loop: Header=BB24_16 Depth=1
	v_add_u32_e32 v1, s72, v92
	v_cmp_gt_i32_e32 vcc, s64, v1
	v_mov_b32_e32 v2, 0x47
	s_and_saveexec_b64 s[28:29], vcc
	s_cbranch_execz .LBB24_208
; %bb.207:                              ;   in Loop: Header=BB24_16 Depth=1
	v_add_u32_e32 v10, 0, v114
	ds_read2_b32 v[2:3], v10 offset0:64 offset1:65
	ds_read2st64_b32 v[4:5], v115 offset1:17
	ds_read2st64_b32 v[6:7], v10 offset0:18 offset1:35
	ds_read2st64_b32 v[8:9], v115 offset0:34 offset1:51
	ds_read_b32 v10, v10 offset:13312
	v_readlane_b32 s22, v213, 44
	s_waitcnt lgkmcnt(3)
	v_cvt_f32_f16_sdwa v15, v4 dst_sel:DWORD dst_unused:UNUSED_PAD src0_sel:WORD_1
	v_cvt_f32_f16_e32 v14, v4
	v_cvt_f32_f16_sdwa v17, v5 dst_sel:DWORD dst_unused:UNUSED_PAD src0_sel:WORD_1
	v_cvt_f32_f16_e32 v16, v5
	v_mad_u64_u32 v[12:13], s[22:23], s22, v1, v[22:23]
	v_pk_fma_f32 v[14:15], v[2:3], v[14:15], 0 op_sel_hi:[0,1,0]
	s_waitcnt lgkmcnt(2)
	v_pk_fma_f32 v[4:5], v[6:7], v[16:17], v[14:15] op_sel_hi:[0,1,1]
	s_waitcnt lgkmcnt(1)
	v_cvt_f32_f16_sdwa v15, v8 dst_sel:DWORD dst_unused:UNUSED_PAD src0_sel:WORD_1
	v_cvt_f32_f16_e32 v14, v8
	v_mov_b32_e32 v2, v7
	v_cvt_f32_f16_sdwa v7, v9 dst_sel:DWORD dst_unused:UNUSED_PAD src0_sel:WORD_1
	v_cvt_f32_f16_e32 v6, v9
	v_ashrrev_i32_e32 v13, 31, v12
	v_lshlrev_b64 v[12:13], 3, v[12:13]
	v_readlane_b32 s22, v212, 0
	v_add_co_u32_e32 v12, vcc, s22, v12
	v_readlane_b32 s22, v212, 1
	v_pk_fma_f32 v[4:5], v[2:3], v[14:15], v[4:5] op_sel_hi:[0,1,1]
	v_mov_b32_e32 v1, s22
	s_waitcnt lgkmcnt(0)
	v_pk_fma_f32 v[4:5], v[10:11], v[6:7], v[4:5] op_sel_hi:[0,1,1]
	v_addc_co_u32_e32 v13, vcc, v1, v13, vcc
	v_div_scale_f32 v1, s[22:23], v3, v3, v5
	v_rcp_f32_e32 v2, v1
	v_fma_f32 v6, -v1, v2, 1.0
	v_fmac_f32_e32 v2, v6, v2
	v_div_scale_f32 v6, vcc, v5, v3, v5
	v_mul_f32_e32 v7, v6, v2
	v_fma_f32 v8, -v1, v7, v6
	v_fmac_f32_e32 v7, v8, v2
	v_fma_f32 v1, -v1, v7, v6
	v_div_fmas_f32 v1, v1, v2, v7
	v_div_fixup_f32 v5, v1, v3, v5
	v_div_scale_f32 v1, s[22:23], v3, v3, v4
	v_rcp_f32_e32 v2, v1
	v_fma_f32 v6, -v1, v2, 1.0
	v_fmac_f32_e32 v2, v6, v2
	v_div_scale_f32 v6, vcc, v4, v3, v4
	v_mul_f32_e32 v7, v6, v2
	v_fma_f32 v8, -v1, v7, v6
	v_fmac_f32_e32 v7, v8, v2
	v_fma_f32 v1, -v1, v7, v6
	v_div_fmas_f32 v1, v1, v2, v7
	v_div_fixup_f32 v4, v1, v3, v4
	v_mov_b32_e32 v2, 0
	global_store_dwordx2 v[12:13], v[4:5], off
.LBB24_208:                             ;   in Loop: Header=BB24_16 Depth=1
	s_or_b64 exec, exec, s[28:29]
	s_movk_i32 s22, 0x47
	v_cmp_gt_i32_e32 vcc, s22, v2
	s_mov_b64 s[28:29], -1
	s_and_saveexec_b64 s[30:31], vcc
; %bb.209:                              ;   in Loop: Header=BB24_16 Depth=1
	v_cmp_eq_u32_e32 vcc, 0, v2
	s_orn2_b64 s[28:29], vcc, exec
; %bb.210:                              ;   in Loop: Header=BB24_16 Depth=1
	s_or_b64 exec, exec, s[30:31]
	s_and_b64 exec, exec, s[28:29]
	s_cbranch_execz .LBB24_14
; %bb.211:                              ;   in Loop: Header=BB24_16 Depth=1
	v_add_u32_e32 v1, s72, v93
	v_cmp_gt_i32_e32 vcc, s64, v1
	v_mov_b32_e32 v2, 0x47
	s_and_saveexec_b64 s[28:29], vcc
	s_cbranch_execz .LBB24_213
; %bb.212:                              ;   in Loop: Header=BB24_16 Depth=1
	v_add_u32_e32 v10, 0, v116
	ds_read2_b32 v[2:3], v10 offset0:64 offset1:65
	ds_read2st64_b32 v[4:5], v117 offset1:17
	ds_read2st64_b32 v[6:7], v10 offset0:18 offset1:35
	ds_read2st64_b32 v[8:9], v117 offset0:34 offset1:51
	ds_read_b32 v10, v10 offset:13312
	v_readlane_b32 s22, v213, 44
	s_waitcnt lgkmcnt(3)
	v_cvt_f32_f16_sdwa v15, v4 dst_sel:DWORD dst_unused:UNUSED_PAD src0_sel:WORD_1
	v_cvt_f32_f16_e32 v14, v4
	v_cvt_f32_f16_sdwa v17, v5 dst_sel:DWORD dst_unused:UNUSED_PAD src0_sel:WORD_1
	v_cvt_f32_f16_e32 v16, v5
	v_mad_u64_u32 v[12:13], s[22:23], s22, v1, v[22:23]
	v_pk_fma_f32 v[14:15], v[2:3], v[14:15], 0 op_sel_hi:[0,1,0]
	s_waitcnt lgkmcnt(2)
	v_pk_fma_f32 v[4:5], v[6:7], v[16:17], v[14:15] op_sel_hi:[0,1,1]
	s_waitcnt lgkmcnt(1)
	v_cvt_f32_f16_sdwa v15, v8 dst_sel:DWORD dst_unused:UNUSED_PAD src0_sel:WORD_1
	v_cvt_f32_f16_e32 v14, v8
	v_mov_b32_e32 v2, v7
	v_cvt_f32_f16_sdwa v7, v9 dst_sel:DWORD dst_unused:UNUSED_PAD src0_sel:WORD_1
	v_cvt_f32_f16_e32 v6, v9
	v_ashrrev_i32_e32 v13, 31, v12
	v_lshlrev_b64 v[12:13], 3, v[12:13]
	v_readlane_b32 s22, v212, 0
	v_add_co_u32_e32 v12, vcc, s22, v12
	v_readlane_b32 s22, v212, 1
	v_pk_fma_f32 v[4:5], v[2:3], v[14:15], v[4:5] op_sel_hi:[0,1,1]
	v_mov_b32_e32 v1, s22
	s_waitcnt lgkmcnt(0)
	v_pk_fma_f32 v[4:5], v[10:11], v[6:7], v[4:5] op_sel_hi:[0,1,1]
	v_addc_co_u32_e32 v13, vcc, v1, v13, vcc
	v_div_scale_f32 v1, s[22:23], v3, v3, v5
	v_rcp_f32_e32 v2, v1
	v_fma_f32 v6, -v1, v2, 1.0
	v_fmac_f32_e32 v2, v6, v2
	v_div_scale_f32 v6, vcc, v5, v3, v5
	v_mul_f32_e32 v7, v6, v2
	v_fma_f32 v8, -v1, v7, v6
	v_fmac_f32_e32 v7, v8, v2
	v_fma_f32 v1, -v1, v7, v6
	v_div_fmas_f32 v1, v1, v2, v7
	v_div_fixup_f32 v5, v1, v3, v5
	v_div_scale_f32 v1, s[22:23], v3, v3, v4
	v_rcp_f32_e32 v2, v1
	v_fma_f32 v6, -v1, v2, 1.0
	v_fmac_f32_e32 v2, v6, v2
	v_div_scale_f32 v6, vcc, v4, v3, v4
	v_mul_f32_e32 v7, v6, v2
	v_fma_f32 v8, -v1, v7, v6
	v_fmac_f32_e32 v7, v8, v2
	v_fma_f32 v1, -v1, v7, v6
	v_div_fmas_f32 v1, v1, v2, v7
	v_div_fixup_f32 v4, v1, v3, v4
	v_mov_b32_e32 v2, 0
	global_store_dwordx2 v[12:13], v[4:5], off
.LBB24_213:                             ;   in Loop: Header=BB24_16 Depth=1
	s_or_b64 exec, exec, s[28:29]
	s_movk_i32 s22, 0x47
	v_cmp_gt_i32_e32 vcc, s22, v2
	s_mov_b64 s[28:29], -1
	s_and_saveexec_b64 s[30:31], vcc
; %bb.214:                              ;   in Loop: Header=BB24_16 Depth=1
	v_cmp_eq_u32_e32 vcc, 0, v2
	s_orn2_b64 s[28:29], vcc, exec
; %bb.215:                              ;   in Loop: Header=BB24_16 Depth=1
	s_or_b64 exec, exec, s[30:31]
	s_and_b64 exec, exec, s[28:29]
	s_cbranch_execz .LBB24_14
; %bb.216:                              ;   in Loop: Header=BB24_16 Depth=1
	v_add_u32_e32 v1, s72, v94
	v_cmp_gt_i32_e32 vcc, s64, v1
	v_mov_b32_e32 v2, 0x47
	s_and_saveexec_b64 s[28:29], vcc
	s_cbranch_execz .LBB24_218
; %bb.217:                              ;   in Loop: Header=BB24_16 Depth=1
	v_add_u32_e32 v10, 0, v118
	ds_read2_b32 v[2:3], v10 offset0:64 offset1:65
	ds_read2st64_b32 v[4:5], v119 offset1:17
	ds_read2st64_b32 v[6:7], v10 offset0:18 offset1:35
	ds_read2st64_b32 v[8:9], v119 offset0:34 offset1:51
	ds_read_b32 v10, v10 offset:13312
	v_readlane_b32 s22, v213, 44
	s_waitcnt lgkmcnt(3)
	v_cvt_f32_f16_sdwa v15, v4 dst_sel:DWORD dst_unused:UNUSED_PAD src0_sel:WORD_1
	v_cvt_f32_f16_e32 v14, v4
	v_cvt_f32_f16_sdwa v17, v5 dst_sel:DWORD dst_unused:UNUSED_PAD src0_sel:WORD_1
	v_cvt_f32_f16_e32 v16, v5
	v_mad_u64_u32 v[12:13], s[22:23], s22, v1, v[22:23]
	v_pk_fma_f32 v[14:15], v[2:3], v[14:15], 0 op_sel_hi:[0,1,0]
	s_waitcnt lgkmcnt(2)
	v_pk_fma_f32 v[4:5], v[6:7], v[16:17], v[14:15] op_sel_hi:[0,1,1]
	s_waitcnt lgkmcnt(1)
	v_cvt_f32_f16_sdwa v15, v8 dst_sel:DWORD dst_unused:UNUSED_PAD src0_sel:WORD_1
	v_cvt_f32_f16_e32 v14, v8
	v_mov_b32_e32 v2, v7
	v_cvt_f32_f16_sdwa v7, v9 dst_sel:DWORD dst_unused:UNUSED_PAD src0_sel:WORD_1
	v_cvt_f32_f16_e32 v6, v9
	v_ashrrev_i32_e32 v13, 31, v12
	v_lshlrev_b64 v[12:13], 3, v[12:13]
	v_readlane_b32 s22, v212, 0
	v_add_co_u32_e32 v12, vcc, s22, v12
	v_readlane_b32 s22, v212, 1
	v_pk_fma_f32 v[4:5], v[2:3], v[14:15], v[4:5] op_sel_hi:[0,1,1]
	v_mov_b32_e32 v1, s22
	s_waitcnt lgkmcnt(0)
	v_pk_fma_f32 v[4:5], v[10:11], v[6:7], v[4:5] op_sel_hi:[0,1,1]
	v_addc_co_u32_e32 v13, vcc, v1, v13, vcc
	v_div_scale_f32 v1, s[22:23], v3, v3, v5
	v_rcp_f32_e32 v2, v1
	v_fma_f32 v6, -v1, v2, 1.0
	v_fmac_f32_e32 v2, v6, v2
	v_div_scale_f32 v6, vcc, v5, v3, v5
	v_mul_f32_e32 v7, v6, v2
	v_fma_f32 v8, -v1, v7, v6
	v_fmac_f32_e32 v7, v8, v2
	v_fma_f32 v1, -v1, v7, v6
	v_div_fmas_f32 v1, v1, v2, v7
	v_div_fixup_f32 v5, v1, v3, v5
	v_div_scale_f32 v1, s[22:23], v3, v3, v4
	v_rcp_f32_e32 v2, v1
	v_fma_f32 v6, -v1, v2, 1.0
	v_fmac_f32_e32 v2, v6, v2
	v_div_scale_f32 v6, vcc, v4, v3, v4
	v_mul_f32_e32 v7, v6, v2
	v_fma_f32 v8, -v1, v7, v6
	v_fmac_f32_e32 v7, v8, v2
	v_fma_f32 v1, -v1, v7, v6
	v_div_fmas_f32 v1, v1, v2, v7
	v_div_fixup_f32 v4, v1, v3, v4
	v_mov_b32_e32 v2, 0
	global_store_dwordx2 v[12:13], v[4:5], off
.LBB24_218:                             ;   in Loop: Header=BB24_16 Depth=1
	s_or_b64 exec, exec, s[28:29]
	s_movk_i32 s22, 0x47
	v_cmp_gt_i32_e32 vcc, s22, v2
	s_mov_b64 s[28:29], -1
	s_and_saveexec_b64 s[30:31], vcc
; %bb.219:                              ;   in Loop: Header=BB24_16 Depth=1
	v_cmp_eq_u32_e32 vcc, 0, v2
	s_orn2_b64 s[28:29], vcc, exec
; %bb.220:                              ;   in Loop: Header=BB24_16 Depth=1
	s_or_b64 exec, exec, s[30:31]
	s_and_b64 exec, exec, s[28:29]
	s_cbranch_execz .LBB24_14
; %bb.221:                              ;   in Loop: Header=BB24_16 Depth=1
	v_add_u32_e32 v1, s72, v95
	v_cmp_gt_i32_e32 vcc, s64, v1
	v_mov_b32_e32 v2, 0x47
	s_and_saveexec_b64 s[28:29], vcc
	s_cbranch_execz .LBB24_223
; %bb.222:                              ;   in Loop: Header=BB24_16 Depth=1
	v_add_u32_e32 v10, 0, v120
	ds_read2_b32 v[2:3], v10 offset0:64 offset1:65
	ds_read2st64_b32 v[4:5], v121 offset1:17
	ds_read2st64_b32 v[6:7], v10 offset0:18 offset1:35
	ds_read2st64_b32 v[8:9], v121 offset0:34 offset1:51
	ds_read_b32 v10, v10 offset:13312
	v_readlane_b32 s22, v213, 44
	s_waitcnt lgkmcnt(3)
	v_cvt_f32_f16_sdwa v15, v4 dst_sel:DWORD dst_unused:UNUSED_PAD src0_sel:WORD_1
	v_cvt_f32_f16_e32 v14, v4
	v_cvt_f32_f16_sdwa v17, v5 dst_sel:DWORD dst_unused:UNUSED_PAD src0_sel:WORD_1
	v_cvt_f32_f16_e32 v16, v5
	v_mad_u64_u32 v[12:13], s[22:23], s22, v1, v[22:23]
	v_pk_fma_f32 v[14:15], v[2:3], v[14:15], 0 op_sel_hi:[0,1,0]
	s_waitcnt lgkmcnt(2)
	v_pk_fma_f32 v[4:5], v[6:7], v[16:17], v[14:15] op_sel_hi:[0,1,1]
	s_waitcnt lgkmcnt(1)
	v_cvt_f32_f16_sdwa v15, v8 dst_sel:DWORD dst_unused:UNUSED_PAD src0_sel:WORD_1
	v_cvt_f32_f16_e32 v14, v8
	v_mov_b32_e32 v2, v7
	v_cvt_f32_f16_sdwa v7, v9 dst_sel:DWORD dst_unused:UNUSED_PAD src0_sel:WORD_1
	v_cvt_f32_f16_e32 v6, v9
	v_ashrrev_i32_e32 v13, 31, v12
	v_lshlrev_b64 v[12:13], 3, v[12:13]
	v_readlane_b32 s22, v212, 0
	v_add_co_u32_e32 v12, vcc, s22, v12
	v_readlane_b32 s22, v212, 1
	v_pk_fma_f32 v[4:5], v[2:3], v[14:15], v[4:5] op_sel_hi:[0,1,1]
	v_mov_b32_e32 v1, s22
	s_waitcnt lgkmcnt(0)
	v_pk_fma_f32 v[4:5], v[10:11], v[6:7], v[4:5] op_sel_hi:[0,1,1]
	v_addc_co_u32_e32 v13, vcc, v1, v13, vcc
	v_div_scale_f32 v1, s[22:23], v3, v3, v5
	v_rcp_f32_e32 v2, v1
	v_fma_f32 v6, -v1, v2, 1.0
	v_fmac_f32_e32 v2, v6, v2
	v_div_scale_f32 v6, vcc, v5, v3, v5
	v_mul_f32_e32 v7, v6, v2
	v_fma_f32 v8, -v1, v7, v6
	v_fmac_f32_e32 v7, v8, v2
	v_fma_f32 v1, -v1, v7, v6
	v_div_fmas_f32 v1, v1, v2, v7
	v_div_fixup_f32 v5, v1, v3, v5
	v_div_scale_f32 v1, s[22:23], v3, v3, v4
	v_rcp_f32_e32 v2, v1
	v_fma_f32 v6, -v1, v2, 1.0
	v_fmac_f32_e32 v2, v6, v2
	v_div_scale_f32 v6, vcc, v4, v3, v4
	v_mul_f32_e32 v7, v6, v2
	v_fma_f32 v8, -v1, v7, v6
	v_fmac_f32_e32 v7, v8, v2
	v_fma_f32 v1, -v1, v7, v6
	v_div_fmas_f32 v1, v1, v2, v7
	v_div_fixup_f32 v4, v1, v3, v4
	v_mov_b32_e32 v2, 0
	global_store_dwordx2 v[12:13], v[4:5], off
.LBB24_223:                             ;   in Loop: Header=BB24_16 Depth=1
	s_or_b64 exec, exec, s[28:29]
	s_movk_i32 s22, 0x47
	v_cmp_gt_i32_e32 vcc, s22, v2
	s_mov_b64 s[28:29], -1
	s_and_saveexec_b64 s[30:31], vcc
; %bb.224:                              ;   in Loop: Header=BB24_16 Depth=1
	v_cmp_eq_u32_e32 vcc, 0, v2
	s_orn2_b64 s[28:29], vcc, exec
; %bb.225:                              ;   in Loop: Header=BB24_16 Depth=1
	s_or_b64 exec, exec, s[30:31]
	s_and_b64 exec, exec, s[28:29]
	s_cbranch_execz .LBB24_14
; %bb.226:                              ;   in Loop: Header=BB24_16 Depth=1
	v_add_u32_e32 v1, s72, v96
	v_cmp_gt_i32_e32 vcc, s64, v1
	v_mov_b32_e32 v2, 0x47
	s_and_saveexec_b64 s[28:29], vcc
	s_cbranch_execz .LBB24_228
; %bb.227:                              ;   in Loop: Header=BB24_16 Depth=1
	v_add_u32_e32 v10, 0, v122
	ds_read2_b32 v[2:3], v10 offset0:64 offset1:65
	ds_read2st64_b32 v[4:5], v123 offset1:17
	ds_read2st64_b32 v[6:7], v10 offset0:18 offset1:35
	ds_read2st64_b32 v[8:9], v123 offset0:34 offset1:51
	ds_read_b32 v10, v10 offset:13312
	v_readlane_b32 s22, v213, 44
	s_waitcnt lgkmcnt(3)
	v_cvt_f32_f16_sdwa v15, v4 dst_sel:DWORD dst_unused:UNUSED_PAD src0_sel:WORD_1
	v_cvt_f32_f16_e32 v14, v4
	v_cvt_f32_f16_sdwa v17, v5 dst_sel:DWORD dst_unused:UNUSED_PAD src0_sel:WORD_1
	v_cvt_f32_f16_e32 v16, v5
	v_mad_u64_u32 v[12:13], s[22:23], s22, v1, v[22:23]
	v_pk_fma_f32 v[14:15], v[2:3], v[14:15], 0 op_sel_hi:[0,1,0]
	s_waitcnt lgkmcnt(2)
	v_pk_fma_f32 v[4:5], v[6:7], v[16:17], v[14:15] op_sel_hi:[0,1,1]
	s_waitcnt lgkmcnt(1)
	v_cvt_f32_f16_sdwa v15, v8 dst_sel:DWORD dst_unused:UNUSED_PAD src0_sel:WORD_1
	v_cvt_f32_f16_e32 v14, v8
	v_mov_b32_e32 v2, v7
	v_cvt_f32_f16_sdwa v7, v9 dst_sel:DWORD dst_unused:UNUSED_PAD src0_sel:WORD_1
	v_cvt_f32_f16_e32 v6, v9
	v_ashrrev_i32_e32 v13, 31, v12
	v_lshlrev_b64 v[12:13], 3, v[12:13]
	v_readlane_b32 s22, v212, 0
	v_add_co_u32_e32 v12, vcc, s22, v12
	v_readlane_b32 s22, v212, 1
	v_pk_fma_f32 v[4:5], v[2:3], v[14:15], v[4:5] op_sel_hi:[0,1,1]
	v_mov_b32_e32 v1, s22
	s_waitcnt lgkmcnt(0)
	v_pk_fma_f32 v[4:5], v[10:11], v[6:7], v[4:5] op_sel_hi:[0,1,1]
	v_addc_co_u32_e32 v13, vcc, v1, v13, vcc
	v_div_scale_f32 v1, s[22:23], v3, v3, v5
	v_rcp_f32_e32 v2, v1
	v_fma_f32 v6, -v1, v2, 1.0
	v_fmac_f32_e32 v2, v6, v2
	v_div_scale_f32 v6, vcc, v5, v3, v5
	v_mul_f32_e32 v7, v6, v2
	v_fma_f32 v8, -v1, v7, v6
	v_fmac_f32_e32 v7, v8, v2
	v_fma_f32 v1, -v1, v7, v6
	v_div_fmas_f32 v1, v1, v2, v7
	v_div_fixup_f32 v5, v1, v3, v5
	v_div_scale_f32 v1, s[22:23], v3, v3, v4
	v_rcp_f32_e32 v2, v1
	v_fma_f32 v6, -v1, v2, 1.0
	v_fmac_f32_e32 v2, v6, v2
	v_div_scale_f32 v6, vcc, v4, v3, v4
	v_mul_f32_e32 v7, v6, v2
	v_fma_f32 v8, -v1, v7, v6
	v_fmac_f32_e32 v7, v8, v2
	v_fma_f32 v1, -v1, v7, v6
	v_div_fmas_f32 v1, v1, v2, v7
	v_div_fixup_f32 v4, v1, v3, v4
	v_mov_b32_e32 v2, 0
	global_store_dwordx2 v[12:13], v[4:5], off
.LBB24_228:                             ;   in Loop: Header=BB24_16 Depth=1
	s_or_b64 exec, exec, s[28:29]
	s_movk_i32 s22, 0x47
	v_cmp_gt_i32_e32 vcc, s22, v2
	s_mov_b64 s[28:29], -1
	s_and_saveexec_b64 s[30:31], vcc
; %bb.229:                              ;   in Loop: Header=BB24_16 Depth=1
	v_cmp_eq_u32_e32 vcc, 0, v2
	s_orn2_b64 s[28:29], vcc, exec
; %bb.230:                              ;   in Loop: Header=BB24_16 Depth=1
	s_or_b64 exec, exec, s[30:31]
	s_and_b64 exec, exec, s[28:29]
	s_cbranch_execz .LBB24_14
; %bb.231:                              ;   in Loop: Header=BB24_16 Depth=1
	v_add_u32_e32 v1, s72, v97
	v_cmp_gt_i32_e32 vcc, s64, v1
	v_mov_b32_e32 v2, 0x47
	s_and_saveexec_b64 s[28:29], vcc
	s_cbranch_execz .LBB24_233
; %bb.232:                              ;   in Loop: Header=BB24_16 Depth=1
	v_add_u32_e32 v10, 0, v124
	ds_read2_b32 v[2:3], v10 offset0:64 offset1:65
	ds_read2st64_b32 v[4:5], v125 offset1:17
	ds_read2st64_b32 v[6:7], v10 offset0:18 offset1:35
	ds_read2st64_b32 v[8:9], v125 offset0:34 offset1:51
	ds_read_b32 v10, v10 offset:13312
	v_readlane_b32 s22, v213, 44
	s_waitcnt lgkmcnt(3)
	v_cvt_f32_f16_sdwa v15, v4 dst_sel:DWORD dst_unused:UNUSED_PAD src0_sel:WORD_1
	v_cvt_f32_f16_e32 v14, v4
	v_cvt_f32_f16_sdwa v17, v5 dst_sel:DWORD dst_unused:UNUSED_PAD src0_sel:WORD_1
	v_cvt_f32_f16_e32 v16, v5
	v_mad_u64_u32 v[12:13], s[22:23], s22, v1, v[22:23]
	v_pk_fma_f32 v[14:15], v[2:3], v[14:15], 0 op_sel_hi:[0,1,0]
	s_waitcnt lgkmcnt(2)
	v_pk_fma_f32 v[4:5], v[6:7], v[16:17], v[14:15] op_sel_hi:[0,1,1]
	s_waitcnt lgkmcnt(1)
	v_cvt_f32_f16_sdwa v15, v8 dst_sel:DWORD dst_unused:UNUSED_PAD src0_sel:WORD_1
	v_cvt_f32_f16_e32 v14, v8
	v_mov_b32_e32 v2, v7
	v_cvt_f32_f16_sdwa v7, v9 dst_sel:DWORD dst_unused:UNUSED_PAD src0_sel:WORD_1
	v_cvt_f32_f16_e32 v6, v9
	v_ashrrev_i32_e32 v13, 31, v12
	v_lshlrev_b64 v[12:13], 3, v[12:13]
	v_readlane_b32 s22, v212, 0
	v_add_co_u32_e32 v12, vcc, s22, v12
	v_readlane_b32 s22, v212, 1
	v_pk_fma_f32 v[4:5], v[2:3], v[14:15], v[4:5] op_sel_hi:[0,1,1]
	v_mov_b32_e32 v1, s22
	s_waitcnt lgkmcnt(0)
	v_pk_fma_f32 v[4:5], v[10:11], v[6:7], v[4:5] op_sel_hi:[0,1,1]
	v_addc_co_u32_e32 v13, vcc, v1, v13, vcc
	v_div_scale_f32 v1, s[22:23], v3, v3, v5
	v_rcp_f32_e32 v2, v1
	v_fma_f32 v6, -v1, v2, 1.0
	v_fmac_f32_e32 v2, v6, v2
	v_div_scale_f32 v6, vcc, v5, v3, v5
	v_mul_f32_e32 v7, v6, v2
	v_fma_f32 v8, -v1, v7, v6
	v_fmac_f32_e32 v7, v8, v2
	v_fma_f32 v1, -v1, v7, v6
	v_div_fmas_f32 v1, v1, v2, v7
	v_div_fixup_f32 v5, v1, v3, v5
	v_div_scale_f32 v1, s[22:23], v3, v3, v4
	v_rcp_f32_e32 v2, v1
	v_fma_f32 v6, -v1, v2, 1.0
	v_fmac_f32_e32 v2, v6, v2
	v_div_scale_f32 v6, vcc, v4, v3, v4
	v_mul_f32_e32 v7, v6, v2
	v_fma_f32 v8, -v1, v7, v6
	v_fmac_f32_e32 v7, v8, v2
	v_fma_f32 v1, -v1, v7, v6
	v_div_fmas_f32 v1, v1, v2, v7
	v_div_fixup_f32 v4, v1, v3, v4
	v_mov_b32_e32 v2, 0
	global_store_dwordx2 v[12:13], v[4:5], off
.LBB24_233:                             ;   in Loop: Header=BB24_16 Depth=1
	s_or_b64 exec, exec, s[28:29]
	s_movk_i32 s22, 0x47
	v_cmp_gt_i32_e32 vcc, s22, v2
	s_mov_b64 s[28:29], -1
	s_and_saveexec_b64 s[30:31], vcc
; %bb.234:                              ;   in Loop: Header=BB24_16 Depth=1
	v_cmp_eq_u32_e32 vcc, 0, v2
	s_orn2_b64 s[28:29], vcc, exec
; %bb.235:                              ;   in Loop: Header=BB24_16 Depth=1
	s_or_b64 exec, exec, s[30:31]
	s_and_b64 exec, exec, s[28:29]
	s_cbranch_execz .LBB24_14
; %bb.236:                              ;   in Loop: Header=BB24_16 Depth=1
	v_add_u32_e32 v1, s72, v98
	v_cmp_gt_i32_e32 vcc, s64, v1
	v_mov_b32_e32 v2, 0x47
	s_and_saveexec_b64 s[28:29], vcc
	s_cbranch_execz .LBB24_238
; %bb.237:                              ;   in Loop: Header=BB24_16 Depth=1
	v_add_u32_e32 v10, 0, v126
	ds_read2_b32 v[2:3], v10 offset0:64 offset1:65
	ds_read2st64_b32 v[4:5], v127 offset1:17
	ds_read2st64_b32 v[6:7], v10 offset0:18 offset1:35
	ds_read2st64_b32 v[8:9], v127 offset0:34 offset1:51
	ds_read_b32 v10, v10 offset:13312
	v_readlane_b32 s22, v213, 44
	s_waitcnt lgkmcnt(3)
	v_cvt_f32_f16_sdwa v15, v4 dst_sel:DWORD dst_unused:UNUSED_PAD src0_sel:WORD_1
	v_cvt_f32_f16_e32 v14, v4
	v_cvt_f32_f16_sdwa v17, v5 dst_sel:DWORD dst_unused:UNUSED_PAD src0_sel:WORD_1
	v_cvt_f32_f16_e32 v16, v5
	v_mad_u64_u32 v[12:13], s[22:23], s22, v1, v[22:23]
	v_pk_fma_f32 v[14:15], v[2:3], v[14:15], 0 op_sel_hi:[0,1,0]
	s_waitcnt lgkmcnt(2)
	v_pk_fma_f32 v[4:5], v[6:7], v[16:17], v[14:15] op_sel_hi:[0,1,1]
	s_waitcnt lgkmcnt(1)
	v_cvt_f32_f16_sdwa v15, v8 dst_sel:DWORD dst_unused:UNUSED_PAD src0_sel:WORD_1
	v_cvt_f32_f16_e32 v14, v8
	v_mov_b32_e32 v2, v7
	v_cvt_f32_f16_sdwa v7, v9 dst_sel:DWORD dst_unused:UNUSED_PAD src0_sel:WORD_1
	v_cvt_f32_f16_e32 v6, v9
	v_ashrrev_i32_e32 v13, 31, v12
	v_lshlrev_b64 v[12:13], 3, v[12:13]
	v_readlane_b32 s22, v212, 0
	v_add_co_u32_e32 v12, vcc, s22, v12
	v_readlane_b32 s22, v212, 1
	v_pk_fma_f32 v[4:5], v[2:3], v[14:15], v[4:5] op_sel_hi:[0,1,1]
	v_mov_b32_e32 v1, s22
	s_waitcnt lgkmcnt(0)
	v_pk_fma_f32 v[4:5], v[10:11], v[6:7], v[4:5] op_sel_hi:[0,1,1]
	v_addc_co_u32_e32 v13, vcc, v1, v13, vcc
	v_div_scale_f32 v1, s[22:23], v3, v3, v5
	v_rcp_f32_e32 v2, v1
	v_fma_f32 v6, -v1, v2, 1.0
	v_fmac_f32_e32 v2, v6, v2
	v_div_scale_f32 v6, vcc, v5, v3, v5
	v_mul_f32_e32 v7, v6, v2
	v_fma_f32 v8, -v1, v7, v6
	v_fmac_f32_e32 v7, v8, v2
	v_fma_f32 v1, -v1, v7, v6
	v_div_fmas_f32 v1, v1, v2, v7
	v_div_fixup_f32 v5, v1, v3, v5
	v_div_scale_f32 v1, s[22:23], v3, v3, v4
	v_rcp_f32_e32 v2, v1
	v_fma_f32 v6, -v1, v2, 1.0
	v_fmac_f32_e32 v2, v6, v2
	v_div_scale_f32 v6, vcc, v4, v3, v4
	v_mul_f32_e32 v7, v6, v2
	v_fma_f32 v8, -v1, v7, v6
	v_fmac_f32_e32 v7, v8, v2
	v_fma_f32 v1, -v1, v7, v6
	v_div_fmas_f32 v1, v1, v2, v7
	v_div_fixup_f32 v4, v1, v3, v4
	v_mov_b32_e32 v2, 0
	global_store_dwordx2 v[12:13], v[4:5], off
.LBB24_238:                             ;   in Loop: Header=BB24_16 Depth=1
	s_or_b64 exec, exec, s[28:29]
	s_movk_i32 s22, 0x47
	v_cmp_gt_i32_e32 vcc, s22, v2
	s_mov_b64 s[28:29], -1
	s_and_saveexec_b64 s[30:31], vcc
; %bb.239:                              ;   in Loop: Header=BB24_16 Depth=1
	v_cmp_eq_u32_e32 vcc, 0, v2
	s_orn2_b64 s[28:29], vcc, exec
; %bb.240:                              ;   in Loop: Header=BB24_16 Depth=1
	s_or_b64 exec, exec, s[30:31]
	s_and_b64 exec, exec, s[28:29]
	s_cbranch_execz .LBB24_14
; %bb.241:                              ;   in Loop: Header=BB24_16 Depth=1
	v_add_u32_e32 v1, s72, v99
	v_cmp_gt_i32_e32 vcc, s64, v1
	v_mov_b32_e32 v2, 0x47
	s_and_saveexec_b64 s[28:29], vcc
	s_cbranch_execz .LBB24_243
; %bb.242:                              ;   in Loop: Header=BB24_16 Depth=1
	v_add_u32_e32 v10, 0, v128
	ds_read2_b32 v[2:3], v10 offset0:64 offset1:65
	ds_read2st64_b32 v[4:5], v129 offset1:17
	ds_read2st64_b32 v[6:7], v10 offset0:18 offset1:35
	ds_read2st64_b32 v[8:9], v129 offset0:34 offset1:51
	ds_read_b32 v10, v10 offset:13312
	v_readlane_b32 s22, v213, 44
	s_waitcnt lgkmcnt(3)
	v_cvt_f32_f16_sdwa v15, v4 dst_sel:DWORD dst_unused:UNUSED_PAD src0_sel:WORD_1
	v_cvt_f32_f16_e32 v14, v4
	v_cvt_f32_f16_sdwa v17, v5 dst_sel:DWORD dst_unused:UNUSED_PAD src0_sel:WORD_1
	v_cvt_f32_f16_e32 v16, v5
	v_mad_u64_u32 v[12:13], s[22:23], s22, v1, v[22:23]
	v_pk_fma_f32 v[14:15], v[2:3], v[14:15], 0 op_sel_hi:[0,1,0]
	s_waitcnt lgkmcnt(2)
	v_pk_fma_f32 v[4:5], v[6:7], v[16:17], v[14:15] op_sel_hi:[0,1,1]
	s_waitcnt lgkmcnt(1)
	v_cvt_f32_f16_sdwa v15, v8 dst_sel:DWORD dst_unused:UNUSED_PAD src0_sel:WORD_1
	v_cvt_f32_f16_e32 v14, v8
	v_mov_b32_e32 v2, v7
	v_cvt_f32_f16_sdwa v7, v9 dst_sel:DWORD dst_unused:UNUSED_PAD src0_sel:WORD_1
	v_cvt_f32_f16_e32 v6, v9
	v_ashrrev_i32_e32 v13, 31, v12
	v_lshlrev_b64 v[12:13], 3, v[12:13]
	v_readlane_b32 s22, v212, 0
	v_add_co_u32_e32 v12, vcc, s22, v12
	v_readlane_b32 s22, v212, 1
	v_pk_fma_f32 v[4:5], v[2:3], v[14:15], v[4:5] op_sel_hi:[0,1,1]
	v_mov_b32_e32 v1, s22
	s_waitcnt lgkmcnt(0)
	v_pk_fma_f32 v[4:5], v[10:11], v[6:7], v[4:5] op_sel_hi:[0,1,1]
	v_addc_co_u32_e32 v13, vcc, v1, v13, vcc
	v_div_scale_f32 v1, s[22:23], v3, v3, v5
	v_rcp_f32_e32 v2, v1
	v_fma_f32 v6, -v1, v2, 1.0
	v_fmac_f32_e32 v2, v6, v2
	v_div_scale_f32 v6, vcc, v5, v3, v5
	v_mul_f32_e32 v7, v6, v2
	v_fma_f32 v8, -v1, v7, v6
	v_fmac_f32_e32 v7, v8, v2
	v_fma_f32 v1, -v1, v7, v6
	v_div_fmas_f32 v1, v1, v2, v7
	v_div_fixup_f32 v5, v1, v3, v5
	v_div_scale_f32 v1, s[22:23], v3, v3, v4
	v_rcp_f32_e32 v2, v1
	v_fma_f32 v6, -v1, v2, 1.0
	v_fmac_f32_e32 v2, v6, v2
	v_div_scale_f32 v6, vcc, v4, v3, v4
	v_mul_f32_e32 v7, v6, v2
	v_fma_f32 v8, -v1, v7, v6
	v_fmac_f32_e32 v7, v8, v2
	v_fma_f32 v1, -v1, v7, v6
	v_div_fmas_f32 v1, v1, v2, v7
	v_div_fixup_f32 v4, v1, v3, v4
	v_mov_b32_e32 v2, 0
	global_store_dwordx2 v[12:13], v[4:5], off
.LBB24_243:                             ;   in Loop: Header=BB24_16 Depth=1
	s_or_b64 exec, exec, s[28:29]
	s_movk_i32 s22, 0x47
	v_cmp_gt_i32_e32 vcc, s22, v2
	s_mov_b64 s[28:29], -1
	s_and_saveexec_b64 s[30:31], vcc
; %bb.244:                              ;   in Loop: Header=BB24_16 Depth=1
	v_cmp_eq_u32_e32 vcc, 0, v2
	s_orn2_b64 s[28:29], vcc, exec
; %bb.245:                              ;   in Loop: Header=BB24_16 Depth=1
	s_or_b64 exec, exec, s[30:31]
	s_and_b64 exec, exec, s[28:29]
	s_cbranch_execz .LBB24_14
; %bb.246:                              ;   in Loop: Header=BB24_16 Depth=1
	v_add_u32_e32 v1, s72, v100
	v_cmp_gt_i32_e32 vcc, s64, v1
	v_mov_b32_e32 v2, 0x47
	s_and_saveexec_b64 s[28:29], vcc
	s_cbranch_execz .LBB24_248
; %bb.247:                              ;   in Loop: Header=BB24_16 Depth=1
	v_add_u32_e32 v10, 0, v130
	ds_read2_b32 v[2:3], v10 offset0:64 offset1:65
	ds_read2st64_b32 v[4:5], v131 offset1:17
	ds_read2st64_b32 v[6:7], v10 offset0:18 offset1:35
	ds_read2st64_b32 v[8:9], v131 offset0:34 offset1:51
	ds_read_b32 v10, v10 offset:13312
	v_readlane_b32 s22, v213, 44
	s_waitcnt lgkmcnt(3)
	v_cvt_f32_f16_sdwa v15, v4 dst_sel:DWORD dst_unused:UNUSED_PAD src0_sel:WORD_1
	v_cvt_f32_f16_e32 v14, v4
	v_cvt_f32_f16_sdwa v17, v5 dst_sel:DWORD dst_unused:UNUSED_PAD src0_sel:WORD_1
	v_cvt_f32_f16_e32 v16, v5
	v_mad_u64_u32 v[12:13], s[22:23], s22, v1, v[22:23]
	v_pk_fma_f32 v[14:15], v[2:3], v[14:15], 0 op_sel_hi:[0,1,0]
	s_waitcnt lgkmcnt(2)
	v_pk_fma_f32 v[4:5], v[6:7], v[16:17], v[14:15] op_sel_hi:[0,1,1]
	s_waitcnt lgkmcnt(1)
	v_cvt_f32_f16_sdwa v15, v8 dst_sel:DWORD dst_unused:UNUSED_PAD src0_sel:WORD_1
	v_cvt_f32_f16_e32 v14, v8
	v_mov_b32_e32 v2, v7
	v_cvt_f32_f16_sdwa v7, v9 dst_sel:DWORD dst_unused:UNUSED_PAD src0_sel:WORD_1
	v_cvt_f32_f16_e32 v6, v9
	v_ashrrev_i32_e32 v13, 31, v12
	v_lshlrev_b64 v[12:13], 3, v[12:13]
	v_readlane_b32 s22, v212, 0
	v_add_co_u32_e32 v12, vcc, s22, v12
	v_readlane_b32 s22, v212, 1
	v_pk_fma_f32 v[4:5], v[2:3], v[14:15], v[4:5] op_sel_hi:[0,1,1]
	v_mov_b32_e32 v1, s22
	s_waitcnt lgkmcnt(0)
	v_pk_fma_f32 v[4:5], v[10:11], v[6:7], v[4:5] op_sel_hi:[0,1,1]
	v_addc_co_u32_e32 v13, vcc, v1, v13, vcc
	v_div_scale_f32 v1, s[22:23], v3, v3, v5
	v_rcp_f32_e32 v2, v1
	v_fma_f32 v6, -v1, v2, 1.0
	v_fmac_f32_e32 v2, v6, v2
	v_div_scale_f32 v6, vcc, v5, v3, v5
	v_mul_f32_e32 v7, v6, v2
	v_fma_f32 v8, -v1, v7, v6
	v_fmac_f32_e32 v7, v8, v2
	v_fma_f32 v1, -v1, v7, v6
	v_div_fmas_f32 v1, v1, v2, v7
	v_div_fixup_f32 v5, v1, v3, v5
	v_div_scale_f32 v1, s[22:23], v3, v3, v4
	v_rcp_f32_e32 v2, v1
	v_fma_f32 v6, -v1, v2, 1.0
	v_fmac_f32_e32 v2, v6, v2
	v_div_scale_f32 v6, vcc, v4, v3, v4
	v_mul_f32_e32 v7, v6, v2
	v_fma_f32 v8, -v1, v7, v6
	v_fmac_f32_e32 v7, v8, v2
	v_fma_f32 v1, -v1, v7, v6
	v_div_fmas_f32 v1, v1, v2, v7
	v_div_fixup_f32 v4, v1, v3, v4
	v_mov_b32_e32 v2, 0
	global_store_dwordx2 v[12:13], v[4:5], off
.LBB24_248:                             ;   in Loop: Header=BB24_16 Depth=1
	s_or_b64 exec, exec, s[28:29]
	s_movk_i32 s22, 0x47
	v_cmp_gt_i32_e32 vcc, s22, v2
	s_mov_b64 s[28:29], -1
	s_and_saveexec_b64 s[30:31], vcc
; %bb.249:                              ;   in Loop: Header=BB24_16 Depth=1
	v_cmp_eq_u32_e32 vcc, 0, v2
	s_orn2_b64 s[28:29], vcc, exec
; %bb.250:                              ;   in Loop: Header=BB24_16 Depth=1
	s_or_b64 exec, exec, s[30:31]
	s_and_b64 exec, exec, s[28:29]
	s_cbranch_execz .LBB24_14
; %bb.251:                              ;   in Loop: Header=BB24_16 Depth=1
	v_add_u32_e32 v1, s72, v101
	v_cmp_gt_i32_e32 vcc, s64, v1
	v_mov_b32_e32 v2, 0x47
	s_and_saveexec_b64 s[28:29], vcc
	s_cbranch_execz .LBB24_253
; %bb.252:                              ;   in Loop: Header=BB24_16 Depth=1
	v_add_u32_e32 v10, 0, v132
	ds_read2_b32 v[2:3], v10 offset0:64 offset1:65
	ds_read2st64_b32 v[4:5], v133 offset1:17
	ds_read2st64_b32 v[6:7], v10 offset0:18 offset1:35
	ds_read2st64_b32 v[8:9], v133 offset0:34 offset1:51
	ds_read_b32 v10, v10 offset:13312
	v_readlane_b32 s22, v213, 44
	s_waitcnt lgkmcnt(3)
	v_cvt_f32_f16_sdwa v15, v4 dst_sel:DWORD dst_unused:UNUSED_PAD src0_sel:WORD_1
	v_cvt_f32_f16_e32 v14, v4
	v_cvt_f32_f16_sdwa v17, v5 dst_sel:DWORD dst_unused:UNUSED_PAD src0_sel:WORD_1
	v_cvt_f32_f16_e32 v16, v5
	v_mad_u64_u32 v[12:13], s[22:23], s22, v1, v[22:23]
	v_pk_fma_f32 v[14:15], v[2:3], v[14:15], 0 op_sel_hi:[0,1,0]
	s_waitcnt lgkmcnt(2)
	v_pk_fma_f32 v[4:5], v[6:7], v[16:17], v[14:15] op_sel_hi:[0,1,1]
	s_waitcnt lgkmcnt(1)
	v_cvt_f32_f16_sdwa v15, v8 dst_sel:DWORD dst_unused:UNUSED_PAD src0_sel:WORD_1
	v_cvt_f32_f16_e32 v14, v8
	v_mov_b32_e32 v2, v7
	v_cvt_f32_f16_sdwa v7, v9 dst_sel:DWORD dst_unused:UNUSED_PAD src0_sel:WORD_1
	v_cvt_f32_f16_e32 v6, v9
	v_ashrrev_i32_e32 v13, 31, v12
	v_lshlrev_b64 v[12:13], 3, v[12:13]
	v_readlane_b32 s22, v212, 0
	v_add_co_u32_e32 v12, vcc, s22, v12
	v_readlane_b32 s22, v212, 1
	v_pk_fma_f32 v[4:5], v[2:3], v[14:15], v[4:5] op_sel_hi:[0,1,1]
	v_mov_b32_e32 v1, s22
	s_waitcnt lgkmcnt(0)
	v_pk_fma_f32 v[4:5], v[10:11], v[6:7], v[4:5] op_sel_hi:[0,1,1]
	v_addc_co_u32_e32 v13, vcc, v1, v13, vcc
	v_div_scale_f32 v1, s[22:23], v3, v3, v5
	v_rcp_f32_e32 v2, v1
	v_fma_f32 v6, -v1, v2, 1.0
	v_fmac_f32_e32 v2, v6, v2
	v_div_scale_f32 v6, vcc, v5, v3, v5
	v_mul_f32_e32 v7, v6, v2
	v_fma_f32 v8, -v1, v7, v6
	v_fmac_f32_e32 v7, v8, v2
	v_fma_f32 v1, -v1, v7, v6
	v_div_fmas_f32 v1, v1, v2, v7
	v_div_fixup_f32 v5, v1, v3, v5
	v_div_scale_f32 v1, s[22:23], v3, v3, v4
	v_rcp_f32_e32 v2, v1
	v_fma_f32 v6, -v1, v2, 1.0
	v_fmac_f32_e32 v2, v6, v2
	v_div_scale_f32 v6, vcc, v4, v3, v4
	v_mul_f32_e32 v7, v6, v2
	v_fma_f32 v8, -v1, v7, v6
	v_fmac_f32_e32 v7, v8, v2
	v_fma_f32 v1, -v1, v7, v6
	v_div_fmas_f32 v1, v1, v2, v7
	v_div_fixup_f32 v4, v1, v3, v4
	v_mov_b32_e32 v2, 0
	global_store_dwordx2 v[12:13], v[4:5], off
.LBB24_253:                             ;   in Loop: Header=BB24_16 Depth=1
	s_or_b64 exec, exec, s[28:29]
	s_movk_i32 s22, 0x47
	v_cmp_gt_i32_e32 vcc, s22, v2
	s_mov_b64 s[28:29], -1
	s_and_saveexec_b64 s[30:31], vcc
; %bb.254:                              ;   in Loop: Header=BB24_16 Depth=1
	v_cmp_eq_u32_e32 vcc, 0, v2
	s_orn2_b64 s[28:29], vcc, exec
; %bb.255:                              ;   in Loop: Header=BB24_16 Depth=1
	s_or_b64 exec, exec, s[30:31]
	s_and_b64 exec, exec, s[28:29]
	s_cbranch_execz .LBB24_14
; %bb.256:                              ;   in Loop: Header=BB24_16 Depth=1
	v_add_u32_e32 v1, s72, v102
	v_cmp_gt_i32_e32 vcc, s64, v1
	v_mov_b32_e32 v2, 0x47
	s_and_saveexec_b64 s[28:29], vcc
	s_cbranch_execz .LBB24_258
; %bb.257:                              ;   in Loop: Header=BB24_16 Depth=1
	v_add_u32_e32 v10, 0, v134
	ds_read2_b32 v[2:3], v10 offset0:64 offset1:65
	ds_read2st64_b32 v[4:5], v135 offset1:17
	ds_read2st64_b32 v[6:7], v10 offset0:18 offset1:35
	ds_read2st64_b32 v[8:9], v135 offset0:34 offset1:51
	ds_read_b32 v10, v10 offset:13312
	v_readlane_b32 s22, v213, 44
	s_waitcnt lgkmcnt(3)
	v_cvt_f32_f16_sdwa v15, v4 dst_sel:DWORD dst_unused:UNUSED_PAD src0_sel:WORD_1
	v_cvt_f32_f16_e32 v14, v4
	v_cvt_f32_f16_sdwa v17, v5 dst_sel:DWORD dst_unused:UNUSED_PAD src0_sel:WORD_1
	v_cvt_f32_f16_e32 v16, v5
	v_mad_u64_u32 v[12:13], s[22:23], s22, v1, v[22:23]
	v_pk_fma_f32 v[14:15], v[2:3], v[14:15], 0 op_sel_hi:[0,1,0]
	s_waitcnt lgkmcnt(2)
	v_pk_fma_f32 v[4:5], v[6:7], v[16:17], v[14:15] op_sel_hi:[0,1,1]
	s_waitcnt lgkmcnt(1)
	v_cvt_f32_f16_sdwa v15, v8 dst_sel:DWORD dst_unused:UNUSED_PAD src0_sel:WORD_1
	v_cvt_f32_f16_e32 v14, v8
	v_mov_b32_e32 v2, v7
	v_cvt_f32_f16_sdwa v7, v9 dst_sel:DWORD dst_unused:UNUSED_PAD src0_sel:WORD_1
	v_cvt_f32_f16_e32 v6, v9
	v_ashrrev_i32_e32 v13, 31, v12
	v_lshlrev_b64 v[12:13], 3, v[12:13]
	v_readlane_b32 s22, v212, 0
	v_add_co_u32_e32 v12, vcc, s22, v12
	v_readlane_b32 s22, v212, 1
	v_pk_fma_f32 v[4:5], v[2:3], v[14:15], v[4:5] op_sel_hi:[0,1,1]
	v_mov_b32_e32 v1, s22
	s_waitcnt lgkmcnt(0)
	v_pk_fma_f32 v[4:5], v[10:11], v[6:7], v[4:5] op_sel_hi:[0,1,1]
	v_addc_co_u32_e32 v13, vcc, v1, v13, vcc
	v_div_scale_f32 v1, s[22:23], v3, v3, v5
	v_rcp_f32_e32 v2, v1
	v_fma_f32 v6, -v1, v2, 1.0
	v_fmac_f32_e32 v2, v6, v2
	v_div_scale_f32 v6, vcc, v5, v3, v5
	v_mul_f32_e32 v7, v6, v2
	v_fma_f32 v8, -v1, v7, v6
	v_fmac_f32_e32 v7, v8, v2
	v_fma_f32 v1, -v1, v7, v6
	v_div_fmas_f32 v1, v1, v2, v7
	v_div_fixup_f32 v5, v1, v3, v5
	v_div_scale_f32 v1, s[22:23], v3, v3, v4
	v_rcp_f32_e32 v2, v1
	v_fma_f32 v6, -v1, v2, 1.0
	v_fmac_f32_e32 v2, v6, v2
	v_div_scale_f32 v6, vcc, v4, v3, v4
	v_mul_f32_e32 v7, v6, v2
	v_fma_f32 v8, -v1, v7, v6
	v_fmac_f32_e32 v7, v8, v2
	v_fma_f32 v1, -v1, v7, v6
	v_div_fmas_f32 v1, v1, v2, v7
	v_div_fixup_f32 v4, v1, v3, v4
	v_mov_b32_e32 v2, 0
	global_store_dwordx2 v[12:13], v[4:5], off
.LBB24_258:                             ;   in Loop: Header=BB24_16 Depth=1
	s_or_b64 exec, exec, s[28:29]
	s_movk_i32 s22, 0x47
	v_cmp_gt_i32_e32 vcc, s22, v2
	s_mov_b64 s[28:29], -1
	s_and_saveexec_b64 s[30:31], vcc
; %bb.259:                              ;   in Loop: Header=BB24_16 Depth=1
	v_cmp_eq_u32_e32 vcc, 0, v2
	s_orn2_b64 s[28:29], vcc, exec
; %bb.260:                              ;   in Loop: Header=BB24_16 Depth=1
	s_or_b64 exec, exec, s[30:31]
	s_and_b64 exec, exec, s[28:29]
	s_cbranch_execz .LBB24_14
; %bb.261:                              ;   in Loop: Header=BB24_16 Depth=1
	v_add_u32_e32 v1, s72, v103
	v_cmp_gt_i32_e32 vcc, s64, v1
	v_mov_b32_e32 v2, 0x47
	s_and_saveexec_b64 s[28:29], vcc
	s_cbranch_execz .LBB24_263
; %bb.262:                              ;   in Loop: Header=BB24_16 Depth=1
	v_add_u32_e32 v10, 0, v136
	ds_read2_b32 v[2:3], v10 offset0:64 offset1:65
	ds_read2st64_b32 v[4:5], v137 offset1:17
	ds_read2st64_b32 v[6:7], v10 offset0:18 offset1:35
	ds_read2st64_b32 v[8:9], v137 offset0:34 offset1:51
	ds_read_b32 v10, v10 offset:13312
	v_readlane_b32 s22, v213, 44
	s_waitcnt lgkmcnt(3)
	v_cvt_f32_f16_sdwa v15, v4 dst_sel:DWORD dst_unused:UNUSED_PAD src0_sel:WORD_1
	v_cvt_f32_f16_e32 v14, v4
	v_cvt_f32_f16_sdwa v17, v5 dst_sel:DWORD dst_unused:UNUSED_PAD src0_sel:WORD_1
	v_cvt_f32_f16_e32 v16, v5
	v_mad_u64_u32 v[12:13], s[22:23], s22, v1, v[22:23]
	v_pk_fma_f32 v[14:15], v[2:3], v[14:15], 0 op_sel_hi:[0,1,0]
	s_waitcnt lgkmcnt(2)
	v_pk_fma_f32 v[4:5], v[6:7], v[16:17], v[14:15] op_sel_hi:[0,1,1]
	s_waitcnt lgkmcnt(1)
	v_cvt_f32_f16_sdwa v15, v8 dst_sel:DWORD dst_unused:UNUSED_PAD src0_sel:WORD_1
	v_cvt_f32_f16_e32 v14, v8
	v_mov_b32_e32 v2, v7
	v_cvt_f32_f16_sdwa v7, v9 dst_sel:DWORD dst_unused:UNUSED_PAD src0_sel:WORD_1
	v_cvt_f32_f16_e32 v6, v9
	v_ashrrev_i32_e32 v13, 31, v12
	v_lshlrev_b64 v[12:13], 3, v[12:13]
	v_readlane_b32 s22, v212, 0
	v_add_co_u32_e32 v12, vcc, s22, v12
	v_readlane_b32 s22, v212, 1
	v_pk_fma_f32 v[4:5], v[2:3], v[14:15], v[4:5] op_sel_hi:[0,1,1]
	v_mov_b32_e32 v1, s22
	s_waitcnt lgkmcnt(0)
	v_pk_fma_f32 v[4:5], v[10:11], v[6:7], v[4:5] op_sel_hi:[0,1,1]
	v_addc_co_u32_e32 v13, vcc, v1, v13, vcc
	v_div_scale_f32 v1, s[22:23], v3, v3, v5
	v_rcp_f32_e32 v2, v1
	v_fma_f32 v6, -v1, v2, 1.0
	v_fmac_f32_e32 v2, v6, v2
	v_div_scale_f32 v6, vcc, v5, v3, v5
	v_mul_f32_e32 v7, v6, v2
	v_fma_f32 v8, -v1, v7, v6
	v_fmac_f32_e32 v7, v8, v2
	v_fma_f32 v1, -v1, v7, v6
	v_div_fmas_f32 v1, v1, v2, v7
	v_div_fixup_f32 v5, v1, v3, v5
	v_div_scale_f32 v1, s[22:23], v3, v3, v4
	v_rcp_f32_e32 v2, v1
	v_fma_f32 v6, -v1, v2, 1.0
	v_fmac_f32_e32 v2, v6, v2
	v_div_scale_f32 v6, vcc, v4, v3, v4
	v_mul_f32_e32 v7, v6, v2
	v_fma_f32 v8, -v1, v7, v6
	v_fmac_f32_e32 v7, v8, v2
	v_fma_f32 v1, -v1, v7, v6
	v_div_fmas_f32 v1, v1, v2, v7
	v_div_fixup_f32 v4, v1, v3, v4
	v_mov_b32_e32 v2, 0
	global_store_dwordx2 v[12:13], v[4:5], off
.LBB24_263:                             ;   in Loop: Header=BB24_16 Depth=1
	s_or_b64 exec, exec, s[28:29]
	s_movk_i32 s22, 0x47
	v_cmp_gt_i32_e32 vcc, s22, v2
	s_mov_b64 s[28:29], -1
	s_and_saveexec_b64 s[30:31], vcc
; %bb.264:                              ;   in Loop: Header=BB24_16 Depth=1
	v_cmp_eq_u32_e32 vcc, 0, v2
	s_orn2_b64 s[28:29], vcc, exec
; %bb.265:                              ;   in Loop: Header=BB24_16 Depth=1
	s_or_b64 exec, exec, s[30:31]
	s_and_b64 exec, exec, s[28:29]
	s_cbranch_execz .LBB24_14
; %bb.266:                              ;   in Loop: Header=BB24_16 Depth=1
	v_add_u32_e32 v1, s72, v104
	v_cmp_gt_i32_e32 vcc, s64, v1
	s_and_b64 exec, exec, vcc
	s_cbranch_execz .LBB24_14
; %bb.267:                              ;   in Loop: Header=BB24_16 Depth=1
	v_add_u32_e32 v10, 0, v138
	ds_read2_b32 v[2:3], v10 offset0:64 offset1:65
	ds_read2st64_b32 v[4:5], v139 offset1:17
	ds_read2st64_b32 v[6:7], v10 offset0:18 offset1:35
	ds_read2st64_b32 v[8:9], v139 offset0:34 offset1:51
	ds_read_b32 v10, v10 offset:13312
	v_readlane_b32 s22, v213, 44
	s_waitcnt lgkmcnt(3)
	v_cvt_f32_f16_sdwa v15, v4 dst_sel:DWORD dst_unused:UNUSED_PAD src0_sel:WORD_1
	v_cvt_f32_f16_e32 v14, v4
	v_cvt_f32_f16_sdwa v17, v5 dst_sel:DWORD dst_unused:UNUSED_PAD src0_sel:WORD_1
	v_cvt_f32_f16_e32 v16, v5
	v_mad_u64_u32 v[12:13], s[22:23], s22, v1, v[22:23]
	v_pk_fma_f32 v[14:15], v[2:3], v[14:15], 0 op_sel_hi:[0,1,0]
	s_waitcnt lgkmcnt(2)
	v_pk_fma_f32 v[4:5], v[6:7], v[16:17], v[14:15] op_sel_hi:[0,1,1]
	s_waitcnt lgkmcnt(1)
	v_cvt_f32_f16_sdwa v15, v8 dst_sel:DWORD dst_unused:UNUSED_PAD src0_sel:WORD_1
	v_cvt_f32_f16_e32 v14, v8
	v_mov_b32_e32 v2, v7
	v_cvt_f32_f16_sdwa v7, v9 dst_sel:DWORD dst_unused:UNUSED_PAD src0_sel:WORD_1
	v_cvt_f32_f16_e32 v6, v9
	v_ashrrev_i32_e32 v13, 31, v12
	v_lshlrev_b64 v[12:13], 3, v[12:13]
	v_readlane_b32 s22, v212, 0
	v_add_co_u32_e32 v12, vcc, s22, v12
	v_readlane_b32 s22, v212, 1
	v_pk_fma_f32 v[4:5], v[2:3], v[14:15], v[4:5] op_sel_hi:[0,1,1]
	v_mov_b32_e32 v1, s22
	s_waitcnt lgkmcnt(0)
	v_pk_fma_f32 v[4:5], v[10:11], v[6:7], v[4:5] op_sel_hi:[0,1,1]
	v_addc_co_u32_e32 v13, vcc, v1, v13, vcc
	v_div_scale_f32 v1, s[22:23], v3, v3, v5
	v_rcp_f32_e32 v2, v1
	v_fma_f32 v6, -v1, v2, 1.0
	v_fmac_f32_e32 v2, v6, v2
	v_div_scale_f32 v6, vcc, v5, v3, v5
	v_mul_f32_e32 v7, v6, v2
	v_fma_f32 v8, -v1, v7, v6
	v_fmac_f32_e32 v7, v8, v2
	v_fma_f32 v1, -v1, v7, v6
	v_div_fmas_f32 v1, v1, v2, v7
	v_div_fixup_f32 v5, v1, v3, v5
	v_div_scale_f32 v1, s[22:23], v3, v3, v4
	v_rcp_f32_e32 v2, v1
	v_fma_f32 v6, -v1, v2, 1.0
	v_fmac_f32_e32 v2, v6, v2
	v_div_scale_f32 v6, vcc, v4, v3, v4
	v_mul_f32_e32 v7, v6, v2
	v_fma_f32 v8, -v1, v7, v6
	v_fmac_f32_e32 v7, v8, v2
	v_fma_f32 v1, -v1, v7, v6
	v_div_fmas_f32 v1, v1, v2, v7
	v_div_fixup_f32 v4, v1, v3, v4
	global_store_dwordx2 v[12:13], v[4:5], off
	s_branch .LBB24_14
.LBB24_268:
	v_readlane_b32 s20, v213, 33
	v_readlane_b32 s68, v213, 27
	;; [unrolled: 1-line block ×10, first 2 shown]
	s_andn2_b64 vcc, exec, s[8:9]
	s_cbranch_vccnz .LBB24_12
.LBB24_269:
	v_readlane_b32 s10, v213, 7
	s_abs_i32 s4, s10
	v_cvt_f32_u32_e32 v1, s4
	s_sub_i32 s7, 0, s4
	s_abs_i32 s6, s90
	s_xor_b32 s5, s90, s10
	v_rcp_iflag_f32_e32 v1, v1
	s_ashr_i32 s5, s5, 31
	v_readlane_b32 s14, v213, 6
	v_readlane_b32 s11, v213, 3
	v_mul_f32_e32 v1, 0x4f7ffffe, v1
	v_cvt_u32_f32_e32 v1, v1
	v_readfirstlane_b32 s8, v1
	s_mul_i32 s7, s7, s8
	s_mul_hi_u32 s7, s8, s7
	s_add_i32 s8, s8, s7
	s_mul_hi_u32 s7, s6, s8
	s_mul_i32 s8, s7, s4
	s_sub_i32 s6, s6, s8
	s_add_i32 s9, s7, 1
	s_sub_i32 s8, s6, s4
	s_cmp_ge_u32 s6, s4
	s_cselect_b32 s7, s9, s7
	s_cselect_b32 s6, s8, s6
	s_add_i32 s8, s7, 1
	s_cmp_ge_u32 s6, s4
	s_cselect_b32 s4, s8, s7
	s_abs_i32 s6, s14
	v_cvt_f32_u32_e32 v1, s6
	s_xor_b32 s4, s4, s5
	s_sub_i32 s7, 0, s6
	s_sub_i32 s12, s4, s5
	v_rcp_iflag_f32_e32 v1, v1
	s_mul_i32 s4, s12, s10
	s_sub_i32 s4, s90, s4
	s_abs_i32 s8, s4
	v_mul_f32_e32 v1, 0x4f7ffffe, v1
	v_cvt_u32_f32_e32 v1, v1
	s_xor_b32 s5, s4, s14
	s_ashr_i32 s5, s5, 31
	v_readfirstlane_b32 s9, v1
	s_mul_i32 s7, s7, s9
	s_mul_hi_u32 s7, s9, s7
	s_add_i32 s9, s9, s7
	s_mul_hi_u32 s7, s8, s9
	s_mul_i32 s9, s7, s6
	s_sub_i32 s8, s8, s9
	s_add_i32 s10, s7, 1
	s_sub_i32 s9, s8, s6
	s_cmp_ge_u32 s8, s6
	s_cselect_b32 s7, s10, s7
	s_cselect_b32 s8, s9, s8
	s_add_i32 s9, s7, 1
	s_cmp_ge_u32 s8, s6
	s_cselect_b32 s6, s9, s7
	s_abs_i32 s7, s11
	v_cvt_f32_u32_e32 v1, s7
	s_xor_b32 s6, s6, s5
	s_sub_i32 s8, 0, s7
	s_sub_i32 s13, s6, s5
	v_rcp_iflag_f32_e32 v1, v1
	s_mul_i32 s5, s13, s14
	s_sub_i32 s5, s4, s5
	s_abs_i32 s6, s5
	v_mul_f32_e32 v1, 0x4f7ffffe, v1
	v_cvt_u32_f32_e32 v1, v1
	s_xor_b32 s4, s5, s11
	s_ashr_i32 s4, s4, 31
	v_readfirstlane_b32 s9, v1
	s_mul_i32 s8, s8, s9
	s_mul_hi_u32 s8, s9, s8
	s_add_i32 s9, s9, s8
	s_mul_hi_u32 s8, s6, s9
	s_mul_i32 s9, s8, s7
	s_sub_i32 s6, s6, s9
	s_add_i32 s10, s8, 1
	s_sub_i32 s9, s6, s7
	s_cmp_ge_u32 s6, s7
	s_cselect_b32 s8, s10, s8
	s_cselect_b32 s6, s9, s6
	s_add_i32 s9, s8, 1
	s_cmp_ge_u32 s6, s7
	s_cselect_b32 s6, s9, s8
	s_xor_b32 s6, s6, s4
	s_sub_i32 s4, s6, s4
	s_mul_i32 s6, s4, s11
	s_sub_i32 s5, s5, s6
	s_abs_i32 s16, s5
	s_ashr_i32 s14, s12, 31
	s_mul_hi_u32 s15, s16, s37
	s_cmp_eq_u64 s[54:55], 0
	s_mov_b64 s[8:9], 0
	s_cbranch_scc1 .LBB24_271
; %bb.270:
	s_abs_i32 s6, s18
	v_cvt_f32_u32_e32 v1, s6
	s_sub_i32 s8, 0, s6
	s_abs_i32 s7, s12
	v_readlane_b32 s10, v213, 17
	v_rcp_iflag_f32_e32 v1, v1
	v_readlane_b32 s11, v213, 18
	v_mul_f32_e32 v1, 0x4f7ffffe, v1
	v_cvt_u32_f32_e32 v1, v1
	v_readfirstlane_b32 s9, v1
	s_mul_i32 s8, s8, s9
	s_mul_hi_u32 s8, s9, s8
	s_add_i32 s9, s9, s8
	s_mul_hi_u32 s8, s7, s9
	s_mul_i32 s8, s8, s6
	s_sub_i32 s7, s7, s8
	s_sub_i32 s8, s7, s6
	s_cmp_ge_u32 s7, s6
	s_cselect_b32 s7, s8, s7
	s_sub_i32 s8, s7, s6
	s_cmp_ge_u32 s7, s6
	s_cselect_b32 s6, s8, s7
	s_xor_b32 s6, s6, s14
	s_sub_i32 s6, s6, s14
	s_ashr_i32 s7, s6, 31
	s_mul_i32 s8, s6, s11
	s_mul_hi_u32 s9, s6, s10
	s_add_i32 s8, s9, s8
	s_mul_i32 s7, s7, s10
	s_add_i32 s7, s8, s7
	s_mul_i32 s6, s6, s10
	s_add_u32 s8, s54, s6
	s_addc_u32 s9, s55, s7
.LBB24_271:
	s_ashr_i32 s18, s5, 31
	v_readlane_b32 s5, v213, 2
	s_mul_i32 s17, s13, s5
	s_add_i32 s17, s17, s4
	v_cmp_le_f32_e64 s[4:5], s21, 0
	s_and_b64 vcc, exec, s[4:5]
	v_mov_b32_e32 v20, 1.0
	s_cbranch_vccnz .LBB24_273
; %bb.272:
	v_readlane_b32 s5, v213, 14
	s_sub_i32 s4, s17, s5
	s_lshl_b32 s4, s4, 1
	s_add_i32 s6, s17, 1
	s_or_b32 s7, s4, 1
	s_cmp_lt_u32 s17, s5
	s_cselect_b64 vcc, -1, 0
	s_and_b64 s[4:5], vcc, exec
	v_mov_b32_e32 v1, s23
	v_mov_b32_e32 v2, s22
	s_cselect_b32 s4, s6, s7
	v_cndmask_b32_e32 v18, v1, v2, vcc
	v_cvt_f32_i32_e32 v1, s4
	v_cmp_neq_f32_e32 vcc, 1.0, v18
	s_mov_b32 s4, 0x3f2aaaab
	s_movk_i32 s6, 0x204
	v_cndmask_b32_e32 v19, 1.0, v1, vcc
	v_cmp_eq_f32_e32 vcc, 0, v19
	v_cndmask_b32_e64 v20, |v18|, 1.0, vcc
	v_frexp_mant_f32_e32 v1, v20
	v_cmp_gt_f32_e64 s[4:5], s4, v1
	v_cndmask_b32_e64 v2, 1.0, 2.0, s[4:5]
	v_mul_f32_e32 v1, v1, v2
	v_add_f32_e32 v2, 1.0, v1
	v_rcp_f32_e32 v10, v2
	v_add_f32_e32 v3, -1.0, v2
	v_sub_f32_e32 v5, v1, v3
	v_add_f32_e32 v3, -1.0, v1
	v_mul_f32_e32 v1, v3, v10
	v_mul_f32_e32 v4, v2, v1
	v_fma_f32 v6, v1, v2, -v4
	v_fmac_f32_e32 v6, v1, v5
	v_add_f32_e32 v2, v4, v6
	v_sub_f32_e32 v5, v3, v2
	v_pk_add_f32 v[8:9], v[2:3], v[4:5] neg_lo:[0,1] neg_hi:[0,1]
	v_mov_b32_e32 v7, v2
	v_pk_add_f32 v[2:3], v[8:9], v[6:7] neg_lo:[0,1] neg_hi:[0,1]
	v_add_f32_e32 v2, v2, v3
	v_add_f32_e32 v2, v5, v2
	v_mul_f32_e32 v3, v10, v2
	v_add_f32_e32 v2, v1, v3
	v_sub_f32_e32 v1, v2, v1
	v_sub_f32_e32 v1, v3, v1
	v_mul_f32_e32 v3, v2, v2
	v_fma_f32 v5, v2, v2, -v3
	v_add_f32_e32 v4, v1, v1
	v_fmac_f32_e32 v5, v2, v4
	v_add_f32_e32 v4, v3, v5
	v_mov_b32_e32 v6, 0x3e91f4c4
	v_fmac_f32_e32 v6, 0x3e76c4e1, v4
	v_mov_b32_e32 v7, 0x3ecccdef
	v_fmac_f32_e32 v7, v4, v6
	v_sub_f32_e32 v3, v4, v3
	v_sub_f32_e32 v12, v5, v3
	v_mul_f32_e32 v3, v4, v7
	v_fma_f32 v5, v4, v7, -v3
	v_fmac_f32_e32 v5, v12, v7
	v_add_f32_e32 v6, v3, v5
	v_add_f32_e32 v7, 0x3f2aaaaa, v6
	v_sub_f32_e32 v3, v6, v3
	v_sub_f32_e32 v3, v5, v3
	v_add_f32_e32 v5, 0xbf2aaaaa, v7
	v_add_f32_e32 v3, 0x31739010, v3
	v_sub_f32_e32 v5, v6, v5
	v_pk_mul_f32 v[8:9], v[2:3], v[4:5]
	v_fma_f32 v6, v4, v2, -v8
	v_pk_add_f32 v[10:11], v[2:3], v[4:5]
	v_fmac_f32_e32 v6, v4, v1
	v_mov_b32_e32 v9, v11
	v_fmac_f32_e32 v6, v12, v2
	v_pk_add_f32 v[4:5], v[8:9], v[6:7]
	v_sub_f32_e32 v3, v4, v8
	v_sub_f32_e32 v3, v6, v3
	;; [unrolled: 1-line block ×3, first 2 shown]
	v_add_f32_e32 v9, v11, v6
	v_mov_b32_e32 v6, v5
	v_pk_mul_f32 v[6:7], v[4:5], v[6:7]
	v_cvt_f64_f32_e32 v[10:11], v20
	v_frexp_exp_i32_f64_e32 v7, v[10:11]
	v_subbrev_co_u32_e64 v7, s[4:5], 0, v7, s[4:5]
	v_cvt_f32_i32_e32 v7, v7
	v_fma_f32 v8, v4, v5, -v6
	v_fmac_f32_e32 v8, v4, v9
	s_mov_b32 s4, 0x3f317218
	v_mul_f32_e32 v4, 0x3f317218, v7
	v_fmac_f32_e32 v8, v3, v5
	v_fma_f32 v10, v7, s4, -v4
	v_fmac_f32_e32 v10, 0xb102e308, v7
	v_ldexp_f32 v11, v2, 1
	v_add_f32_e32 v5, v6, v8
	v_pk_add_f32 v[2:3], v[4:5], v[10:11]
	v_mov_b32_e32 v12, v5
	v_mov_b32_e32 v13, v3
	;; [unrolled: 1-line block ×3, first 2 shown]
	v_pk_add_f32 v[6:7], v[12:13], v[6:7] neg_lo:[0,1] neg_hi:[0,1]
	v_mov_b32_e32 v9, v5
	v_ldexp_f32 v1, v1, 1
	v_pk_add_f32 v[6:7], v[8:9], v[6:7] neg_lo:[0,1] neg_hi:[0,1]
	v_add_f32_e32 v1, v1, v6
	v_add_f32_e32 v5, v1, v7
	v_pk_add_f32 v[6:7], v[2:3], v[4:5] neg_lo:[0,1] neg_hi:[0,1]
	v_pk_add_f32 v[8:9], v[2:3], v[4:5]
	v_mov_b32_e32 v12, v6
	v_mov_b32_e32 v13, v9
	;; [unrolled: 1-line block ×3, first 2 shown]
	v_pk_add_f32 v[12:13], v[10:11], v[12:13]
	v_mov_b32_e32 v4, v13
	v_pk_add_f32 v[14:15], v[4:5], v[2:3] neg_lo:[0,1] neg_hi:[0,1]
	v_mov_b32_e32 v1, v14
	v_mov_b32_e32 v12, v9
	;; [unrolled: 1-line block ×4, first 2 shown]
	v_pk_add_f32 v[6:7], v[10:11], v[6:7] neg_lo:[0,1] neg_hi:[0,1]
	v_pk_add_f32 v[16:17], v[8:9], v[0:1] neg_lo:[0,1] neg_hi:[0,1]
	;; [unrolled: 1-line block ×3, first 2 shown]
	v_mov_b32_e32 v10, v5
	v_pk_add_f32 v[2:3], v[10:11], v[2:3] neg_lo:[0,1] neg_hi:[0,1]
	v_mov_b32_e32 v16, v6
	v_pk_add_f32 v[8:9], v[16:17], v[2:3]
	v_mov_b32_e32 v10, v9
	v_pk_add_f32 v[10:11], v[8:9], v[10:11]
	v_pk_add_f32 v[4:5], v[4:5], v[10:11]
	v_mov_b32_e32 v7, v13
	v_mov_b32_e32 v9, v4
	v_pk_add_f32 v[12:13], v[8:9], v[6:7] neg_lo:[0,1] neg_hi:[0,1]
	v_mov_b32_e32 v3, v10
	v_sub_f32_e32 v1, v8, v12
	v_pk_add_f32 v[2:3], v[2:3], v[12:13] neg_lo:[0,1] neg_hi:[0,1]
	v_sub_f32_e32 v1, v6, v1
	v_add_f32_e32 v1, v2, v1
	v_add_f32_e32 v1, v1, v3
	;; [unrolled: 1-line block ×3, first 2 shown]
	v_sub_f32_e32 v3, v2, v4
	v_sub_f32_e32 v1, v1, v3
	v_mul_f32_e32 v3, v19, v2
	v_fma_f32 v2, v19, v2, -v3
	v_fmac_f32_e32 v2, v19, v1
	v_add_f32_e32 v1, v3, v2
	v_cmp_class_f32_e64 s[4:5], v3, s6
	v_sub_f32_e32 v4, v1, v3
	v_cndmask_b32_e64 v1, v1, v3, s[4:5]
	s_mov_b32 s10, 0x42b17218
	v_mov_b32_e32 v3, 0x37000000
	v_cmp_eq_f32_e64 s[4:5], s10, v1
	v_cndmask_b32_e64 v3, 0, v3, s[4:5]
	v_sub_f32_e32 v2, v2, v4
	v_sub_f32_e32 v4, v1, v3
	s_mov_b32 s4, 0x3fb8aa3b
	v_mul_f32_e32 v5, 0x3fb8aa3b, v4
	v_fma_f32 v6, v4, s4, -v5
	v_rndne_f32_e32 v7, v5
	v_fmac_f32_e32 v6, 0x32a5705f, v4
	v_sub_f32_e32 v5, v5, v7
	v_add_f32_e32 v5, v5, v6
	v_exp_f32_e32 v5, v5
	v_cvt_i32_f32_e32 v6, v7
	s_mov_b32 s7, 0x7f800000
	v_cmp_neq_f32_e64 s[4:5], |v1|, s7
	v_cndmask_b32_e64 v1, 0, v2, s[4:5]
	s_mov_b32 s4, 0xc2ce8ed0
	v_ldexp_f32 v2, v5, v6
	v_cmp_ngt_f32_e64 s[4:5], s4, v4
	v_add_f32_e32 v1, v3, v1
	v_cndmask_b32_e64 v2, 0, v2, s[4:5]
	v_mov_b32_e32 v3, 0x7f800000
	v_cmp_nlt_f32_e64 s[4:5], s10, v4
	v_cndmask_b32_e64 v2, v3, v2, s[4:5]
	v_fma_f32 v1, v2, v1, v2
	v_cmp_class_f32_e64 s[4:5], v2, s6
	v_trunc_f32_e32 v4, v19
	v_cndmask_b32_e64 v1, v1, v2, s[4:5]
	v_cndmask_b32_e64 v2, v18, 1.0, vcc
	v_cmp_eq_f32_e32 vcc, v4, v19
	v_mul_f32_e32 v4, 0.5, v19
	v_trunc_f32_e32 v6, v4
	v_cmp_neq_f32_e64 s[4:5], v6, v4
	s_and_b64 s[4:5], vcc, s[4:5]
	v_cndmask_b32_e64 v4, 1.0, v2, s[4:5]
	s_brev_b32 s19, -2
	v_mov_b32_e32 v5, 0x7fc00000
	v_bfi_b32 v1, s19, v1, v4
	v_cndmask_b32_e32 v4, v5, v1, vcc
	v_cmp_gt_f32_e32 vcc, 0, v2
	v_cndmask_b32_e32 v1, v1, v4, vcc
	v_cmp_eq_f32_e32 vcc, s7, v20
	v_cmp_eq_f32_e64 s[6:7], 0, v2
	v_cmp_gt_f32_e64 s[10:11], 0, v19
	s_xor_b64 s[10:11], s[10:11], s[6:7]
	v_cndmask_b32_e64 v3, v3, 0, s[10:11]
	v_cndmask_b32_e64 v4, 0, v2, s[4:5]
	v_bfi_b32 v3, s19, v3, v4
	s_or_b64 vcc, vcc, s[6:7]
	v_cndmask_b32_e32 v1, v1, v3, vcc
	v_cmp_o_f32_e32 vcc, v2, v2
	v_cndmask_b32_e32 v20, v5, v1, vcc
.LBB24_273:
	s_mul_i32 s5, s15, s97
	v_readlane_b32 s4, v213, 26
	s_sub_i32 s5, s16, s5
	s_xor_b32 s4, s18, s4
	s_add_i32 s6, s15, 1
	s_sub_i32 s7, s5, s97
	s_cmp_ge_u32 s5, s97
	s_cselect_b32 s6, s6, s15
	s_cselect_b32 s5, s7, s5
	s_add_i32 s7, s6, 1
	s_cmp_ge_u32 s5, s97
	s_cselect_b32 s5, s7, s6
	s_xor_b32 s5, s5, s4
	s_sub_i32 s4, s5, s4
	s_cmp_eq_u64 s[58:59], 0
	v_mov_b32_e32 v16, s91
	s_cbranch_scc1 .LBB24_275
; %bb.274:
	v_readlane_b32 s5, v213, 0
	s_mul_i32 s5, s12, s5
	s_add_i32 s6, s4, s5
	s_ashr_i32 s7, s6, 31
	s_lshl_b64 s[6:7], s[6:7], 2
	s_add_u32 s6, s58, s6
	s_addc_u32 s7, s59, s7
	v_mov_b32_e32 v1, 0
	global_load_dword v1, v1, s[6:7]
	s_waitcnt vmcnt(0)
	v_ashrrev_i32_e32 v2, 31, v1
	v_lshrrev_b32_e32 v2, 26, v2
	v_add_u32_e32 v1, v1, v2
	v_ashrrev_i32_e32 v1, 6, v1
	v_min_i32_e32 v16, s91, v1
.LBB24_275:
	v_readlane_b32 s10, v213, 8
	v_readlane_b32 s11, v213, 9
	s_mul_i32 s5, s12, s11
	s_ashr_i32 s6, s5, 31
	s_add_u32 s5, s48, s5
	s_mul_i32 s17, s17, s10
	s_addc_u32 s7, s49, s6
	s_ashr_i32 s10, s17, 31
	s_add_u32 s6, s5, s17
	s_addc_u32 s7, s7, s10
	s_lshl_b32 s10, s4, 4
	v_add_u32_e32 v80, s10, v69
	v_and_b32_e32 v32, 0x3ff, v0
	v_cmp_le_i32_e32 vcc, s64, v80
	s_and_saveexec_b64 s[4:5], vcc
	s_xor_b64 s[4:5], exec, s[4:5]
	s_cbranch_execz .LBB24_277
; %bb.276:
	s_movk_i32 s11, 0x44
	v_mad_u32_u24 v0, v69, s11, v32
	v_lshl_add_u32 v0, v0, 2, 0
	v_mov_b32_e32 v1, 0
	ds_write_b32 v0, v1
.LBB24_277:
	s_andn2_saveexec_b64 s[4:5], s[4:5]
	s_cbranch_execz .LBB24_279
; %bb.278:
	v_readlane_b32 s11, v213, 19
	v_mad_u64_u32 v[0:1], s[16:17], v80, s11, v[32:33]
	v_ashrrev_i32_e32 v1, 31, v0
	v_lshlrev_b64 v[0:1], 3, v[0:1]
	v_mov_b32_e32 v2, s7
	v_add_co_u32_e32 v0, vcc, s6, v0
	v_addc_co_u32_e32 v1, vcc, v2, v1, vcc
	global_load_dwordx2 v[0:1], v[0:1], off
	s_movk_i32 s11, 0x44
	v_mad_u32_u24 v2, v69, s11, v32
	s_waitcnt vmcnt(0)
	v_cvt_f16_f32_e32 v0, v0
	v_cvt_f16_f32_e32 v1, v1
	v_pack_b32_f16 v0, v0, v1
	v_pk_mul_f16 v0, v75, v0
	v_lshl_add_u32 v1, v2, 2, 0
	ds_write_b32 v1, v0
.LBB24_279:
	s_or_b64 exec, exec, s[4:5]
	v_add_u32_e32 v83, s10, v78
	v_cmp_le_i32_e32 vcc, s64, v83
	s_and_saveexec_b64 s[4:5], vcc
	s_xor_b64 s[4:5], exec, s[4:5]
	s_cbranch_execz .LBB24_281
; %bb.280:
	s_movk_i32 s11, 0x44
	v_mad_u32_u24 v0, v78, s11, v32
	v_lshl_add_u32 v0, v0, 2, 0
	v_mov_b32_e32 v1, 0
	ds_write_b32 v0, v1
                                        ; implicit-def: $vgpr78
.LBB24_281:
	s_andn2_saveexec_b64 s[4:5], s[4:5]
	s_cbranch_execz .LBB24_283
; %bb.282:
	v_readlane_b32 s11, v213, 19
	v_mad_u64_u32 v[0:1], s[16:17], v83, s11, v[32:33]
	v_ashrrev_i32_e32 v1, 31, v0
	v_lshlrev_b64 v[0:1], 3, v[0:1]
	v_mov_b32_e32 v2, s7
	v_add_co_u32_e32 v0, vcc, s6, v0
	v_addc_co_u32_e32 v1, vcc, v2, v1, vcc
	global_load_dwordx2 v[0:1], v[0:1], off
	s_movk_i32 s11, 0x44
	v_mad_u32_u24 v2, v78, s11, v32
	s_waitcnt vmcnt(0)
	v_cvt_f16_f32_e32 v0, v0
	v_cvt_f16_f32_e32 v1, v1
	v_pack_b32_f16 v0, v0, v1
	v_pk_mul_f16 v0, v75, v0
	v_lshl_add_u32 v1, v2, 2, 0
	ds_write_b32 v1, v0
.LBB24_283:
	s_or_b64 exec, exec, s[4:5]
	v_add_u32_e32 v84, s10, v77
	v_cmp_le_i32_e32 vcc, s64, v84
	s_and_saveexec_b64 s[4:5], vcc
	s_xor_b64 s[4:5], exec, s[4:5]
	s_cbranch_execz .LBB24_285
; %bb.284:
	s_movk_i32 s11, 0x44
	v_mad_u32_u24 v0, v77, s11, v32
	v_lshl_add_u32 v0, v0, 2, 0
	v_mov_b32_e32 v1, 0
	ds_write_b32 v0, v1
                                        ; implicit-def: $vgpr77
.LBB24_285:
	s_andn2_saveexec_b64 s[4:5], s[4:5]
	s_cbranch_execz .LBB24_287
; %bb.286:
	v_readlane_b32 s11, v213, 19
	v_mad_u64_u32 v[0:1], s[16:17], v84, s11, v[32:33]
	v_ashrrev_i32_e32 v1, 31, v0
	v_lshlrev_b64 v[0:1], 3, v[0:1]
	v_mov_b32_e32 v2, s7
	v_add_co_u32_e32 v0, vcc, s6, v0
	v_addc_co_u32_e32 v1, vcc, v2, v1, vcc
	global_load_dwordx2 v[0:1], v[0:1], off
	s_movk_i32 s11, 0x44
	v_mad_u32_u24 v2, v77, s11, v32
	s_waitcnt vmcnt(0)
	v_cvt_f16_f32_e32 v0, v0
	v_cvt_f16_f32_e32 v1, v1
	v_pack_b32_f16 v0, v0, v1
	v_pk_mul_f16 v0, v75, v0
	v_lshl_add_u32 v1, v2, 2, 0
	ds_write_b32 v1, v0
.LBB24_287:
	s_or_b64 exec, exec, s[4:5]
	v_add_u32_e32 v85, s10, v76
	v_cmp_le_i32_e32 vcc, s64, v85
	s_and_saveexec_b64 s[4:5], vcc
	s_xor_b64 s[4:5], exec, s[4:5]
	s_cbranch_execz .LBB24_289
; %bb.288:
	s_movk_i32 s10, 0x44
	v_mad_u32_u24 v0, v76, s10, v32
	v_lshl_add_u32 v0, v0, 2, 0
	v_mov_b32_e32 v1, 0
	ds_write_b32 v0, v1
                                        ; implicit-def: $vgpr75
                                        ; implicit-def: $vgpr76
.LBB24_289:
	s_andn2_saveexec_b64 s[4:5], s[4:5]
	s_cbranch_execz .LBB24_291
; %bb.290:
	v_readlane_b32 s10, v213, 19
	v_mad_u64_u32 v[0:1], s[10:11], v85, s10, v[32:33]
	v_ashrrev_i32_e32 v1, 31, v0
	v_lshlrev_b64 v[0:1], 3, v[0:1]
	v_mov_b32_e32 v2, s7
	v_add_co_u32_e32 v0, vcc, s6, v0
	v_addc_co_u32_e32 v1, vcc, v2, v1, vcc
	global_load_dwordx2 v[0:1], v[0:1], off
	s_movk_i32 s6, 0x44
	v_mad_u32_u24 v2, v76, s6, v32
	s_waitcnt vmcnt(0)
	v_cvt_f16_f32_e32 v0, v0
	v_cvt_f16_f32_e32 v1, v1
	v_pack_b32_f16 v0, v0, v1
	v_pk_mul_f16 v0, v75, v0
	v_lshl_add_u32 v1, v2, 2, 0
	ds_write_b32 v1, v0
.LBB24_291:
	s_or_b64 exec, exec, s[4:5]
	v_readlane_b32 s6, v213, 15
	v_readlane_b32 s7, v213, 16
	s_mul_i32 s4, s12, s7
	s_mul_hi_u32 s5, s12, s6
	s_add_i32 s4, s5, s4
	s_mul_i32 s5, s14, s6
	v_readlane_b32 s16, v213, 22
	s_add_i32 s4, s4, s5
	s_mul_i32 s5, s12, s6
	v_readlane_b32 s19, v213, 25
	s_add_u32 s5, s52, s5
	s_mul_i32 s6, s13, s19
	s_addc_u32 s4, s53, s4
	s_ashr_i32 s7, s6, 31
	v_readlane_b32 s17, v213, 23
	s_add_u32 s33, s5, s6
	s_addc_u32 s36, s4, s7
	s_mul_i32 s4, s12, s17
	s_mul_hi_u32 s5, s12, s16
	s_add_i32 s4, s5, s4
	s_mul_i32 s14, s14, s16
	v_lshrrev_b32_e32 v1, 3, v32
	s_add_i32 s4, s4, s14
	v_and_b32_e32 v17, 0xff0, v71
	s_movk_i32 s14, 0x110
	v_and_b32_e32 v54, 15, v32
	v_and_b32_e32 v55, 0x7e, v1
	v_mad_u32_u24 v0, v17, s14, 0
	v_mul_u32_u24_e32 v81, 0x110, v54
	v_lshlrev_b32_e32 v82, 2, v55
	v_add3_u32 v0, v0, v81, v82
	s_waitcnt lgkmcnt(0)
	s_barrier
	ds_read2_b64 v[12:15], v0 offset1:4
	ds_read2_b64 v[8:11], v0 offset0:8 offset1:12
	ds_read2_b64 v[4:7], v0 offset0:16 offset1:20
	;; [unrolled: 1-line block ×3, first 2 shown]
	v_readlane_b32 s6, v213, 20
	s_mul_i32 s12, s12, s16
	v_readlane_b32 s7, v213, 21
	s_add_u32 s5, s50, s12
	s_mul_i32 s13, s13, s7
	s_addc_u32 s4, s51, s4
	s_ashr_i32 s6, s13, 31
	v_add_u32_e32 v89, -1, v16
	s_add_u32 s37, s5, s13
	v_cmp_ge_i32_e32 vcc, s40, v89
	s_addc_u32 s38, s4, s6
	s_mov_b32 s39, 0
	s_and_b64 vcc, exec, vcc
	v_mov_b32_e32 v63, 0
	v_or_b32_e32 v79, v17, v54
	v_lshlrev_b32_e32 v87, 1, v32
	v_mbcnt_lo_u32_b32 v62, -1, 0
	v_lshrrev_b32_e32 v86, 4, v32
	v_lshlrev_b32_e32 v33, 2, v32
	v_lshrrev_b32_e32 v60, 2, v32
	v_lshlrev_b32_e32 v59, 1, v54
	v_readlane_b32 s18, v213, 24
	s_waitcnt lgkmcnt(0)
	s_barrier
	s_cbranch_vccnz .LBB24_301
; %bb.292:
	v_readlane_b32 s10, v213, 10
	v_mul_hi_u32 v21, s10, v84
	v_readlane_b32 s11, v213, 11
	v_add_u32_e32 v21, v84, v21
	v_lshrrev_b32_e32 v21, s11, v21
	v_mul_lo_u32 v21, v21, s64
	v_sub_u32_e32 v21, v84, v21
	v_mad_i64_i32 v[22:23], s[6:7], v21, s72, 0
	v_mul_hi_u32 v21, s10, v85
	v_add_u32_e32 v21, v85, v21
	v_lshrrev_b32_e32 v21, s11, v21
	v_mul_lo_u32 v21, v21, s64
	v_sub_u32_e32 v21, v85, v21
	v_mad_i64_i32 v[24:25], s[6:7], v21, s72, 0
	v_mbcnt_hi_u32_b32 v21, -1, v62
	v_mov_b32_e32 v16, s9
	v_add_co_u32_e32 v91, vcc, s8, v87
	v_and_b32_e32 v26, 64, v21
	v_addc_co_u32_e32 v92, vcc, 0, v16, vcc
	v_add_u32_e32 v26, 64, v26
	v_xor_b32_e32 v27, 32, v21
	v_cmp_lt_i32_e32 vcc, v27, v26
	v_cndmask_b32_e32 v27, v21, v27, vcc
	v_lshlrev_b32_e32 v97, 2, v27
	v_xor_b32_e32 v27, 16, v21
	v_cmp_lt_i32_e32 vcc, v27, v26
	v_mul_u32_u24_e32 v18, 0x90, v69
	v_cndmask_b32_e32 v21, v21, v27, vcc
	v_mul_hi_u32 v16, s10, v80
	v_add3_u32 v93, 0, v18, v87
	v_mul_hi_u32 v18, s10, v83
	v_lshlrev_b32_e32 v98, 2, v21
	v_add_u32_e32 v21, v71, v86
	v_and_b32_e32 v40, 60, v33
	v_add_u32_e32 v16, v80, v16
	v_add_u32_e32 v18, v83, v18
	v_mul_u32_u24_e32 v26, 0x110, v21
	v_lshlrev_b32_e32 v27, 2, v40
	s_cmp_lg_u64 s[8:9], 0
	v_lshrrev_b32_e32 v16, s11, v16
	v_lshrrev_b32_e32 v18, s11, v18
	v_add3_u32 v99, 0, v26, v27
	v_and_b32_e32 v26, 48, v67
	v_and_b32_e32 v28, 0xfc, v60
	s_cselect_b64 s[26:27], -1, 0
	v_mul_lo_u32 v16, v16, s64
	v_mul_lo_u32 v18, v18, s64
	;; [unrolled: 1-line block ×3, first 2 shown]
	s_lshl_b32 s15, s80, 4
	v_mad_u32_u24 v27, v26, s14, 0
	v_add_u32_e32 v29, v26, v28
	v_add_u16_e32 v26, v26, v28
	v_mul_lo_u32 v48, s66, v21
	s_lshl_b32 s22, s66, 4
	v_sub_u32_e32 v16, v80, v16
	v_sub_u32_e32 v18, v83, v18
	v_add_u32_e32 v42, s15, v38
	v_lshrrev_b16_e32 v26, 1, v26
	v_add_u32_e32 v50, s22, v48
	v_mad_i64_i32 v[16:17], s[6:7], v16, s72, 0
	v_mad_i64_i32 v[18:19], s[6:7], v18, s72, 0
	v_add_u32_e32 v44, s15, v42
	v_mul_u32_u24_e32 v30, 0x90, v79
	v_lshlrev_b32_e32 v26, 2, v26
	v_add_u32_e32 v52, s22, v50
	v_cmp_gt_u32_e64 s[6:7], 64, v21
	v_cmp_gt_u32_e64 s[24:25], 48, v21
	;; [unrolled: 1-line block ×4, first 2 shown]
	v_add_u32_e32 v46, s15, v44
	v_add3_u32 v58, 0, v30, v26
	v_add_u32_e32 v56, s22, v52
	v_mul_u32_u24_e32 v21, 0x88, v28
	v_mul_u32_u24_e32 v26, 0x110, v28
	v_or_b32_e32 v28, 3, v60
	s_mov_b64 s[28:29], src_private_base
	v_ashrrev_i32_e32 v39, 31, v38
	v_ashrrev_i32_e32 v43, 31, v42
	v_ashrrev_i32_e32 v45, 31, v44
	v_ashrrev_i32_e32 v47, 31, v46
	v_ashrrev_i32_e32 v49, 31, v48
	v_ashrrev_i32_e32 v51, 31, v50
	v_ashrrev_i32_e32 v53, 31, v52
	v_ashrrev_i32_e32 v57, 31, v56
	v_or_b32_e32 v21, v21, v54
	v_mul_u32_u24_e32 v28, 0x110, v28
	v_add3_u32 v106, v27, v26, v59
	v_cmp_gt_u32_e64 s[4:5], 64, v32
	v_mov_b32_e32 v90, 0
	v_add_u32_e32 v94, 0x240, v93
	v_add_u32_e32 v95, 0x480, v93
	;; [unrolled: 1-line block ×3, first 2 shown]
	s_mov_b32 s28, 0
	v_add_u32_e32 v100, 0x1100, v99
	v_add_u32_e32 v101, 0x2200, v99
	v_add_u32_e32 v102, 0x3300, v99
	v_add3_u32 v104, v27, v81, v82
	v_cmp_gt_u32_e64 s[14:15], 64, v29
	v_cmp_gt_u32_e64 s[16:17], 63, v29
	;; [unrolled: 1-line block ×4, first 2 shown]
	v_lshl_add_u32 v105, v21, 1, v27
	v_add3_u32 v107, v27, v28, v59
	v_add_u32_e32 v108, 32, v106
	v_add_u32_e32 v109, 64, v106
	;; [unrolled: 1-line block ×7, first 2 shown]
	v_mov_b32_e32 v26, v20
	v_mov_b32_e32 v27, v20
	s_lshl_b32 s30, s40, 6
	v_mov_b32_e32 v88, 0xfeffffff
	v_lshlrev_b64 v[28:29], 1, v[16:17]
	v_lshlrev_b64 v[30:31], 1, v[18:19]
	;; [unrolled: 1-line block ×5, first 2 shown]
	v_lshlrev_b32_e32 v115, 2, v40
	v_lshlrev_b64 v[40:41], 2, v[42:43]
	v_lshlrev_b64 v[42:43], 2, v[44:45]
	;; [unrolled: 1-line block ×3, first 2 shown]
	v_add_u32_e32 v116, 0x4400, v58
	s_mov_b32 s41, 0x3fb8aa3b
	s_mov_b32 s42, 0xc2ce8ed0
	;; [unrolled: 1-line block ×4, first 2 shown]
	v_lshlrev_b64 v[46:47], 2, v[48:49]
	v_lshlrev_b64 v[48:49], 2, v[50:51]
	;; [unrolled: 1-line block ×4, first 2 shown]
	s_mov_b32 s45, 0x5040100
	v_mov_b32_e32 v117, 0x7f800000
	v_mov_b32_e32 v118, 0
	;; [unrolled: 1-line block ×18, first 2 shown]
.LBB24_293:                             ; =>This Inner Loop Header: Depth=1
	v_cndmask_b32_e64 v16, 0, 1, s[26:27]
	v_cmp_ne_u32_e64 s[22:23], 1, v16
	s_andn2_b64 vcc, exec, s[26:27]
	s_ashr_i32 s31, s30, 31
	s_cbranch_vccnz .LBB24_297
; %bb.294:                              ;   in Loop: Header=BB24_293 Depth=1
	v_mov_b32_e32 v16, 0
	v_mov_b32_e32 v17, 0
	;; [unrolled: 1-line block ×4, first 2 shown]
	s_and_saveexec_b64 s[34:35], s[4:5]
	s_cbranch_execz .LBB24_296
; %bb.295:                              ;   in Loop: Header=BB24_293 Depth=1
	s_lshl_b64 s[46:47], s[30:31], 1
	v_mov_b32_e32 v16, s47
	v_add_co_u32_e32 v21, vcc, s46, v91
	v_addc_co_u32_e32 v25, vcc, v92, v16, vcc
	v_add_co_u32_e32 v16, vcc, v21, v28
	v_addc_co_u32_e32 v17, vcc, v25, v29, vcc
	;; [unrolled: 2-line block ×5, first 2 shown]
	flat_load_ushort v16, v[16:17]
	s_nop 0
	flat_load_ushort v17, v[18:19]
	s_nop 0
	flat_load_ushort v18, v[22:23]
	flat_load_ushort v19, v[24:25]
.LBB24_296:                             ;   in Loop: Header=BB24_293 Depth=1
	s_or_b64 exec, exec, s[34:35]
	s_waitcnt vmcnt(0) lgkmcnt(0)
	ds_write_b16 v93, v16 offset:17408
	ds_write_b16 v94, v17 offset:17408
	;; [unrolled: 1-line block ×4, first 2 shown]
.LBB24_297:                             ;   in Loop: Header=BB24_293 Depth=1
	s_mul_hi_i32 s35, s30, s80
	s_mul_i32 s34, s30, s80
	s_lshl_b64 s[34:35], s[34:35], 2
	s_add_u32 s31, s37, s34
	s_addc_u32 s34, s38, s35
	v_mov_b32_e32 v16, s34
	v_add_co_u32_e32 v17, vcc, s31, v38
	v_addc_co_u32_e32 v16, vcc, v16, v39, vcc
	v_add_co_u32_e32 v18, vcc, v17, v115
	v_addc_co_u32_e32 v16, vcc, 0, v16, vcc
	v_mov_b32_e32 v21, s29
	v_mov_b32_e32 v24, s28
	buffer_store_dword v90, off, s[0:3], 0
	buffer_store_dword v90, off, s[0:3], 0 offset:4
	buffer_store_dword v90, off, s[0:3], 0 offset:8
	;; [unrolled: 1-line block ×3, first 2 shown]
	v_cndmask_b32_e64 v17, v21, v16, s[6:7]
	v_cndmask_b32_e64 v16, v24, v18, s[6:7]
	flat_load_dwordx4 v[16:19], v[16:17]
	v_mov_b32_e32 v22, s34
	v_add_co_u32_e32 v23, vcc, s31, v40
	v_addc_co_u32_e32 v22, vcc, v22, v41, vcc
	v_add_co_u32_e32 v23, vcc, v23, v115
	v_addc_co_u32_e32 v25, vcc, 0, v22, vcc
	v_cndmask_b32_e64 v22, v24, v23, s[24:25]
	v_cndmask_b32_e64 v23, v21, v25, s[24:25]
	s_waitcnt vmcnt(0) lgkmcnt(0)
	ds_write_b128 v99, v[16:19]
	flat_load_dwordx4 v[16:19], v[22:23]
	v_mov_b32_e32 v22, s34
	v_add_co_u32_e32 v23, vcc, s31, v42
	v_addc_co_u32_e32 v22, vcc, v22, v43, vcc
	v_add_co_u32_e32 v23, vcc, v23, v115
	v_addc_co_u32_e32 v25, vcc, 0, v22, vcc
	v_cndmask_b32_e64 v22, v24, v23, s[10:11]
	v_cndmask_b32_e64 v23, v21, v25, s[10:11]
	s_waitcnt vmcnt(0) lgkmcnt(0)
	ds_write_b128 v100, v[16:19]
	flat_load_dwordx4 v[16:19], v[22:23]
	v_mov_b32_e32 v22, s34
	v_add_co_u32_e32 v23, vcc, s31, v44
	v_addc_co_u32_e32 v22, vcc, v22, v45, vcc
	v_add_co_u32_e32 v23, vcc, v23, v115
	v_addc_co_u32_e32 v25, vcc, 0, v22, vcc
	v_cndmask_b32_e64 v22, v24, v23, s[12:13]
	v_cndmask_b32_e64 v23, v21, v25, s[12:13]
	s_and_b64 vcc, exec, s[22:23]
	s_waitcnt vmcnt(0) lgkmcnt(0)
	ds_write_b128 v101, v[16:19]
	flat_load_dwordx4 v[16:19], v[22:23]
	s_waitcnt vmcnt(0) lgkmcnt(0)
	ds_write_b128 v102, v[16:19]
	s_waitcnt lgkmcnt(0)
	s_barrier
	ds_read2_b64 v[16:19], v104 offset1:4
	s_waitcnt lgkmcnt(0)
	v_mfma_f32_16x16x16f16 v[22:25], v[16:17], v[12:13], 0
	v_mfma_f32_16x16x16f16 v[16:19], v[18:19], v[14:15], v[22:25]
	s_nop 7
	s_nop 1
	ds_read2_b64 v[22:25], v104 offset0:8 offset1:12
	s_waitcnt lgkmcnt(0)
	v_mfma_f32_16x16x16f16 v[16:19], v[22:23], v[8:9], v[16:19]
	v_mfma_f32_16x16x16f16 v[16:19], v[24:25], v[10:11], v[16:19]
	ds_read2_b64 v[22:25], v104 offset0:16 offset1:20
	s_waitcnt lgkmcnt(0)
	v_mfma_f32_16x16x16f16 v[16:19], v[22:23], v[4:5], v[16:19]
	v_mfma_f32_16x16x16f16 v[16:19], v[24:25], v[6:7], v[16:19]
	ds_read2_b64 v[22:25], v104 offset0:24 offset1:28
	s_waitcnt lgkmcnt(0)
	s_barrier
	v_mfma_f32_16x16x16f16 v[16:19], v[22:23], v[0:1], v[16:19]
	v_mfma_f32_16x16x16f16 v[16:19], v[24:25], v[2:3], v[16:19]
	s_cbranch_vccnz .LBB24_299
; %bb.298:                              ;   in Loop: Header=BB24_293 Depth=1
	ds_read2_b32 v[22:23], v116 offset1:1
	v_mov_b32_e32 v21, v20
	s_waitcnt lgkmcnt(0)
	v_cvt_f32_f16_e32 v24, v22
	v_cvt_f32_f16_e32 v120, v23
	v_cvt_f32_f16_sdwa v121, v23 dst_sel:DWORD dst_unused:UNUSED_PAD src0_sel:WORD_1
	v_cvt_f32_f16_sdwa v25, v22 dst_sel:DWORD dst_unused:UNUSED_PAD src0_sel:WORD_1
	s_nop 2
	v_pk_fma_f32 v[18:19], v[20:21], v[120:121], v[18:19]
	v_pk_fma_f32 v[16:17], v[26:27], v[24:25], v[16:17]
.LBB24_299:                             ;   in Loop: Header=BB24_293 Depth=1
	s_mul_hi_i32 s23, s30, s66
	s_mul_i32 s22, s30, s66
	s_lshl_b64 s[22:23], s[22:23], 2
	s_add_u32 s22, s33, s22
	s_addc_u32 s23, s36, s23
	v_mov_b32_e32 v21, s23
	v_add_co_u32_e32 v22, vcc, s22, v46
	v_addc_co_u32_e32 v21, vcc, v21, v47, vcc
	v_add_co_u32_e32 v22, vcc, v22, v115
	v_addc_co_u32_e32 v21, vcc, 0, v21, vcc
	v_mov_b32_e32 v103, s29
	v_mov_b32_e32 v119, s28
	buffer_store_dword v90, off, s[0:3], 0
	buffer_store_dword v90, off, s[0:3], 0 offset:4
	buffer_store_dword v90, off, s[0:3], 0 offset:8
	;; [unrolled: 1-line block ×3, first 2 shown]
	v_cndmask_b32_e64 v23, v103, v21, s[6:7]
	v_cndmask_b32_e64 v22, v119, v22, s[6:7]
	flat_load_dwordx4 v[22:25], v[22:23]
	v_mov_b32_e32 v21, s23
	v_add_co_u32_e32 v120, vcc, s22, v48
	v_addc_co_u32_e32 v21, vcc, v21, v49, vcc
	v_add_co_u32_e32 v120, vcc, v120, v115
	v_addc_co_u32_e32 v21, vcc, 0, v21, vcc
	v_cndmask_b32_e64 v120, v119, v120, s[24:25]
	v_cndmask_b32_e64 v121, v103, v21, s[24:25]
	v_mov_b32_e32 v21, s23
	v_add_f32_e32 v122, 0x40051340, v17
	v_add_f32_e32 v123, 0x40051340, v18
	;; [unrolled: 1-line block ×3, first 2 shown]
	v_cndmask_b32_e64 v126, v18, v18, s[16:17]
	v_cndmask_b32_e64 v125, v19, v19, s[16:17]
	v_mov_b32_e32 v18, s39
	v_mov_b32_e32 v19, s39
	s_add_i32 s40, s40, 1
	s_add_i32 s30, s30, 64
	s_waitcnt vmcnt(0) lgkmcnt(0)
	ds_write_b128 v99, v[22:25]
	flat_load_dwordx4 v[22:25], v[120:121]
	v_add_co_u32_e32 v120, vcc, s22, v50
	v_addc_co_u32_e32 v21, vcc, v21, v51, vcc
	v_add_co_u32_e32 v120, vcc, v120, v115
	v_addc_co_u32_e32 v21, vcc, 0, v21, vcc
	v_cndmask_b32_e64 v120, v119, v120, s[10:11]
	v_cndmask_b32_e64 v121, v103, v21, s[10:11]
	v_mov_b32_e32 v21, s39
	v_cmp_lt_i32_e32 vcc, s40, v89
	s_and_b64 vcc, exec, vcc
	s_waitcnt vmcnt(0) lgkmcnt(0)
	ds_write_b128 v100, v[22:25]
	flat_load_dwordx4 v[22:25], v[120:121]
	v_add_f32_e32 v120, 0x40051340, v16
	v_max_f32_e32 v121, v88, v88
	v_max_f32_e32 v120, v121, v120
	v_cndmask_b32_e64 v120, v88, v120, s[14:15]
	v_max_f32_e32 v121, v120, v120
	v_max_f32_e32 v121, v121, v122
	v_cndmask_b32_e64 v120, v120, v121, s[16:17]
	;; [unrolled: 3-line block ×4, first 2 shown]
	ds_bpermute_b32 v121, v97, v120
	v_mov_b32_e32 v122, s23
	v_add_co_u32_e64 v123, s[22:23], s22, v52
	v_addc_co_u32_e64 v122, s[22:23], v122, v53, s[22:23]
	v_max_f32_e32 v120, v120, v120
	s_waitcnt lgkmcnt(0)
	v_max_f32_e32 v121, v121, v121
	v_max_f32_e32 v124, v120, v121
	v_add_co_u32_e64 v120, s[22:23], v123, v115
	v_addc_co_u32_e64 v121, s[22:23], 0, v122, s[22:23]
	v_cndmask_b32_e64 v120, v119, v120, s[12:13]
	v_cndmask_b32_e64 v121, v103, v121, s[12:13]
	ds_bpermute_b32 v127, v98, v124
	s_waitcnt lgkmcnt(0)
	v_max_f32_e32 v103, v127, v127
	v_max_f32_e32 v103, v124, v103
	v_sub_f32_e32 v16, v16, v103
	v_sub_f32_e32 v17, v17, v103
	v_mul_f32_e32 v123, 0x3fb8aa3b, v16
	v_sub_f32_e32 v119, v126, v103
	v_mul_f32_e32 v124, 0x3fb8aa3b, v17
	v_fma_f32 v128, v16, s41, -v123
	v_rndne_f32_e32 v129, v123
	v_sub_f32_e32 v122, v125, v103
	v_mul_f32_e32 v125, 0x3fb8aa3b, v119
	v_fma_f32 v130, v17, s41, -v124
	v_rndne_f32_e32 v131, v124
	v_fmac_f32_e32 v128, 0x32a5705f, v16
	v_sub_f32_e32 v123, v123, v129
	v_sub_f32_e32 v88, v88, v103
	v_mul_f32_e32 v126, 0x3fb8aa3b, v122
	v_fma_f32 v132, v119, s41, -v125
	v_rndne_f32_e32 v133, v125
	v_fmac_f32_e32 v130, 0x32a5705f, v17
	v_sub_f32_e32 v124, v124, v131
	v_add_f32_e32 v123, v123, v128
	v_mul_f32_e32 v127, 0x3fb8aa3b, v88
	v_fma_f32 v134, v122, s41, -v126
	v_rndne_f32_e32 v135, v126
	v_cvt_i32_f32_e32 v129, v129
	v_fmac_f32_e32 v132, 0x32a5705f, v119
	v_sub_f32_e32 v125, v125, v133
	v_add_f32_e32 v124, v124, v130
	v_exp_f32_e32 v123, v123
	v_fma_f32 v136, v88, s41, -v127
	v_rndne_f32_e32 v137, v127
	v_cvt_i32_f32_e32 v131, v131
	v_fmac_f32_e32 v134, 0x32a5705f, v122
	v_add_f32_e32 v125, v125, v132
	v_exp_f32_e32 v124, v124
	v_cvt_i32_f32_e32 v133, v133
	v_fmac_f32_e32 v136, 0x32a5705f, v88
	v_exp_f32_e32 v125, v125
	v_ldexp_f32 v123, v123, v129
	v_cmp_ngt_f32_e64 s[22:23], s42, v16
	v_ldexp_f32 v124, v124, v131
	v_cndmask_b32_e64 v123, 0, v123, s[22:23]
	v_cmp_ngt_f32_e64 s[22:23], s42, v17
	v_ldexp_f32 v125, v125, v133
	v_cndmask_b32_e64 v124, 0, v124, s[22:23]
	s_waitcnt vmcnt(0)
	ds_write_b128 v101, v[22:25]
	flat_load_dwordx4 v[22:25], v[120:121]
	v_sub_f32_e32 v120, v126, v135
	v_sub_f32_e32 v126, v127, v137
	v_add_f32_e32 v120, v120, v134
	v_cvt_i32_f32_e32 v121, v135
	v_add_f32_e32 v126, v126, v136
	v_exp_f32_e32 v120, v120
	v_cvt_i32_f32_e32 v127, v137
	v_exp_f32_e32 v126, v126
	v_cmp_ngt_f32_e64 s[22:23], s42, v119
	v_ldexp_f32 v120, v120, v121
	v_cndmask_b32_e64 v125, 0, v125, s[22:23]
	v_cmp_ngt_f32_e64 s[22:23], s42, v122
	v_ldexp_f32 v121, v126, v127
	v_cndmask_b32_e64 v120, 0, v120, s[22:23]
	v_cmp_ngt_f32_e64 s[22:23], s42, v88
	v_cndmask_b32_e64 v121, 0, v121, s[22:23]
	v_cmp_nlt_f32_e64 s[22:23], s43, v16
	v_cndmask_b32_e64 v16, v117, v123, s[22:23]
	v_cmp_nlt_f32_e64 s[22:23], s43, v17
	;; [unrolled: 2-line block ×5, first 2 shown]
	v_cndmask_b32_e64 v121, v117, v121, s[22:23]
	v_cmp_le_f32_e64 s[22:23], s44, v88
	v_cndmask_b32_e64 v140, 0, v121, s[22:23]
	v_cndmask_b32_e64 v16, 0, v16, s[14:15]
	v_cndmask_b32_e64 v21, v21, v17, s[16:17]
	v_cndmask_b32_e64 v18, v18, v119, s[18:19]
	v_cndmask_b32_e64 v19, v19, v120, s[20:21]
	v_cvt_f16_f32_e32 v88, v140
	v_add_f32_e32 v17, v17, v16
	v_cvt_f16_f32_e32 v121, v16
	v_cvt_f16_f32_e32 v21, v21
	;; [unrolled: 1-line block ×4, first 2 shown]
	v_cndmask_b32_e64 v16, v16, v17, s[16:17]
	v_add_f32_e32 v17, v16, v119
	v_cndmask_b32_e64 v119, v16, v17, s[18:19]
	v_pk_mul_f16 v63, v88, v63 op_sel_hi:[0,1]
	v_pk_mul_f16 v77, v88, v77 op_sel_hi:[0,1]
	v_add_f32_e32 v132, v119, v120
	v_pk_mul_f16 v120, v88, v75 op_sel_hi:[0,1]
	v_pk_mul_f16 v124, v88, v74 op_sel_hi:[0,1]
	;; [unrolled: 1-line block ×4, first 2 shown]
	v_pack_b32_f16 v64, v121, v21
	v_pack_b32_f16 v65, v18, v19
	v_cvt_f32_f16_e32 v18, v63
	v_cvt_f32_f16_sdwa v19, v63 dst_sel:DWORD dst_unused:UNUSED_PAD src0_sel:WORD_1
	v_cvt_f32_f16_e32 v74, v77
	v_cvt_f32_f16_sdwa v75, v77 dst_sel:DWORD dst_unused:UNUSED_PAD src0_sel:WORD_1
	v_pk_mul_f16 v17, v88, v78 op_sel_hi:[0,1]
	v_pk_mul_f16 v78, v88, v76 op_sel_hi:[0,1]
	v_cvt_f32_f16_e32 v16, v17
	v_cvt_f32_f16_sdwa v17, v17 dst_sel:DWORD dst_unused:UNUSED_PAD src0_sel:WORD_1
	v_cvt_f32_f16_e32 v76, v78
	v_pk_mul_f16 v72, v88, v72 op_sel_hi:[0,1]
	v_pk_mul_f16 v70, v88, v70 op_sel_hi:[0,1]
	;; [unrolled: 1-line block ×5, first 2 shown]
	s_waitcnt vmcnt(0) lgkmcnt(0)
	ds_write_b128 v102, v[22:25]
	s_waitcnt lgkmcnt(0)
	s_barrier
	ds_read_u16 v21, v106 offset:272
	ds_read_u16 v22, v106 offset:544
	ds_read_u16 v23, v107
	ds_read_u16 v24, v107 offset:32
	ds_read_u16 v63, v107 offset:64
	;; [unrolled: 1-line block ×5, first 2 shown]
	ds_read_u16 v25, v105
	ds_read_u16 v77, v105 offset:32
	ds_read_u16 v121, v105 offset:64
	;; [unrolled: 1-line block ×7, first 2 shown]
	s_waitcnt lgkmcnt(13)
	v_perm_b32 v23, v23, v22, s45
	s_waitcnt lgkmcnt(7)
	v_perm_b32 v22, v21, v25, s45
	ds_read_u16 v21, v108 offset:544
	ds_read_u16 v122, v109 offset:272
	;; [unrolled: 1-line block ×7, first 2 shown]
	s_waitcnt lgkmcnt(6)
	v_perm_b32 v25, v24, v21, s45
	s_waitcnt lgkmcnt(4)
	v_perm_b32 v123, v63, v123, s45
	v_perm_b32 v122, v122, v121, s45
	s_waitcnt lgkmcnt(1)
	v_perm_b32 v24, v131, v77, s45
	v_cvt_f32_f16_sdwa v77, v78 dst_sel:DWORD dst_unused:UNUSED_PAD src0_sel:WORD_1
	v_mfma_f32_16x16x16f16 v[16:19], v[22:23], v[64:65], v[16:19]
	v_cvt_f32_f16_e32 v22, v120
	v_cvt_f32_f16_sdwa v23, v120 dst_sel:DWORD dst_unused:UNUSED_PAD src0_sel:WORD_1
	ds_read_u16 v142, v107 offset:224
	v_pk_mul_f16 v21, v88, v58 op_sel_hi:[0,1]
	v_pk_mul_f16 v58, v88, v57 op_sel_hi:[0,1]
	v_cvt_f32_f16_e32 v120, v72
	v_cvt_f32_f16_sdwa v121, v72 dst_sel:DWORD dst_unused:UNUSED_PAD src0_sel:WORD_1
	v_mfma_f32_16x16x16f16 v[74:77], v[24:25], v[64:65], v[74:77]
	v_cvt_f32_f16_e32 v24, v124
	v_cvt_f32_f16_sdwa v25, v124 dst_sel:DWORD dst_unused:UNUSED_PAD src0_sel:WORD_1
	v_perm_b32 v129, v125, v129, s45
	v_perm_b32 v128, v128, v126, s45
	v_cvt_f32_f16_e32 v124, v68
	v_cvt_f32_f16_sdwa v125, v68 dst_sel:DWORD dst_unused:UNUSED_PAD src0_sel:WORD_1
	v_cvt_f32_f16_e32 v126, v66
	v_mfma_f32_16x16x16f16 v[22:25], v[122:123], v[64:65], v[22:25]
	v_cvt_f32_f16_e32 v122, v70
	v_cvt_f32_f16_sdwa v123, v70 dst_sel:DWORD dst_unused:UNUSED_PAD src0_sel:WORD_1
	ds_read_u16 v57, v111 offset:272
	ds_read_u16 v63, v111 offset:544
	;; [unrolled: 1-line block ×8, first 2 shown]
	s_waitcnt lgkmcnt(6)
	v_perm_b32 v131, v127, v63, s45
	v_perm_b32 v130, v57, v130, s45
	v_cvt_f32_f16_sdwa v127, v66 dst_sel:DWORD dst_unused:UNUSED_PAD src0_sel:WORD_1
	v_pk_mul_f16 v63, v88, v56 op_sel_hi:[0,1]
	s_waitcnt lgkmcnt(4)
	v_perm_b32 v57, v135, v70, s45
	v_perm_b32 v56, v68, v136, s45
	v_mfma_f32_16x16x16f16 v[120:123], v[128:129], v[64:65], v[120:123]
	v_cvt_f32_f16_e32 v128, v133
	v_cvt_f32_f16_sdwa v129, v133 dst_sel:DWORD dst_unused:UNUSED_PAD src0_sel:WORD_1
	v_cndmask_b32_e64 v88, v119, v132, s[20:21]
	v_cvt_f32_f16_e32 v132, v61
	v_cvt_f32_f16_sdwa v133, v61 dst_sel:DWORD dst_unused:UNUSED_PAD src0_sel:WORD_1
	v_cvt_f32_f16_sdwa v135, v21 dst_sel:DWORD dst_unused:UNUSED_PAD src0_sel:WORD_1
	v_cvt_f32_f16_e32 v136, v58
	v_mfma_f32_16x16x16f16 v[124:127], v[130:131], v[64:65], v[124:127]
	v_cvt_f32_f16_e32 v130, v134
	v_cvt_f32_f16_sdwa v131, v134 dst_sel:DWORD dst_unused:UNUSED_PAD src0_sel:WORD_1
	v_cvt_f32_f16_e32 v134, v21
	v_cvt_f32_f16_sdwa v139, v63 dst_sel:DWORD dst_unused:UNUSED_PAD src0_sel:WORD_1
	v_fmac_f32_e32 v88, v118, v140
	v_cvt_f16_f32_e32 v16, v16
	v_cvt_f16_f32_e32 v17, v17
	v_mfma_f32_16x16x16f16 v[128:131], v[56:57], v[64:65], v[128:131]
	s_waitcnt lgkmcnt(2)
	v_perm_b32 v57, v138, v78, s45
	v_perm_b32 v56, v72, v137, s45
	v_cvt_f32_f16_sdwa v137, v58 dst_sel:DWORD dst_unused:UNUSED_PAD src0_sel:WORD_1
	v_cvt_f32_f16_e32 v138, v63
	v_cvt_f16_f32_e32 v18, v18
	v_cvt_f16_f32_e32 v19, v19
	;; [unrolled: 1-line block ×3, first 2 shown]
	v_mfma_f32_16x16x16f16 v[132:135], v[56:57], v[64:65], v[132:135]
	s_waitcnt lgkmcnt(0)
	v_perm_b32 v57, v142, v144, s45
	v_perm_b32 v56, v143, v141, s45
	v_cvt_f16_f32_e32 v58, v77
	v_cvt_f16_f32_e32 v22, v22
	;; [unrolled: 1-line block ×5, first 2 shown]
	v_mfma_f32_16x16x16f16 v[136:139], v[56:57], v[64:65], v[136:139]
	v_cvt_f16_f32_e32 v56, v75
	v_cvt_f16_f32_e32 v57, v76
	;; [unrolled: 1-line block ×22, first 2 shown]
	v_pack_b32_f16 v78, v16, v17
	v_pack_b32_f16 v63, v18, v19
	;; [unrolled: 1-line block ×16, first 2 shown]
	s_barrier
	s_cbranch_vccz .LBB24_302
; %bb.300:                              ;   in Loop: Header=BB24_293 Depth=1
	v_mov_b32_e32 v118, v88
	v_mov_b32_e32 v88, v103
	s_branch .LBB24_293
.LBB24_301:
	v_mov_b32_e32 v88, 0
	v_mov_b32_e32 v103, 0xfeffffff
	;; [unrolled: 1-line block ×17, first 2 shown]
.LBB24_302:
	s_lshl_b32 s14, s40, 6
	v_readlane_b32 s4, v213, 4
	s_sub_i32 s18, s4, s14
	s_cmp_lg_u64 s[8:9], 0
	s_cselect_b64 s[16:17], -1, 0
	s_ashr_i32 s15, s14, 31
	s_cmp_eq_u64 s[8:9], 0
	v_readlane_b32 s5, v213, 5
	s_cbranch_scc1 .LBB24_312
; %bb.303:
	s_lshl_b64 s[4:5], s[14:15], 1
	s_add_u32 s4, s8, s4
	s_addc_u32 s5, s9, s5
	v_mov_b32_e32 v17, s5
	v_add_co_u32_e64 v16, s[4:5], s4, v87
	v_cmp_gt_i32_e32 vcc, s18, v32
	v_mov_b32_e32 v18, 0
	v_addc_co_u32_e64 v17, s[4:5], 0, v17, s[4:5]
	v_mov_b32_e32 v21, 0
	s_and_saveexec_b64 s[6:7], vcc
	s_cbranch_execz .LBB24_305
; %bb.304:
	v_readlane_b32 s4, v213, 10
	v_mul_hi_u32 v19, s4, v80
	v_readlane_b32 s5, v213, 11
	v_add_u32_e32 v19, v80, v19
	v_lshrrev_b32_e32 v19, s5, v19
	v_mul_lo_u32 v19, v19, s64
	v_sub_u32_e32 v19, v80, v19
	v_mad_i64_i32 v[22:23], s[4:5], v19, s72, 0
	v_lshlrev_b64 v[22:23], 1, v[22:23]
	v_add_co_u32_e64 v22, s[4:5], v16, v22
	v_addc_co_u32_e64 v23, s[4:5], v17, v23, s[4:5]
	flat_load_ushort v21, v[22:23]
.LBB24_305:
	s_or_b64 exec, exec, s[6:7]
	s_movk_i32 s4, 0x90
	v_mad_u32_u24 v19, v69, s4, 0
	v_lshl_add_u32 v22, v32, 1, v19
	s_waitcnt vmcnt(0) lgkmcnt(0)
	ds_write_b16 v22, v21 offset:17408
	s_and_saveexec_b64 s[6:7], vcc
	s_cbranch_execz .LBB24_307
; %bb.306:
	v_readlane_b32 s4, v213, 10
	v_mul_hi_u32 v18, s4, v83
	v_readlane_b32 s5, v213, 11
	v_add_u32_e32 v18, v83, v18
	v_lshrrev_b32_e32 v18, s5, v18
	v_mul_lo_u32 v18, v18, s64
	v_sub_u32_e32 v18, v83, v18
	v_mad_i64_i32 v[22:23], s[4:5], v18, s72, 0
	v_lshlrev_b64 v[22:23], 1, v[22:23]
	v_add_co_u32_e64 v22, s[4:5], v16, v22
	v_addc_co_u32_e64 v23, s[4:5], v17, v23, s[4:5]
	flat_load_ushort v18, v[22:23]
.LBB24_307:
	s_or_b64 exec, exec, s[6:7]
	v_add_u32_e32 v19, 0x240, v19
	v_lshl_add_u32 v21, v32, 1, v19
	s_waitcnt vmcnt(0) lgkmcnt(0)
	ds_write_b16 v21, v18 offset:17408
	v_mov_b32_e32 v18, 0
	v_mov_b32_e32 v21, 0
	s_and_saveexec_b64 s[6:7], vcc
	s_cbranch_execz .LBB24_309
; %bb.308:
	v_readlane_b32 s4, v213, 10
	v_mul_hi_u32 v21, s4, v84
	v_readlane_b32 s5, v213, 11
	v_add_u32_e32 v21, v84, v21
	v_lshrrev_b32_e32 v21, s5, v21
	v_mul_lo_u32 v21, v21, s64
	v_sub_u32_e32 v21, v84, v21
	v_mad_i64_i32 v[22:23], s[4:5], v21, s72, 0
	v_lshlrev_b64 v[22:23], 1, v[22:23]
	v_add_co_u32_e64 v22, s[4:5], v16, v22
	v_addc_co_u32_e64 v23, s[4:5], v17, v23, s[4:5]
	flat_load_ushort v21, v[22:23]
.LBB24_309:
	s_or_b64 exec, exec, s[6:7]
	v_add_u32_e32 v19, 0x240, v19
	v_lshl_add_u32 v19, v32, 1, v19
	s_waitcnt vmcnt(0) lgkmcnt(0)
	ds_write_b16 v19, v21 offset:17408
	s_and_saveexec_b64 s[4:5], vcc
	s_cbranch_execz .LBB24_311
; %bb.310:
	v_readlane_b32 s6, v213, 10
	v_mul_hi_u32 v18, s6, v85
	v_readlane_b32 s7, v213, 11
	v_add_u32_e32 v18, v85, v18
	v_lshrrev_b32_e32 v18, s7, v18
	v_mul_lo_u32 v18, v18, s64
	v_sub_u32_e32 v18, v85, v18
	v_mad_i64_i32 v[22:23], s[6:7], v18, s72, 0
	v_lshlrev_b64 v[22:23], 1, v[22:23]
	v_add_co_u32_e32 v16, vcc, v16, v22
	v_addc_co_u32_e32 v17, vcc, v17, v23, vcc
	flat_load_ushort v18, v[16:17]
.LBB24_311:
	s_or_b64 exec, exec, s[4:5]
	s_waitcnt vmcnt(0) lgkmcnt(0)
	ds_write_b16 v19, v18 offset:17984
.LBB24_312:
	s_mul_hi_i32 s5, s14, s80
	s_mul_i32 s4, s14, s80
	v_add_u32_e32 v22, v71, v86
	s_lshl_b64 s[4:5], s[4:5], 2
	v_mul_lo_u32 v18, s80, v22
	s_add_u32 s8, s37, s4
	v_ashrrev_i32_e32 v19, 31, v18
	s_addc_u32 s9, s38, s5
	v_lshlrev_b64 v[24:25], 2, v[18:19]
	v_and_b32_e32 v16, 60, v33
	v_mov_b32_e32 v17, s9
	v_add_co_u32_e32 v19, vcc, s8, v24
	v_lshlrev_b32_e32 v16, 2, v16
	v_addc_co_u32_e32 v17, vcc, v17, v25, vcc
	s_mov_b64 s[4:5], src_private_base
	v_add_co_u32_e32 v19, vcc, v19, v16
	v_addc_co_u32_e32 v17, vcc, 0, v17, vcc
	v_mov_b32_e32 v23, s5
	v_cmp_gt_i32_e64 s[12:13], s18, v22
	v_mov_b32_e32 v21, 0
	v_cndmask_b32_e64 v25, v23, v17, s[12:13]
	v_mov_b32_e32 v17, 0
	buffer_store_dword v21, off, s[0:3], 0
	buffer_store_dword v21, off, s[0:3], 0 offset:4
	buffer_store_dword v21, off, s[0:3], 0 offset:8
	;; [unrolled: 1-line block ×3, first 2 shown]
	v_cndmask_b32_e64 v24, v17, v19, s[12:13]
	flat_load_dwordx4 v[24:27], v[24:25]
	s_lshl_b32 s4, s80, 4
	v_add_u32_e32 v28, s4, v18
	v_ashrrev_i32_e32 v29, 31, v28
	v_lshlrev_b64 v[30:31], 2, v[28:29]
	v_mov_b32_e32 v18, s9
	v_add_co_u32_e32 v29, vcc, s8, v30
	v_addc_co_u32_e32 v18, vcc, v18, v31, vcc
	v_mul_u32_u24_e32 v19, 0x110, v22
	v_add_u32_e32 v34, 16, v22
	v_add_co_u32_e32 v29, vcc, v29, v16
	v_add3_u32 v19, 0, v19, v16
	v_addc_co_u32_e32 v18, vcc, 0, v18, vcc
	v_cmp_gt_i32_e64 s[10:11], s18, v34
	v_cndmask_b32_e64 v31, v23, v18, s[10:11]
	v_cndmask_b32_e64 v30, v17, v29, s[10:11]
	v_add_u32_e32 v28, s4, v28
	v_ashrrev_i32_e32 v29, 31, v28
	v_mov_b32_e32 v34, s9
	v_add_u32_e32 v18, 32, v22
	v_cmp_gt_i32_e64 s[6:7], s18, v18
	v_add_u32_e32 v18, 48, v22
	s_waitcnt vmcnt(0) lgkmcnt(0)
	ds_write_b128 v19, v[24:27]
	flat_load_dwordx4 v[24:27], v[30:31]
	v_lshlrev_b64 v[30:31], 2, v[28:29]
	v_add_co_u32_e32 v29, vcc, s8, v30
	v_addc_co_u32_e32 v30, vcc, v34, v31, vcc
	v_add_co_u32_e32 v29, vcc, v29, v16
	v_addc_co_u32_e32 v30, vcc, 0, v30, vcc
	v_cndmask_b32_e64 v31, v23, v30, s[6:7]
	v_cndmask_b32_e64 v30, v17, v29, s[6:7]
	v_add_u32_e32 v28, s4, v28
	v_ashrrev_i32_e32 v29, 31, v28
	v_lshlrev_b64 v[28:29], 2, v[28:29]
	v_add_co_u32_e32 v28, vcc, s8, v28
	v_cmp_gt_i32_e64 s[4:5], s18, v18
	s_movk_i32 s8, 0x110
	s_waitcnt vmcnt(0) lgkmcnt(0)
	ds_write_b128 v19, v[24:27] offset:4352
	flat_load_dwordx4 v[24:27], v[30:31]
	v_mov_b32_e32 v30, s9
	v_addc_co_u32_e32 v29, vcc, v30, v29, vcc
	v_add_co_u32_e32 v28, vcc, v28, v16
	v_addc_co_u32_e32 v29, vcc, 0, v29, vcc
	v_cndmask_b32_e64 v29, v23, v29, s[4:5]
	v_cndmask_b32_e64 v28, v17, v28, s[4:5]
	v_and_b32_e32 v23, 48, v67
	v_mad_u32_u24 v18, v23, s8, 0
	v_add3_u32 v34, v18, v81, v82
	s_andn2_b64 vcc, exec, s[16:17]
	s_waitcnt vmcnt(0) lgkmcnt(0)
	ds_write_b128 v19, v[24:27] offset:8704
	flat_load_dwordx4 v[24:27], v[28:29]
	s_waitcnt vmcnt(0) lgkmcnt(0)
	ds_write_b128 v19, v[24:27] offset:13056
	s_waitcnt lgkmcnt(0)
	s_barrier
	ds_read2_b64 v[24:27], v34 offset1:4
	s_waitcnt lgkmcnt(0)
	v_mfma_f32_16x16x16f16 v[28:31], v[24:25], v[12:13], 0
	v_mfma_f32_16x16x16f16 v[12:15], v[26:27], v[14:15], v[28:31]
	ds_read2_b64 v[24:27], v34 offset0:8 offset1:12
	s_waitcnt lgkmcnt(0)
	v_mfma_f32_16x16x16f16 v[12:15], v[24:25], v[8:9], v[12:15]
	v_mfma_f32_16x16x16f16 v[8:11], v[26:27], v[10:11], v[12:15]
	s_nop 7
	s_nop 1
	ds_read2_b64 v[12:15], v34 offset0:16 offset1:20
	s_waitcnt lgkmcnt(0)
	v_mfma_f32_16x16x16f16 v[8:11], v[12:13], v[4:5], v[8:11]
	v_mfma_f32_16x16x16f16 v[4:7], v[14:15], v[6:7], v[8:11]
	s_nop 7
	s_nop 1
	ds_read2_b64 v[8:11], v34 offset0:24 offset1:28
	s_waitcnt lgkmcnt(0)
	v_mfma_f32_16x16x16f16 v[12:15], v[8:9], v[0:1], v[4:7]
	v_and_b32_e32 v8, 0xfc, v60
	s_nop 5
	v_add_u32_e32 v6, 0x1100, v19
	v_add_u32_e32 v5, 0x2200, v19
	;; [unrolled: 1-line block ×4, first 2 shown]
	s_barrier
	v_mfma_f32_16x16x16f16 v[0:3], v[10:11], v[2:3], v[12:15]
	s_cbranch_vccnz .LBB24_314
; %bb.313:
	s_movk_i32 s8, 0x90
	v_mad_u32_u24 v9, v79, s8, 0
	v_lshlrev_b32_e32 v10, 1, v7
	s_movk_i32 s8, 0x4400
	v_add3_u32 v9, v9, v10, s8
	ds_read2_b32 v[10:11], v9 offset1:1
	s_waitcnt lgkmcnt(0)
	v_cvt_f32_f16_e32 v12, v10
	v_cvt_f32_f16_e32 v14, v11
	v_cvt_f32_f16_sdwa v15, v11 dst_sel:DWORD dst_unused:UNUSED_PAD src0_sel:WORD_1
	v_cvt_f32_f16_sdwa v13, v10 dst_sel:DWORD dst_unused:UNUSED_PAD src0_sel:WORD_1
	v_pk_fma_f32 v[2:3], v[20:21], v[14:15], v[2:3] op_sel_hi:[0,1,1]
	v_pk_fma_f32 v[0:1], v[20:21], v[12:13], v[0:1] op_sel_hi:[0,1,1]
.LBB24_314:
	s_mul_hi_i32 s9, s14, s66
	s_mul_i32 s8, s14, s66
	s_lshl_b64 s[8:9], s[8:9], 2
	s_nop 2
	v_mul_lo_u32 v14, s66, v22
	s_add_u32 s14, s33, s8
	v_ashrrev_i32_e32 v15, 31, v14
	s_addc_u32 s15, s36, s9
	v_lshlrev_b64 v[10:11], 2, v[14:15]
	v_mov_b32_e32 v9, s15
	v_add_co_u32_e32 v10, vcc, s14, v10
	v_addc_co_u32_e32 v9, vcc, v9, v11, vcc
	s_mov_b64 s[8:9], src_private_base
	v_add_co_u32_e32 v10, vcc, v10, v16
	v_addc_co_u32_e32 v9, vcc, 0, v9, vcc
	v_mov_b32_e32 v22, s9
	buffer_store_dword v21, off, s[0:3], 0
	buffer_store_dword v21, off, s[0:3], 0 offset:4
	buffer_store_dword v21, off, s[0:3], 0 offset:8
	;; [unrolled: 1-line block ×3, first 2 shown]
	v_cndmask_b32_e64 v11, v22, v9, s[12:13]
	v_cndmask_b32_e64 v10, v17, v10, s[12:13]
	flat_load_dwordx4 v[10:13], v[10:11]
	s_lshl_b32 s17, s66, 4
	v_add_u32_e32 v14, s17, v14
	v_ashrrev_i32_e32 v15, 31, v14
	v_lshlrev_b64 v[20:21], 2, v[14:15]
	v_mov_b32_e32 v9, s15
	v_add_co_u32_e32 v15, vcc, s14, v20
	v_addc_co_u32_e32 v9, vcc, v9, v21, vcc
	v_add_co_u32_e32 v15, vcc, v15, v16
	v_addc_co_u32_e32 v9, vcc, 0, v9, vcc
	v_cndmask_b32_e64 v21, v22, v9, s[10:11]
	v_cndmask_b32_e64 v20, v17, v15, s[10:11]
	v_add_u32_e32 v14, s17, v14
	v_ashrrev_i32_e32 v15, 31, v14
	v_mul_u32_u24_e32 v30, 0x88, v8
	v_mul_u32_u24_e32 v31, 0x110, v8
	v_lshlrev_b64 v[8:9], 2, v[14:15]
	v_mov_b32_e32 v35, s15
	v_add_co_u32_e32 v8, vcc, s14, v8
	v_addc_co_u32_e32 v9, vcc, v35, v9, vcc
	v_add_co_u32_e32 v8, vcc, v8, v16
	v_addc_co_u32_e32 v9, vcc, 0, v9, vcc
	v_cndmask_b32_e64 v9, v22, v9, s[6:7]
	v_cndmask_b32_e64 v8, v17, v8, s[6:7]
	v_mbcnt_hi_u32_b32 v28, -1, v62
	v_cmp_gt_u32_e64 s[6:7], s18, v7
	v_or_b32_e32 v24, 2, v7
	v_or_b32_e32 v26, 3, v7
	;; [unrolled: 1-line block ×3, first 2 shown]
	v_add_f32_e32 v23, 0x40051340, v1
	v_add_f32_e32 v25, 0x40051340, v2
	;; [unrolled: 1-line block ×3, first 2 shown]
	s_mov_b32 s10, 0
	v_mov_b32_e32 v15, s10
	v_xor_b32_e32 v35, 16, v28
	v_or_b32_e32 v34, 3, v60
	v_mul_u32_u24_e32 v34, 0x110, v34
	v_add3_u32 v31, v18, v31, v59
	s_mov_b32 s19, 0x3fb8aa3b
	s_mov_b32 s20, 0xc2ce8ed0
	;; [unrolled: 1-line block ×3, first 2 shown]
	v_mov_b32_e32 v29, 0x7f800000
	s_mov_b32 s9, 0xc1a00000
	s_mov_b32 s8, 0x5040100
	s_waitcnt vmcnt(0) lgkmcnt(0)
	ds_write_b128 v19, v[10:13]
	flat_load_dwordx4 v[10:13], v[20:21]
	v_add_f32_e32 v19, 0x40051340, v0
	v_max_f32_e32 v20, v103, v103
	v_or_b32_e32 v21, 1, v7
	v_cmp_gt_u32_e64 s[12:13], s18, v21
	v_cndmask_b32_e64 v21, v2, v2, s[12:13]
	v_add_u32_e32 v2, s17, v14
	s_waitcnt vmcnt(0) lgkmcnt(0)
	ds_write_b128 v6, v[10:13]
	flat_load_dwordx4 v[8:11], v[8:9]
	v_max_f32_e32 v12, v20, v19
	v_and_b32_e32 v19, 64, v28
	v_cndmask_b32_e64 v7, v103, v12, s[6:7]
	v_xor_b32_e32 v20, 32, v28
	v_add_u32_e32 v12, 64, v19
	v_lshl_add_u32 v19, v30, 1, v18
	v_max_f32_e32 v30, v7, v7
	v_cmp_lt_i32_e32 vcc, v20, v12
	v_max_f32_e32 v23, v30, v23
	v_cndmask_b32_e32 v20, v28, v20, vcc
	v_cndmask_b32_e64 v7, v7, v23, s[12:13]
	v_lshlrev_b32_e32 v37, 2, v20
	v_cndmask_b32_e64 v20, v3, v3, s[12:13]
	v_max_f32_e32 v3, v7, v7
	v_mov_b32_e32 v13, s10
	v_mov_b32_e32 v6, s10
	v_max_f32_e32 v14, v3, v25
	v_cmp_gt_u32_e64 s[10:11], s18, v24
	v_cndmask_b32_e64 v7, v7, v14, s[10:11]
	v_cmp_lt_i32_e32 vcc, v35, v12
	v_max_f32_e32 v14, v7, v7
	v_cndmask_b32_e32 v12, v28, v35, vcc
	v_max_f32_e32 v14, v14, v27
	v_cmp_gt_u32_e32 vcc, s18, v26
	v_cndmask_b32_e32 v7, v7, v14, vcc
	ds_bpermute_b32 v14, v37, v7
	v_ashrrev_i32_e32 v3, 31, v2
	v_lshlrev_b64 v[2:3], 2, v[2:3]
	v_lshlrev_b32_e32 v35, 2, v12
	v_mov_b32_e32 v12, s15
	v_add_co_u32_e64 v2, s[14:15], s14, v2
	v_addc_co_u32_e64 v3, s[14:15], v12, v3, s[14:15]
	v_max_f32_e32 v7, v7, v7
	s_waitcnt lgkmcnt(0)
	v_max_f32_e32 v12, v14, v14
	v_max_f32_e32 v7, v7, v12
	ds_bpermute_b32 v12, v35, v7
	v_add3_u32 v18, v18, v34, v59
	v_add_co_u32_e64 v2, s[14:15], v2, v16
	v_addc_co_u32_e64 v3, s[14:15], 0, v3, s[14:15]
	s_waitcnt lgkmcnt(0)
	v_max_f32_e32 v12, v12, v12
	v_max_f32_e32 v34, v7, v12
	v_sub_f32_e32 v7, v0, v34
	v_mul_f32_e32 v0, 0x3fb8aa3b, v7
	v_cndmask_b32_e64 v3, v22, v3, s[4:5]
	v_cndmask_b32_e64 v2, v17, v2, s[4:5]
	v_sub_f32_e32 v12, v1, v34
	v_rndne_f32_e32 v1, v0
	v_fma_f32 v24, v7, s19, -v0
	v_sub_f32_e32 v40, v0, v1
	v_cvt_i32_f32_e32 v41, v1
	v_sub_f32_e32 v14, v21, v34
	v_sub_f32_e32 v16, v20, v34
	;; [unrolled: 1-line block ×3, first 2 shown]
	v_mul_f32_e32 v20, 0x3fb8aa3b, v12
	v_mul_f32_e32 v21, 0x3fb8aa3b, v14
	;; [unrolled: 1-line block ×4, first 2 shown]
	v_fma_f32 v25, v12, s19, -v20
	v_rndne_f32_e32 v26, v20
	v_fma_f32 v27, v14, s19, -v21
	v_rndne_f32_e32 v28, v21
	;; [unrolled: 2-line block ×3, first 2 shown]
	v_rndne_f32_e32 v39, v23
	v_fmac_f32_e32 v24, 0x32a5705f, v7
	v_fma_f32 v38, v17, s19, -v23
	v_fmac_f32_e32 v25, 0x32a5705f, v12
	v_fmac_f32_e32 v27, 0x32a5705f, v14
	;; [unrolled: 1-line block ×4, first 2 shown]
	v_cmp_ngt_f32_e64 s[4:5], s20, v7
	s_waitcnt vmcnt(0)
	ds_write_b128 v5, v[8:11]
	flat_load_dwordx4 v[0:3], v[2:3]
	v_sub_f32_e32 v5, v20, v26
	v_sub_f32_e32 v9, v21, v28
	;; [unrolled: 1-line block ×4, first 2 shown]
	v_add_f32_e32 v23, v40, v24
	v_add_f32_e32 v5, v5, v25
	;; [unrolled: 1-line block ×4, first 2 shown]
	v_exp_f32_e32 v23, v23
	v_cvt_i32_f32_e32 v8, v26
	v_cvt_i32_f32_e32 v10, v28
	;; [unrolled: 1-line block ×3, first 2 shown]
	v_exp_f32_e32 v5, v5
	v_exp_f32_e32 v9, v9
	;; [unrolled: 1-line block ×3, first 2 shown]
	v_add_f32_e32 v21, v21, v38
	v_cvt_i32_f32_e32 v22, v39
	v_exp_f32_e32 v21, v21
	v_ldexp_f32 v23, v23, v41
	v_ldexp_f32 v5, v5, v8
	;; [unrolled: 1-line block ×4, first 2 shown]
	v_cndmask_b32_e64 v11, 0, v23, s[4:5]
	v_cmp_ngt_f32_e64 s[4:5], s20, v12
	v_cndmask_b32_e64 v5, 0, v5, s[4:5]
	v_cmp_ngt_f32_e64 s[4:5], s20, v14
	;; [unrolled: 2-line block ×3, first 2 shown]
	v_ldexp_f32 v10, v21, v22
	v_cndmask_b32_e64 v9, 0, v9, s[4:5]
	v_cmp_ngt_f32_e64 s[4:5], s20, v17
	v_cndmask_b32_e64 v10, 0, v10, s[4:5]
	v_cmp_nlt_f32_e64 s[4:5], s16, v7
	v_cndmask_b32_e64 v7, v29, v11, s[4:5]
	v_cmp_nlt_f32_e64 s[4:5], s16, v12
	;; [unrolled: 2-line block ×5, first 2 shown]
	v_cndmask_b32_e64 v10, v29, v10, s[4:5]
	v_cmp_le_f32_e64 s[4:5], s9, v17
	v_cndmask_b32_e64 v8, 0, v7, s[6:7]
	v_cndmask_b32_e64 v7, v13, v5, s[12:13]
	;; [unrolled: 1-line block ×3, first 2 shown]
	v_add_f32_e32 v5, v5, v8
	v_cvt_f16_f32_e32 v20, v36
	v_cvt_f16_f32_e32 v10, v8
	;; [unrolled: 1-line block ×3, first 2 shown]
	v_cndmask_b32_e64 v6, v6, v11, s[10:11]
	v_cndmask_b32_e64 v5, v8, v5, s[12:13]
	v_cvt_f16_f32_e32 v13, v6
	v_add_f32_e32 v6, v5, v11
	v_cndmask_b32_e64 v24, v5, v6, s[10:11]
	v_cndmask_b32_e32 v12, v15, v9, vcc
	v_add_f32_e32 v25, v24, v9
	v_pk_mul_f16 v9, v20, v63 op_sel_hi:[0,1]
	v_pk_mul_f16 v22, v20, v68 op_sel_hi:[0,1]
	;; [unrolled: 1-line block ×5, first 2 shown]
	v_pack_b32_f16 v40, v10, v7
	v_cvt_f16_f32_e32 v12, v12
	v_pk_mul_f16 v5, v20, v78 op_sel_hi:[0,1]
	v_cvt_f32_f16_e32 v6, v5
	v_cvt_f32_f16_sdwa v7, v5 dst_sel:DWORD dst_unused:UNUSED_PAD src0_sel:WORD_1
	v_cvt_f32_f16_e32 v8, v9
	v_cvt_f32_f16_sdwa v9, v9 dst_sel:DWORD dst_unused:UNUSED_PAD src0_sel:WORD_1
	v_pk_mul_f16 v11, v20, v77 op_sel_hi:[0,1]
	v_pk_mul_f16 v14, v20, v76 op_sel_hi:[0,1]
	v_pack_b32_f16 v41, v13, v12
	v_cvt_f32_f16_sdwa v5, v11 dst_sel:DWORD dst_unused:UNUSED_PAD src0_sel:WORD_1
	v_pk_mul_f16 v15, v20, v75 op_sel_hi:[0,1]
	v_pk_mul_f16 v16, v20, v74 op_sel_hi:[0,1]
	v_pk_mul_f16 v17, v20, v72 op_sel_hi:[0,1]
	v_pk_mul_f16 v21, v20, v70 op_sel_hi:[0,1]
	v_cvt_f32_f16_e32 v12, v17
	v_cvt_f32_f16_sdwa v13, v17 dst_sel:DWORD dst_unused:UNUSED_PAD src0_sel:WORD_1
	s_waitcnt vmcnt(0) lgkmcnt(0)
	ds_write_b128 v4, v[0:3]
	s_waitcnt lgkmcnt(0)
	s_barrier
	ds_read_u16 v0, v19
	ds_read_u16 v10, v19 offset:32
	ds_read_u16 v23, v19 offset:64
	ds_read_u16 v29, v19 offset:96
	ds_read_u16 v30, v19 offset:128
	ds_read_u16 v38, v19 offset:160
	ds_read_u16 v42, v19 offset:192
	ds_read_u16 v44, v19 offset:224
	ds_read_u16 v2, v31 offset:272
	ds_read_u16 v19, v31 offset:304
	ds_read_u16 v39, v31 offset:336
	ds_read_u16 v43, v31 offset:368
	ds_read_u16 v45, v31 offset:400
	ds_read_u16 v46, v31 offset:432
	ds_read_u16 v47, v31 offset:464
	ds_read_u16 v48, v31 offset:496
	ds_read_u16 v1, v31 offset:544
	ds_read_u16 v49, v31 offset:576
	ds_read_u16 v50, v31 offset:608
	ds_read_u16 v51, v31 offset:640
	ds_read_u16 v52, v31 offset:672
	ds_read_u16 v53, v31 offset:704
	ds_read_u16 v59, v31 offset:736
	ds_read_u16 v60, v31 offset:768
	ds_read_u16 v3, v18
	ds_read_u16 v31, v18 offset:32
	ds_read_u16 v62, v18 offset:64
	ds_read_u16 v63, v18 offset:96
	ds_read_u16 v64, v18 offset:128
	ds_read_u16 v65, v18 offset:160
	ds_read_u16 v66, v18 offset:192
	ds_read_u16 v68, v18 offset:224
	s_waitcnt lgkmcnt(7)
	v_perm_b32 v1, v3, v1, s8
	v_perm_b32 v0, v2, v0, s8
	v_cvt_f32_f16_e32 v4, v11
	s_waitcnt lgkmcnt(6)
	v_perm_b32 v11, v31, v49, s8
	v_perm_b32 v10, v19, v10, s8
	v_mfma_f32_16x16x16f16 v[0:3], v[0:1], v[40:41], v[6:9]
	s_waitcnt lgkmcnt(4)
	v_perm_b32 v19, v63, v51, s8
	v_perm_b32 v18, v43, v29, s8
	v_cvt_f32_f16_sdwa v17, v22 dst_sel:DWORD dst_unused:UNUSED_PAD src0_sel:WORD_1
	v_pk_mul_f16 v31, v20, v61 op_sel_hi:[0,1]
	s_nop 1
	v_cvt_f32_f16_e32 v6, v14
	v_cvt_f32_f16_sdwa v7, v14 dst_sel:DWORD dst_unused:UNUSED_PAD src0_sel:WORD_1
	v_cvt_f32_f16_e32 v8, v15
	v_cvt_f32_f16_sdwa v9, v15 dst_sel:DWORD dst_unused:UNUSED_PAD src0_sel:WORD_1
	v_perm_b32 v15, v62, v50, s8
	v_perm_b32 v14, v39, v23, s8
	v_mfma_f32_16x16x16f16 v[4:7], v[10:11], v[40:41], v[4:7]
	v_cvt_f32_f16_e32 v10, v16
	v_cvt_f32_f16_sdwa v11, v16 dst_sel:DWORD dst_unused:UNUSED_PAD src0_sel:WORD_1
	v_cvt_f32_f16_e32 v16, v22
	s_waitcnt lgkmcnt(3)
	v_perm_b32 v23, v64, v52, s8
	v_perm_b32 v22, v45, v30, s8
	v_pk_mul_f16 v49, v20, v58 op_sel_hi:[0,1]
	v_pk_mul_f16 v29, v20, v57 op_sel_hi:[0,1]
	v_mfma_f32_16x16x16f16 v[8:11], v[14:15], v[40:41], v[8:11]
	v_cvt_f32_f16_e32 v14, v21
	v_cvt_f32_f16_sdwa v15, v21 dst_sel:DWORD dst_unused:UNUSED_PAD src0_sel:WORD_1
	v_pk_mul_f16 v43, v20, v56 op_sel_hi:[0,1]
	v_cvt_f32_f16_e32 v20, v27
	v_cvt_f32_f16_sdwa v21, v27 dst_sel:DWORD dst_unused:UNUSED_PAD src0_sel:WORD_1
	s_waitcnt lgkmcnt(2)
	v_perm_b32 v27, v65, v53, s8
	v_cndmask_b32_e32 v45, v24, v25, vcc
	v_mfma_f32_16x16x16f16 v[12:15], v[18:19], v[40:41], v[12:15]
	v_cvt_f32_f16_e32 v18, v26
	v_cvt_f32_f16_sdwa v19, v26 dst_sel:DWORD dst_unused:UNUSED_PAD src0_sel:WORD_1
	v_perm_b32 v26, v46, v38, s8
	v_cvt_f32_f16_e32 v24, v31
	v_cvt_f32_f16_sdwa v25, v31 dst_sel:DWORD dst_unused:UNUSED_PAD src0_sel:WORD_1
	s_waitcnt lgkmcnt(1)
	v_perm_b32 v39, v66, v59, s8
	v_perm_b32 v38, v47, v42, s8
	v_mfma_f32_16x16x16f16 v[16:19], v[22:23], v[40:41], v[16:19]
	v_cvt_f32_f16_e32 v22, v28
	v_cvt_f32_f16_sdwa v23, v28 dst_sel:DWORD dst_unused:UNUSED_PAD src0_sel:WORD_1
	v_cvt_f32_f16_e32 v30, v43
	v_cvt_f32_f16_sdwa v31, v43 dst_sel:DWORD dst_unused:UNUSED_PAD src0_sel:WORD_1
	s_waitcnt lgkmcnt(0)
	v_perm_b32 v43, v68, v60, s8
	v_perm_b32 v42, v48, v44, s8
	v_cvt_f32_f16_e32 v28, v29
	v_mfma_f32_16x16x16f16 v[20:23], v[26:27], v[40:41], v[20:23]
	v_cvt_f32_f16_e32 v26, v49
	v_cvt_f32_f16_sdwa v27, v49 dst_sel:DWORD dst_unused:UNUSED_PAD src0_sel:WORD_1
	v_cvt_f32_f16_sdwa v29, v29 dst_sel:DWORD dst_unused:UNUSED_PAD src0_sel:WORD_1
	v_fmac_f32_e32 v45, v88, v36
	ds_bpermute_b32 v36, v37, v45
	v_cmp_gt_u32_e64 s[4:5], 16, v32
	s_waitcnt lgkmcnt(0)
	v_mfma_f32_16x16x16f16 v[24:27], v[38:39], v[40:41], v[24:27]
	s_barrier
	v_add_f32_e32 v36, v45, v36
	ds_bpermute_b32 v38, v35, v36
	s_waitcnt lgkmcnt(0)
	v_mfma_f32_16x16x16f16 v[28:31], v[42:43], v[40:41], v[28:31]
	s_and_saveexec_b64 s[6:7], s[4:5]
	s_cbranch_execz .LBB24_316
; %bb.315:
	v_add_f32_e32 v36, v36, v38
	v_or_b32_e32 v38, v67, v32
	s_movk_i32 s8, 0x110
	v_mad_u32_u24 v38, v38, s8, 0
	ds_write2_b32 v38, v34, v36 offset0:64 offset1:65
.LBB24_316:
	s_or_b64 exec, exec, s[6:7]
	v_cmp_eq_u32_e32 vcc, 0, v73
	v_cmp_ne_u32_e64 s[6:7], 0, v73
	s_waitcnt lgkmcnt(0)
	s_barrier
	s_and_saveexec_b64 s[8:9], s[6:7]
	s_xor_b64 s[6:7], exec, s[8:9]
	s_cbranch_execz .LBB24_318
; %bb.317:
	s_barrier
	s_waitcnt lgkmcnt(0)
                                        ; implicit-def: $vgpr37
                                        ; implicit-def: $vgpr35
                                        ; implicit-def: $vgpr71
.LBB24_318:
	s_andn2_saveexec_b64 s[8:9], s[6:7]
	s_cbranch_execz .LBB24_322
; %bb.319:
	v_add_u32_e32 v34, v67, v32
	s_movk_i32 s6, 0x110
	v_mad_u32_u24 v40, v34, s6, 0
	ds_read_b64 v[38:39], v40 offset:256
	s_mov_b32 s6, 0x3fb8aa3b
	s_mov_b32 s10, 0x42b17218
	s_mov_b32 s11, 0
	s_waitcnt lgkmcnt(0)
	ds_bpermute_b32 v34, v37, v38
	v_max_f32_e32 v36, v38, v38
	s_barrier
	s_waitcnt lgkmcnt(0)
	v_max_f32_e32 v34, v34, v34
	v_max_f32_e32 v34, v36, v34
	ds_bpermute_b32 v36, v35, v34
	s_waitcnt lgkmcnt(0)
	v_max_f32_e32 v36, v36, v36
	v_max_f32_e32 v34, v34, v36
	v_sub_f32_e32 v36, v38, v34
	v_mul_f32_e32 v38, 0x3fb8aa3b, v36
	v_fma_f32 v41, v36, s6, -v38
	v_rndne_f32_e32 v42, v38
	v_fmac_f32_e32 v41, 0x32a5705f, v36
	v_sub_f32_e32 v38, v38, v42
	v_add_f32_e32 v38, v38, v41
	v_cvt_i32_f32_e32 v42, v42
	v_exp_f32_e32 v38, v38
	s_mov_b32 s6, 0xc2ce8ed0
	v_cmp_ngt_f32_e64 s[6:7], s6, v36
	v_mov_b32_e32 v41, 0x7f800000
	v_ldexp_f32 v38, v38, v42
	v_cndmask_b32_e64 v38, 0, v38, s[6:7]
	v_cmp_nlt_f32_e64 s[6:7], s10, v36
	v_cndmask_b32_e64 v36, v41, v38, s[6:7]
	v_mul_f32_e32 v38, v39, v36
	ds_bpermute_b32 v37, v37, v38
	s_waitcnt lgkmcnt(0)
	v_fmac_f32_e32 v37, v39, v36
	ds_bpermute_b32 v35, v35, v37
	s_waitcnt lgkmcnt(0)
	v_add_f32_e32 v37, v37, v35
	ds_write_b64 v40, v[36:37] offset:256
	s_and_saveexec_b64 s[6:7], s[4:5]
	s_cbranch_execz .LBB24_321
; %bb.320:
	s_add_i32 s4, s68, s69
	s_lshl_b32 s10, s4, 4
	s_lshl_b64 s[4:5], s[10:11], 3
	s_add_u32 s4, s62, s4
	v_or_b32_e32 v35, v71, v32
	s_addc_u32 s5, s63, s5
	v_lshlrev_b32_e32 v36, 3, v35
	v_mov_b32_e32 v35, v37
	global_store_dwordx2 v36, v[34:35], s[4:5]
.LBB24_321:
	s_or_b64 exec, exec, s[6:7]
.LBB24_322:
	s_or_b64 exec, exec, s[8:9]
	v_cvt_f16_f32_e32 v0, v0
	v_cvt_f16_f32_e32 v1, v1
	v_cvt_f16_f32_e32 v2, v2
	v_cvt_f16_f32_e32 v3, v3
	v_cvt_f16_f32_e32 v4, v4
	v_cvt_f16_f32_e32 v6, v6
	v_cvt_f16_f32_e32 v7, v7
	v_cvt_f16_f32_e32 v5, v5
	v_pack_b32_f16 v2, v2, v3
	v_pack_b32_f16 v0, v0, v1
	v_pack_b32_f16 v1, v6, v7
	v_pack_b32_f16 v3, v4, v5
	v_cvt_f16_f32_e32 v4, v8
	v_cvt_f16_f32_e32 v5, v9
	v_cvt_f16_f32_e32 v6, v10
	v_cvt_f16_f32_e32 v7, v11
	v_cvt_f16_f32_e32 v8, v12
	v_cvt_f16_f32_e32 v9, v14
	v_cvt_f16_f32_e32 v10, v15
	v_cvt_f16_f32_e32 v11, v13
	v_pack_b32_f16 v6, v6, v7
	v_pack_b32_f16 v4, v4, v5
	v_pack_b32_f16 v5, v9, v10
	v_pack_b32_f16 v7, v8, v11
	;; [unrolled: 12-line block ×3, first 2 shown]
	v_cvt_f16_f32_e32 v14, v26
	v_cvt_f16_f32_e32 v15, v27
	;; [unrolled: 1-line block ×8, first 2 shown]
	v_pack_b32_f16 v14, v14, v15
	v_pack_b32_f16 v15, v16, v19
	v_or_b32_e32 v16, v67, v54
	s_movk_i32 s4, 0x44
	v_mad_u32_u24 v16, v16, s4, v55
	s_mov_b32 s7, 0
	v_lshl_add_u32 v16, v16, 2, 0
	v_pack_b32_f16 v12, v12, v13
	v_pack_b32_f16 v13, v17, v18
	ds_write2_b32 v16, v0, v2 offset1:1
	ds_write2_b32 v16, v3, v1 offset0:8 offset1:9
	ds_write2_b32 v16, v4, v6 offset0:16 offset1:17
	;; [unrolled: 1-line block ×7, first 2 shown]
	s_waitcnt lgkmcnt(0)
	s_barrier
	s_and_saveexec_b64 s[4:5], vcc
	s_cbranch_execz .LBB24_324
; %bb.323:
	s_lshl_b32 s6, s68, 5
	s_lshl_b64 s[8:9], s[6:7], 3
	s_add_u32 s8, s62, s8
	s_addc_u32 s9, s63, s9
	s_lshl_b32 s6, s69, 10
	s_lshl_b64 s[6:7], s[6:7], 3
	s_add_u32 s6, s8, s6
	v_bfe_u32 v1, v69, 2, 4
	s_movk_i32 s8, 0x3c0
	v_and_or_b32 v1, v69, s8, v1
	s_movk_i32 s8, 0x110
	v_mad_u32_u24 v1, v1, s8, 0
	v_add_u32_e32 v8, v1, v33
	ds_read2st64_b32 v[2:3], v8 offset1:17
	ds_read2st64_b32 v[4:5], v1 offset0:1 offset1:18
	ds_read2st64_b32 v[6:7], v1 offset0:35 offset1:52
	;; [unrolled: 1-line block ×3, first 2 shown]
	v_lshrrev_b32_e32 v0, 2, v69
	s_waitcnt lgkmcnt(3)
	v_cvt_f32_f16_e32 v10, v2
	v_cvt_f32_f16_sdwa v11, v2 dst_sel:DWORD dst_unused:UNUSED_PAD src0_sel:WORD_1
	v_cvt_f32_f16_e32 v2, v3
	v_cvt_f32_f16_sdwa v3, v3 dst_sel:DWORD dst_unused:UNUSED_PAD src0_sel:WORD_1
	s_waitcnt lgkmcnt(0)
	v_cvt_f32_f16_e32 v12, v8
	v_cvt_f32_f16_sdwa v13, v8 dst_sel:DWORD dst_unused:UNUSED_PAD src0_sel:WORD_1
	v_pk_fma_f32 v[10:11], v[4:5], v[10:11], 0 op_sel_hi:[0,1,0]
	v_mov_b32_e32 v4, v5
	v_pk_fma_f32 v[2:3], v[4:5], v[2:3], v[10:11] op_sel_hi:[0,1,1]
	v_pk_fma_f32 v[2:3], v[6:7], v[12:13], v[2:3] op_sel_hi:[0,1,1]
	v_mov_b32_e32 v6, v7
	v_add_u32_e32 v7, 1, v0
	s_addc_u32 s7, s9, s7
	v_cvt_f32_f16_e32 v4, v9
	v_cvt_f32_f16_sdwa v5, v9 dst_sel:DWORD dst_unused:UNUSED_PAD src0_sel:WORD_1
	v_lshlrev_b32_e32 v8, 2, v7
	v_and_b32_e32 v9, 15, v7
	s_movk_i32 s9, 0x7c0
	v_and_or_b32 v8, v8, s9, v9
	v_mad_u32_u24 v10, v8, s8, 0
	v_add_u32_e32 v11, v10, v33
	v_add_lshl_u32 v1, v67, v32, 3
	ds_read2st64_b32 v[8:9], v11 offset1:17
	v_pk_fma_f32 v[2:3], v[6:7], v[4:5], v[2:3] op_sel_hi:[0,1,1]
	global_store_dwordx2 v1, v[2:3], s[6:7]
	v_lshlrev_b32_e32 v1, 6, v7
	ds_read2st64_b32 v[2:3], v10 offset0:1 offset1:18
	ds_read2st64_b32 v[6:7], v10 offset0:35 offset1:52
	ds_read2st64_b32 v[10:11], v11 offset0:34 offset1:51
	s_waitcnt lgkmcnt(3)
	v_cvt_f32_f16_e32 v4, v8
	v_cvt_f32_f16_sdwa v5, v8 dst_sel:DWORD dst_unused:UNUSED_PAD src0_sel:WORD_1
	v_cvt_f32_f16_e32 v8, v9
	v_cvt_f32_f16_sdwa v9, v9 dst_sel:DWORD dst_unused:UNUSED_PAD src0_sel:WORD_1
	s_waitcnt lgkmcnt(0)
	v_cvt_f32_f16_e32 v12, v10
	v_cvt_f32_f16_sdwa v13, v10 dst_sel:DWORD dst_unused:UNUSED_PAD src0_sel:WORD_1
	v_cvt_f32_f16_e32 v10, v11
	v_cvt_f32_f16_sdwa v11, v11 dst_sel:DWORD dst_unused:UNUSED_PAD src0_sel:WORD_1
	v_pk_fma_f32 v[4:5], v[2:3], v[4:5], 0 op_sel_hi:[0,1,0]
	v_mov_b32_e32 v2, v3
	v_pk_fma_f32 v[2:3], v[2:3], v[8:9], v[4:5] op_sel_hi:[0,1,1]
	v_pk_fma_f32 v[2:3], v[6:7], v[12:13], v[2:3] op_sel_hi:[0,1,1]
	v_mov_b32_e32 v4, v7
	v_add_lshl_u32 v1, v1, v32, 3
	v_pk_fma_f32 v[2:3], v[4:5], v[10:11], v[2:3] op_sel_hi:[0,1,1]
	global_store_dwordx2 v1, v[2:3], s[6:7]
	v_add_u32_e32 v1, 2, v0
	v_lshlrev_b32_e32 v2, 2, v1
	v_and_b32_e32 v3, 15, v1
	v_and_or_b32 v2, v2, s9, v3
	v_mad_u32_u24 v6, v2, s8, 0
	v_add_u32_e32 v8, v6, v33
	ds_read2st64_b32 v[2:3], v8 offset1:17
	ds_read2st64_b32 v[4:5], v6 offset0:1 offset1:18
	ds_read2st64_b32 v[6:7], v6 offset0:35 offset1:52
	ds_read2st64_b32 v[8:9], v8 offset0:34 offset1:51
	v_lshlrev_b32_e32 v1, 6, v1
	s_waitcnt lgkmcnt(3)
	v_cvt_f32_f16_e32 v10, v2
	v_cvt_f32_f16_sdwa v11, v2 dst_sel:DWORD dst_unused:UNUSED_PAD src0_sel:WORD_1
	v_cvt_f32_f16_e32 v2, v3
	v_cvt_f32_f16_sdwa v3, v3 dst_sel:DWORD dst_unused:UNUSED_PAD src0_sel:WORD_1
	s_waitcnt lgkmcnt(0)
	v_cvt_f32_f16_e32 v12, v8
	v_cvt_f32_f16_sdwa v13, v8 dst_sel:DWORD dst_unused:UNUSED_PAD src0_sel:WORD_1
	v_pk_fma_f32 v[10:11], v[4:5], v[10:11], 0 op_sel_hi:[0,1,0]
	v_mov_b32_e32 v4, v5
	v_pk_fma_f32 v[2:3], v[4:5], v[2:3], v[10:11] op_sel_hi:[0,1,1]
	v_pk_fma_f32 v[2:3], v[6:7], v[12:13], v[2:3] op_sel_hi:[0,1,1]
	v_mov_b32_e32 v6, v7
	v_add_u32_e32 v7, 3, v0
	v_cvt_f32_f16_e32 v4, v9
	v_cvt_f32_f16_sdwa v5, v9 dst_sel:DWORD dst_unused:UNUSED_PAD src0_sel:WORD_1
	v_lshlrev_b32_e32 v8, 2, v7
	v_and_b32_e32 v9, 15, v7
	v_and_or_b32 v8, v8, s9, v9
	v_mad_u32_u24 v10, v8, s8, 0
	v_add_u32_e32 v11, v10, v33
	v_add_lshl_u32 v1, v1, v32, 3
	ds_read2st64_b32 v[8:9], v11 offset1:17
	v_pk_fma_f32 v[2:3], v[6:7], v[4:5], v[2:3] op_sel_hi:[0,1,1]
	global_store_dwordx2 v1, v[2:3], s[6:7]
	v_lshlrev_b32_e32 v1, 6, v7
	ds_read2st64_b32 v[2:3], v10 offset0:1 offset1:18
	ds_read2st64_b32 v[6:7], v10 offset0:35 offset1:52
	ds_read2st64_b32 v[10:11], v11 offset0:34 offset1:51
	s_waitcnt lgkmcnt(3)
	v_cvt_f32_f16_e32 v4, v8
	v_cvt_f32_f16_sdwa v5, v8 dst_sel:DWORD dst_unused:UNUSED_PAD src0_sel:WORD_1
	v_cvt_f32_f16_e32 v8, v9
	v_cvt_f32_f16_sdwa v9, v9 dst_sel:DWORD dst_unused:UNUSED_PAD src0_sel:WORD_1
	s_waitcnt lgkmcnt(0)
	v_cvt_f32_f16_e32 v12, v10
	v_cvt_f32_f16_sdwa v13, v10 dst_sel:DWORD dst_unused:UNUSED_PAD src0_sel:WORD_1
	v_cvt_f32_f16_e32 v10, v11
	v_cvt_f32_f16_sdwa v11, v11 dst_sel:DWORD dst_unused:UNUSED_PAD src0_sel:WORD_1
	v_pk_fma_f32 v[4:5], v[2:3], v[4:5], 0 op_sel_hi:[0,1,0]
	v_mov_b32_e32 v2, v3
	v_pk_fma_f32 v[2:3], v[2:3], v[8:9], v[4:5] op_sel_hi:[0,1,1]
	v_pk_fma_f32 v[2:3], v[6:7], v[12:13], v[2:3] op_sel_hi:[0,1,1]
	v_mov_b32_e32 v4, v7
	v_add_lshl_u32 v1, v1, v32, 3
	v_pk_fma_f32 v[2:3], v[4:5], v[10:11], v[2:3] op_sel_hi:[0,1,1]
	global_store_dwordx2 v1, v[2:3], s[6:7]
	v_add_u32_e32 v1, 4, v0
	v_lshlrev_b32_e32 v2, 2, v1
	v_and_b32_e32 v3, 15, v1
	v_and_or_b32 v2, v2, s9, v3
	v_mad_u32_u24 v6, v2, s8, 0
	v_add_u32_e32 v8, v6, v33
	ds_read2st64_b32 v[2:3], v8 offset1:17
	ds_read2st64_b32 v[4:5], v6 offset0:1 offset1:18
	ds_read2st64_b32 v[6:7], v6 offset0:35 offset1:52
	ds_read2st64_b32 v[8:9], v8 offset0:34 offset1:51
	v_lshlrev_b32_e32 v1, 6, v1
	s_waitcnt lgkmcnt(3)
	v_cvt_f32_f16_e32 v10, v2
	v_cvt_f32_f16_sdwa v11, v2 dst_sel:DWORD dst_unused:UNUSED_PAD src0_sel:WORD_1
	v_cvt_f32_f16_e32 v2, v3
	v_cvt_f32_f16_sdwa v3, v3 dst_sel:DWORD dst_unused:UNUSED_PAD src0_sel:WORD_1
	s_waitcnt lgkmcnt(0)
	v_cvt_f32_f16_e32 v12, v8
	v_cvt_f32_f16_sdwa v13, v8 dst_sel:DWORD dst_unused:UNUSED_PAD src0_sel:WORD_1
	v_pk_fma_f32 v[10:11], v[4:5], v[10:11], 0 op_sel_hi:[0,1,0]
	v_mov_b32_e32 v4, v5
	v_pk_fma_f32 v[2:3], v[4:5], v[2:3], v[10:11] op_sel_hi:[0,1,1]
	v_pk_fma_f32 v[2:3], v[6:7], v[12:13], v[2:3] op_sel_hi:[0,1,1]
	v_mov_b32_e32 v6, v7
	v_add_u32_e32 v7, 5, v0
	v_cvt_f32_f16_e32 v4, v9
	v_cvt_f32_f16_sdwa v5, v9 dst_sel:DWORD dst_unused:UNUSED_PAD src0_sel:WORD_1
	v_lshlrev_b32_e32 v8, 2, v7
	v_and_b32_e32 v9, 15, v7
	v_and_or_b32 v8, v8, s9, v9
	v_mad_u32_u24 v10, v8, s8, 0
	v_add_u32_e32 v11, v10, v33
	v_add_lshl_u32 v1, v1, v32, 3
	ds_read2st64_b32 v[8:9], v11 offset1:17
	v_pk_fma_f32 v[2:3], v[6:7], v[4:5], v[2:3] op_sel_hi:[0,1,1]
	global_store_dwordx2 v1, v[2:3], s[6:7]
	v_lshlrev_b32_e32 v1, 6, v7
	ds_read2st64_b32 v[2:3], v10 offset0:1 offset1:18
	ds_read2st64_b32 v[6:7], v10 offset0:35 offset1:52
	ds_read2st64_b32 v[10:11], v11 offset0:34 offset1:51
	s_waitcnt lgkmcnt(3)
	v_cvt_f32_f16_e32 v4, v8
	v_cvt_f32_f16_sdwa v5, v8 dst_sel:DWORD dst_unused:UNUSED_PAD src0_sel:WORD_1
	v_cvt_f32_f16_e32 v8, v9
	v_cvt_f32_f16_sdwa v9, v9 dst_sel:DWORD dst_unused:UNUSED_PAD src0_sel:WORD_1
	s_waitcnt lgkmcnt(0)
	v_cvt_f32_f16_e32 v12, v10
	v_cvt_f32_f16_sdwa v13, v10 dst_sel:DWORD dst_unused:UNUSED_PAD src0_sel:WORD_1
	v_cvt_f32_f16_e32 v10, v11
	v_cvt_f32_f16_sdwa v11, v11 dst_sel:DWORD dst_unused:UNUSED_PAD src0_sel:WORD_1
	v_pk_fma_f32 v[4:5], v[2:3], v[4:5], 0 op_sel_hi:[0,1,0]
	v_mov_b32_e32 v2, v3
	v_pk_fma_f32 v[2:3], v[2:3], v[8:9], v[4:5] op_sel_hi:[0,1,1]
	v_pk_fma_f32 v[2:3], v[6:7], v[12:13], v[2:3] op_sel_hi:[0,1,1]
	v_mov_b32_e32 v4, v7
	v_add_lshl_u32 v1, v1, v32, 3
	v_pk_fma_f32 v[2:3], v[4:5], v[10:11], v[2:3] op_sel_hi:[0,1,1]
	global_store_dwordx2 v1, v[2:3], s[6:7]
	v_add_u32_e32 v1, 6, v0
	v_lshlrev_b32_e32 v2, 2, v1
	v_and_b32_e32 v3, 15, v1
	v_and_or_b32 v2, v2, s9, v3
	v_mad_u32_u24 v6, v2, s8, 0
	v_add_u32_e32 v8, v6, v33
	ds_read2st64_b32 v[2:3], v8 offset1:17
	ds_read2st64_b32 v[4:5], v6 offset0:1 offset1:18
	ds_read2st64_b32 v[6:7], v6 offset0:35 offset1:52
	ds_read2st64_b32 v[8:9], v8 offset0:34 offset1:51
	v_lshlrev_b32_e32 v1, 6, v1
	s_waitcnt lgkmcnt(3)
	v_cvt_f32_f16_e32 v10, v2
	v_cvt_f32_f16_sdwa v11, v2 dst_sel:DWORD dst_unused:UNUSED_PAD src0_sel:WORD_1
	v_cvt_f32_f16_e32 v2, v3
	v_cvt_f32_f16_sdwa v3, v3 dst_sel:DWORD dst_unused:UNUSED_PAD src0_sel:WORD_1
	s_waitcnt lgkmcnt(0)
	v_cvt_f32_f16_e32 v12, v8
	v_cvt_f32_f16_sdwa v13, v8 dst_sel:DWORD dst_unused:UNUSED_PAD src0_sel:WORD_1
	v_pk_fma_f32 v[10:11], v[4:5], v[10:11], 0 op_sel_hi:[0,1,0]
	v_mov_b32_e32 v4, v5
	v_pk_fma_f32 v[2:3], v[4:5], v[2:3], v[10:11] op_sel_hi:[0,1,1]
	v_pk_fma_f32 v[2:3], v[6:7], v[12:13], v[2:3] op_sel_hi:[0,1,1]
	v_mov_b32_e32 v6, v7
	v_add_u32_e32 v7, 7, v0
	v_cvt_f32_f16_e32 v4, v9
	v_cvt_f32_f16_sdwa v5, v9 dst_sel:DWORD dst_unused:UNUSED_PAD src0_sel:WORD_1
	v_lshlrev_b32_e32 v8, 2, v7
	v_and_b32_e32 v9, 15, v7
	v_and_or_b32 v8, v8, s9, v9
	v_mad_u32_u24 v10, v8, s8, 0
	v_add_u32_e32 v11, v10, v33
	v_add_lshl_u32 v1, v1, v32, 3
	ds_read2st64_b32 v[8:9], v11 offset1:17
	v_pk_fma_f32 v[2:3], v[6:7], v[4:5], v[2:3] op_sel_hi:[0,1,1]
	global_store_dwordx2 v1, v[2:3], s[6:7]
	v_lshlrev_b32_e32 v1, 6, v7
	ds_read2st64_b32 v[2:3], v10 offset0:1 offset1:18
	ds_read2st64_b32 v[6:7], v10 offset0:35 offset1:52
	ds_read2st64_b32 v[10:11], v11 offset0:34 offset1:51
	s_waitcnt lgkmcnt(3)
	v_cvt_f32_f16_e32 v4, v8
	v_cvt_f32_f16_sdwa v5, v8 dst_sel:DWORD dst_unused:UNUSED_PAD src0_sel:WORD_1
	v_cvt_f32_f16_e32 v8, v9
	v_cvt_f32_f16_sdwa v9, v9 dst_sel:DWORD dst_unused:UNUSED_PAD src0_sel:WORD_1
	s_waitcnt lgkmcnt(0)
	v_cvt_f32_f16_e32 v12, v10
	v_cvt_f32_f16_sdwa v13, v10 dst_sel:DWORD dst_unused:UNUSED_PAD src0_sel:WORD_1
	v_cvt_f32_f16_e32 v10, v11
	v_cvt_f32_f16_sdwa v11, v11 dst_sel:DWORD dst_unused:UNUSED_PAD src0_sel:WORD_1
	v_pk_fma_f32 v[4:5], v[2:3], v[4:5], 0 op_sel_hi:[0,1,0]
	v_mov_b32_e32 v2, v3
	v_pk_fma_f32 v[2:3], v[2:3], v[8:9], v[4:5] op_sel_hi:[0,1,1]
	v_pk_fma_f32 v[2:3], v[6:7], v[12:13], v[2:3] op_sel_hi:[0,1,1]
	v_mov_b32_e32 v4, v7
	v_add_lshl_u32 v1, v1, v32, 3
	v_pk_fma_f32 v[2:3], v[4:5], v[10:11], v[2:3] op_sel_hi:[0,1,1]
	global_store_dwordx2 v1, v[2:3], s[6:7]
	v_add_u32_e32 v1, 8, v0
	v_lshlrev_b32_e32 v2, 2, v1
	v_and_b32_e32 v3, 15, v1
	v_and_or_b32 v2, v2, s9, v3
	v_mad_u32_u24 v6, v2, s8, 0
	v_add_u32_e32 v8, v6, v33
	ds_read2st64_b32 v[2:3], v8 offset1:17
	ds_read2st64_b32 v[4:5], v6 offset0:1 offset1:18
	ds_read2st64_b32 v[6:7], v6 offset0:35 offset1:52
	ds_read2st64_b32 v[8:9], v8 offset0:34 offset1:51
	v_lshlrev_b32_e32 v1, 6, v1
	s_waitcnt lgkmcnt(3)
	v_cvt_f32_f16_e32 v10, v2
	v_cvt_f32_f16_sdwa v11, v2 dst_sel:DWORD dst_unused:UNUSED_PAD src0_sel:WORD_1
	v_cvt_f32_f16_e32 v2, v3
	v_cvt_f32_f16_sdwa v3, v3 dst_sel:DWORD dst_unused:UNUSED_PAD src0_sel:WORD_1
	s_waitcnt lgkmcnt(0)
	v_cvt_f32_f16_e32 v12, v8
	v_cvt_f32_f16_sdwa v13, v8 dst_sel:DWORD dst_unused:UNUSED_PAD src0_sel:WORD_1
	v_pk_fma_f32 v[10:11], v[4:5], v[10:11], 0 op_sel_hi:[0,1,0]
	v_mov_b32_e32 v4, v5
	v_pk_fma_f32 v[2:3], v[4:5], v[2:3], v[10:11] op_sel_hi:[0,1,1]
	v_pk_fma_f32 v[2:3], v[6:7], v[12:13], v[2:3] op_sel_hi:[0,1,1]
	v_mov_b32_e32 v6, v7
	v_add_u32_e32 v7, 9, v0
	v_cvt_f32_f16_e32 v4, v9
	v_cvt_f32_f16_sdwa v5, v9 dst_sel:DWORD dst_unused:UNUSED_PAD src0_sel:WORD_1
	v_lshlrev_b32_e32 v8, 2, v7
	v_and_b32_e32 v9, 15, v7
	v_and_or_b32 v8, v8, s9, v9
	v_mad_u32_u24 v10, v8, s8, 0
	v_add_u32_e32 v11, v10, v33
	v_add_lshl_u32 v1, v1, v32, 3
	ds_read2st64_b32 v[8:9], v11 offset1:17
	v_pk_fma_f32 v[2:3], v[6:7], v[4:5], v[2:3] op_sel_hi:[0,1,1]
	global_store_dwordx2 v1, v[2:3], s[6:7]
	v_lshlrev_b32_e32 v1, 6, v7
	ds_read2st64_b32 v[2:3], v10 offset0:1 offset1:18
	ds_read2st64_b32 v[6:7], v10 offset0:35 offset1:52
	ds_read2st64_b32 v[10:11], v11 offset0:34 offset1:51
	s_waitcnt lgkmcnt(3)
	v_cvt_f32_f16_e32 v4, v8
	v_cvt_f32_f16_sdwa v5, v8 dst_sel:DWORD dst_unused:UNUSED_PAD src0_sel:WORD_1
	v_cvt_f32_f16_e32 v8, v9
	v_cvt_f32_f16_sdwa v9, v9 dst_sel:DWORD dst_unused:UNUSED_PAD src0_sel:WORD_1
	s_waitcnt lgkmcnt(0)
	v_cvt_f32_f16_e32 v12, v10
	v_cvt_f32_f16_sdwa v13, v10 dst_sel:DWORD dst_unused:UNUSED_PAD src0_sel:WORD_1
	v_cvt_f32_f16_e32 v10, v11
	v_cvt_f32_f16_sdwa v11, v11 dst_sel:DWORD dst_unused:UNUSED_PAD src0_sel:WORD_1
	v_pk_fma_f32 v[4:5], v[2:3], v[4:5], 0 op_sel_hi:[0,1,0]
	v_mov_b32_e32 v2, v3
	v_pk_fma_f32 v[2:3], v[2:3], v[8:9], v[4:5] op_sel_hi:[0,1,1]
	v_pk_fma_f32 v[2:3], v[6:7], v[12:13], v[2:3] op_sel_hi:[0,1,1]
	v_mov_b32_e32 v4, v7
	v_add_lshl_u32 v1, v1, v32, 3
	v_pk_fma_f32 v[2:3], v[4:5], v[10:11], v[2:3] op_sel_hi:[0,1,1]
	global_store_dwordx2 v1, v[2:3], s[6:7]
	v_add_u32_e32 v1, 10, v0
	v_lshlrev_b32_e32 v2, 2, v1
	v_and_b32_e32 v3, 15, v1
	v_and_or_b32 v2, v2, s9, v3
	v_mad_u32_u24 v6, v2, s8, 0
	v_add_u32_e32 v8, v6, v33
	ds_read2st64_b32 v[2:3], v8 offset1:17
	ds_read2st64_b32 v[4:5], v6 offset0:1 offset1:18
	ds_read2st64_b32 v[6:7], v6 offset0:35 offset1:52
	ds_read2st64_b32 v[8:9], v8 offset0:34 offset1:51
	v_lshlrev_b32_e32 v1, 6, v1
	s_waitcnt lgkmcnt(3)
	v_cvt_f32_f16_e32 v10, v2
	v_cvt_f32_f16_sdwa v11, v2 dst_sel:DWORD dst_unused:UNUSED_PAD src0_sel:WORD_1
	v_cvt_f32_f16_e32 v2, v3
	v_cvt_f32_f16_sdwa v3, v3 dst_sel:DWORD dst_unused:UNUSED_PAD src0_sel:WORD_1
	s_waitcnt lgkmcnt(0)
	v_cvt_f32_f16_e32 v12, v8
	v_cvt_f32_f16_sdwa v13, v8 dst_sel:DWORD dst_unused:UNUSED_PAD src0_sel:WORD_1
	v_pk_fma_f32 v[10:11], v[4:5], v[10:11], 0 op_sel_hi:[0,1,0]
	v_mov_b32_e32 v4, v5
	v_pk_fma_f32 v[2:3], v[4:5], v[2:3], v[10:11] op_sel_hi:[0,1,1]
	v_pk_fma_f32 v[2:3], v[6:7], v[12:13], v[2:3] op_sel_hi:[0,1,1]
	v_mov_b32_e32 v6, v7
	v_add_u32_e32 v7, 11, v0
	v_cvt_f32_f16_e32 v4, v9
	v_cvt_f32_f16_sdwa v5, v9 dst_sel:DWORD dst_unused:UNUSED_PAD src0_sel:WORD_1
	v_lshlrev_b32_e32 v8, 2, v7
	v_and_b32_e32 v9, 15, v7
	v_and_or_b32 v8, v8, s9, v9
	v_mad_u32_u24 v10, v8, s8, 0
	v_add_u32_e32 v11, v10, v33
	v_add_lshl_u32 v1, v1, v32, 3
	ds_read2st64_b32 v[8:9], v11 offset1:17
	v_pk_fma_f32 v[2:3], v[6:7], v[4:5], v[2:3] op_sel_hi:[0,1,1]
	global_store_dwordx2 v1, v[2:3], s[6:7]
	v_lshlrev_b32_e32 v1, 6, v7
	ds_read2st64_b32 v[2:3], v10 offset0:1 offset1:18
	ds_read2st64_b32 v[6:7], v10 offset0:35 offset1:52
	ds_read2st64_b32 v[10:11], v11 offset0:34 offset1:51
	s_waitcnt lgkmcnt(3)
	v_cvt_f32_f16_e32 v4, v8
	v_cvt_f32_f16_sdwa v5, v8 dst_sel:DWORD dst_unused:UNUSED_PAD src0_sel:WORD_1
	v_cvt_f32_f16_e32 v8, v9
	v_cvt_f32_f16_sdwa v9, v9 dst_sel:DWORD dst_unused:UNUSED_PAD src0_sel:WORD_1
	s_waitcnt lgkmcnt(0)
	v_cvt_f32_f16_e32 v12, v10
	v_cvt_f32_f16_sdwa v13, v10 dst_sel:DWORD dst_unused:UNUSED_PAD src0_sel:WORD_1
	v_cvt_f32_f16_e32 v10, v11
	v_cvt_f32_f16_sdwa v11, v11 dst_sel:DWORD dst_unused:UNUSED_PAD src0_sel:WORD_1
	v_pk_fma_f32 v[4:5], v[2:3], v[4:5], 0 op_sel_hi:[0,1,0]
	v_mov_b32_e32 v2, v3
	v_pk_fma_f32 v[2:3], v[2:3], v[8:9], v[4:5] op_sel_hi:[0,1,1]
	v_pk_fma_f32 v[2:3], v[6:7], v[12:13], v[2:3] op_sel_hi:[0,1,1]
	v_mov_b32_e32 v4, v7
	v_add_lshl_u32 v1, v1, v32, 3
	v_pk_fma_f32 v[2:3], v[4:5], v[10:11], v[2:3] op_sel_hi:[0,1,1]
	global_store_dwordx2 v1, v[2:3], s[6:7]
	v_add_u32_e32 v1, 12, v0
	v_lshlrev_b32_e32 v2, 2, v1
	v_and_b32_e32 v3, 15, v1
	v_and_or_b32 v2, v2, s9, v3
	v_mad_u32_u24 v6, v2, s8, 0
	v_add_u32_e32 v8, v6, v33
	ds_read2st64_b32 v[2:3], v8 offset1:17
	ds_read2st64_b32 v[4:5], v6 offset0:1 offset1:18
	ds_read2st64_b32 v[6:7], v6 offset0:35 offset1:52
	ds_read2st64_b32 v[8:9], v8 offset0:34 offset1:51
	v_lshlrev_b32_e32 v1, 6, v1
	s_waitcnt lgkmcnt(3)
	v_cvt_f32_f16_e32 v10, v2
	v_cvt_f32_f16_sdwa v11, v2 dst_sel:DWORD dst_unused:UNUSED_PAD src0_sel:WORD_1
	v_cvt_f32_f16_e32 v2, v3
	v_cvt_f32_f16_sdwa v3, v3 dst_sel:DWORD dst_unused:UNUSED_PAD src0_sel:WORD_1
	s_waitcnt lgkmcnt(0)
	v_cvt_f32_f16_e32 v12, v8
	v_cvt_f32_f16_sdwa v13, v8 dst_sel:DWORD dst_unused:UNUSED_PAD src0_sel:WORD_1
	v_pk_fma_f32 v[10:11], v[4:5], v[10:11], 0 op_sel_hi:[0,1,0]
	v_mov_b32_e32 v4, v5
	v_pk_fma_f32 v[2:3], v[4:5], v[2:3], v[10:11] op_sel_hi:[0,1,1]
	v_pk_fma_f32 v[2:3], v[6:7], v[12:13], v[2:3] op_sel_hi:[0,1,1]
	v_mov_b32_e32 v6, v7
	v_add_u32_e32 v7, 13, v0
	v_cvt_f32_f16_e32 v4, v9
	v_cvt_f32_f16_sdwa v5, v9 dst_sel:DWORD dst_unused:UNUSED_PAD src0_sel:WORD_1
	v_lshlrev_b32_e32 v8, 2, v7
	v_and_b32_e32 v9, 15, v7
	v_and_or_b32 v8, v8, s9, v9
	v_mad_u32_u24 v10, v8, s8, 0
	v_add_u32_e32 v11, v10, v33
	v_add_lshl_u32 v1, v1, v32, 3
	ds_read2st64_b32 v[8:9], v11 offset1:17
	v_pk_fma_f32 v[2:3], v[6:7], v[4:5], v[2:3] op_sel_hi:[0,1,1]
	global_store_dwordx2 v1, v[2:3], s[6:7]
	v_lshlrev_b32_e32 v1, 6, v7
	ds_read2st64_b32 v[2:3], v10 offset0:1 offset1:18
	ds_read2st64_b32 v[6:7], v10 offset0:35 offset1:52
	;; [unrolled: 1-line block ×3, first 2 shown]
	s_waitcnt lgkmcnt(3)
	v_cvt_f32_f16_e32 v4, v8
	v_cvt_f32_f16_sdwa v5, v8 dst_sel:DWORD dst_unused:UNUSED_PAD src0_sel:WORD_1
	v_cvt_f32_f16_e32 v8, v9
	v_cvt_f32_f16_sdwa v9, v9 dst_sel:DWORD dst_unused:UNUSED_PAD src0_sel:WORD_1
	s_waitcnt lgkmcnt(0)
	v_cvt_f32_f16_e32 v12, v10
	v_cvt_f32_f16_sdwa v13, v10 dst_sel:DWORD dst_unused:UNUSED_PAD src0_sel:WORD_1
	v_cvt_f32_f16_e32 v10, v11
	v_cvt_f32_f16_sdwa v11, v11 dst_sel:DWORD dst_unused:UNUSED_PAD src0_sel:WORD_1
	v_pk_fma_f32 v[4:5], v[2:3], v[4:5], 0 op_sel_hi:[0,1,0]
	v_mov_b32_e32 v2, v3
	v_pk_fma_f32 v[2:3], v[2:3], v[8:9], v[4:5] op_sel_hi:[0,1,1]
	v_pk_fma_f32 v[2:3], v[6:7], v[12:13], v[2:3] op_sel_hi:[0,1,1]
	v_mov_b32_e32 v4, v7
	v_add_lshl_u32 v1, v1, v32, 3
	v_pk_fma_f32 v[2:3], v[4:5], v[10:11], v[2:3] op_sel_hi:[0,1,1]
	global_store_dwordx2 v1, v[2:3], s[6:7]
	v_add_u32_e32 v1, 14, v0
	v_lshlrev_b32_e32 v2, 2, v1
	v_and_b32_e32 v3, 15, v1
	v_and_or_b32 v2, v2, s9, v3
	v_mad_u32_u24 v6, v2, s8, 0
	v_add_u32_e32 v8, v6, v33
	ds_read2st64_b32 v[2:3], v8 offset1:17
	ds_read2st64_b32 v[4:5], v6 offset0:1 offset1:18
	ds_read2st64_b32 v[6:7], v6 offset0:35 offset1:52
	;; [unrolled: 1-line block ×3, first 2 shown]
	v_lshlrev_b32_e32 v1, 6, v1
	s_waitcnt lgkmcnt(3)
	v_cvt_f32_f16_e32 v10, v2
	v_cvt_f32_f16_sdwa v11, v2 dst_sel:DWORD dst_unused:UNUSED_PAD src0_sel:WORD_1
	v_cvt_f32_f16_e32 v2, v3
	v_cvt_f32_f16_sdwa v3, v3 dst_sel:DWORD dst_unused:UNUSED_PAD src0_sel:WORD_1
	s_waitcnt lgkmcnt(0)
	v_cvt_f32_f16_e32 v12, v8
	v_cvt_f32_f16_sdwa v13, v8 dst_sel:DWORD dst_unused:UNUSED_PAD src0_sel:WORD_1
	v_pk_fma_f32 v[10:11], v[4:5], v[10:11], 0 op_sel_hi:[0,1,0]
	v_mov_b32_e32 v4, v5
	v_pk_fma_f32 v[2:3], v[4:5], v[2:3], v[10:11] op_sel_hi:[0,1,1]
	v_pk_fma_f32 v[2:3], v[6:7], v[12:13], v[2:3] op_sel_hi:[0,1,1]
	v_mov_b32_e32 v6, v7
	v_add_u32_e32 v7, 15, v0
	v_add_lshl_u32 v14, v1, v32, 3
	v_cvt_f32_f16_e32 v4, v9
	v_cvt_f32_f16_sdwa v5, v9 dst_sel:DWORD dst_unused:UNUSED_PAD src0_sel:WORD_1
	v_lshlrev_b32_e32 v0, 2, v7
	v_and_b32_e32 v1, 15, v7
	v_and_or_b32 v0, v0, s9, v1
	v_mad_u32_u24 v8, v0, s8, 0
	v_add_u32_e32 v9, v8, v33
	ds_read2st64_b32 v[0:1], v9 offset1:17
	v_pk_fma_f32 v[2:3], v[6:7], v[4:5], v[2:3] op_sel_hi:[0,1,1]
	global_store_dwordx2 v14, v[2:3], s[6:7]
	v_lshlrev_b32_e32 v10, 6, v7
	ds_read2st64_b32 v[2:3], v8 offset0:1 offset1:18
	ds_read2st64_b32 v[6:7], v8 offset0:35 offset1:52
	;; [unrolled: 1-line block ×3, first 2 shown]
	s_waitcnt lgkmcnt(3)
	v_cvt_f32_f16_e32 v4, v0
	v_cvt_f32_f16_sdwa v5, v0 dst_sel:DWORD dst_unused:UNUSED_PAD src0_sel:WORD_1
	v_cvt_f32_f16_e32 v0, v1
	v_cvt_f32_f16_sdwa v1, v1 dst_sel:DWORD dst_unused:UNUSED_PAD src0_sel:WORD_1
	v_add_lshl_u32 v12, v10, v32, 3
	s_waitcnt lgkmcnt(0)
	v_cvt_f32_f16_e32 v10, v8
	v_cvt_f32_f16_sdwa v11, v8 dst_sel:DWORD dst_unused:UNUSED_PAD src0_sel:WORD_1
	v_cvt_f32_f16_e32 v8, v9
	v_cvt_f32_f16_sdwa v9, v9 dst_sel:DWORD dst_unused:UNUSED_PAD src0_sel:WORD_1
	v_pk_fma_f32 v[4:5], v[2:3], v[4:5], 0 op_sel_hi:[0,1,0]
	v_mov_b32_e32 v2, v3
	v_pk_fma_f32 v[0:1], v[2:3], v[0:1], v[4:5] op_sel_hi:[0,1,1]
	v_pk_fma_f32 v[0:1], v[6:7], v[10:11], v[0:1] op_sel_hi:[0,1,1]
	v_mov_b32_e32 v2, v7
	v_pk_fma_f32 v[0:1], v[2:3], v[8:9], v[0:1] op_sel_hi:[0,1,1]
	global_store_dwordx2 v12, v[0:1], s[6:7]
.LBB24_324:
	s_or_b64 exec, exec, s[4:5]
	s_barrier
	s_endpgm
	.section	.rodata,"a",@progbits
	.p2align	6, 0x0
	.amdhsa_kernel _ZL18flash_attn_ext_f16ILi128ELi128ELi16ELi1ELb0ELb0EEvPKcS1_S1_S1_S1_PKiPfP15HIP_vector_typeIfLj2EEffffjfiS5_IjLj3EEiiiiiiiiiiiliiliiiiil
		.amdhsa_group_segment_fixed_size 0
		.amdhsa_private_segment_fixed_size 32
		.amdhsa_kernarg_size 464
		.amdhsa_user_sgpr_count 8
		.amdhsa_user_sgpr_private_segment_buffer 1
		.amdhsa_user_sgpr_dispatch_ptr 0
		.amdhsa_user_sgpr_queue_ptr 0
		.amdhsa_user_sgpr_kernarg_segment_ptr 1
		.amdhsa_user_sgpr_dispatch_id 0
		.amdhsa_user_sgpr_flat_scratch_init 1
		.amdhsa_user_sgpr_kernarg_preload_length 0
		.amdhsa_user_sgpr_kernarg_preload_offset 0
		.amdhsa_user_sgpr_private_segment_size 0
		.amdhsa_uses_dynamic_stack 0
		.amdhsa_system_sgpr_private_segment_wavefront_offset 1
		.amdhsa_system_sgpr_workgroup_id_x 1
		.amdhsa_system_sgpr_workgroup_id_y 0
		.amdhsa_system_sgpr_workgroup_id_z 0
		.amdhsa_system_sgpr_workgroup_info 0
		.amdhsa_system_vgpr_workitem_id 1
		.amdhsa_next_free_vgpr 214
		.amdhsa_next_free_sgpr 100
		.amdhsa_accum_offset 216
		.amdhsa_reserve_vcc 1
		.amdhsa_reserve_flat_scratch 1
		.amdhsa_float_round_mode_32 0
		.amdhsa_float_round_mode_16_64 0
		.amdhsa_float_denorm_mode_32 3
		.amdhsa_float_denorm_mode_16_64 3
		.amdhsa_dx10_clamp 1
		.amdhsa_ieee_mode 1
		.amdhsa_fp16_overflow 0
		.amdhsa_tg_split 0
		.amdhsa_exception_fp_ieee_invalid_op 0
		.amdhsa_exception_fp_denorm_src 0
		.amdhsa_exception_fp_ieee_div_zero 0
		.amdhsa_exception_fp_ieee_overflow 0
		.amdhsa_exception_fp_ieee_underflow 0
		.amdhsa_exception_fp_ieee_inexact 0
		.amdhsa_exception_int_div_zero 0
	.end_amdhsa_kernel
	.section	.text._ZL18flash_attn_ext_f16ILi128ELi128ELi16ELi1ELb0ELb0EEvPKcS1_S1_S1_S1_PKiPfP15HIP_vector_typeIfLj2EEffffjfiS5_IjLj3EEiiiiiiiiiiiliiliiiiil,"axG",@progbits,_ZL18flash_attn_ext_f16ILi128ELi128ELi16ELi1ELb0ELb0EEvPKcS1_S1_S1_S1_PKiPfP15HIP_vector_typeIfLj2EEffffjfiS5_IjLj3EEiiiiiiiiiiiliiliiiiil,comdat
.Lfunc_end24:
	.size	_ZL18flash_attn_ext_f16ILi128ELi128ELi16ELi1ELb0ELb0EEvPKcS1_S1_S1_S1_PKiPfP15HIP_vector_typeIfLj2EEffffjfiS5_IjLj3EEiiiiiiiiiiiliiliiiiil, .Lfunc_end24-_ZL18flash_attn_ext_f16ILi128ELi128ELi16ELi1ELb0ELb0EEvPKcS1_S1_S1_S1_PKiPfP15HIP_vector_typeIfLj2EEffffjfiS5_IjLj3EEiiiiiiiiiiiliiliiiiil
                                        ; -- End function
	.section	.AMDGPU.csdata,"",@progbits
; Kernel info:
; codeLenInByte = 46712
; NumSgprs: 106
; NumVgprs: 214
; NumAgprs: 0
; TotalNumVgprs: 214
; ScratchSize: 32
; MemoryBound: 0
; FloatMode: 240
; IeeeMode: 1
; LDSByteSize: 0 bytes/workgroup (compile time only)
; SGPRBlocks: 13
; VGPRBlocks: 26
; NumSGPRsForWavesPerEU: 106
; NumVGPRsForWavesPerEU: 214
; AccumOffset: 216
; Occupancy: 2
; WaveLimiterHint : 0
; COMPUTE_PGM_RSRC2:SCRATCH_EN: 1
; COMPUTE_PGM_RSRC2:USER_SGPR: 8
; COMPUTE_PGM_RSRC2:TRAP_HANDLER: 0
; COMPUTE_PGM_RSRC2:TGID_X_EN: 1
; COMPUTE_PGM_RSRC2:TGID_Y_EN: 0
; COMPUTE_PGM_RSRC2:TGID_Z_EN: 0
; COMPUTE_PGM_RSRC2:TIDIG_COMP_CNT: 1
; COMPUTE_PGM_RSRC3_GFX90A:ACCUM_OFFSET: 53
; COMPUTE_PGM_RSRC3_GFX90A:TG_SPLIT: 0
	.section	.text._ZL18flash_attn_ext_f16ILi128ELi128ELi16ELi1ELb1ELb0EEvPKcS1_S1_S1_S1_PKiPfP15HIP_vector_typeIfLj2EEffffjfiS5_IjLj3EEiiiiiiiiiiiliiliiiiil,"axG",@progbits,_ZL18flash_attn_ext_f16ILi128ELi128ELi16ELi1ELb1ELb0EEvPKcS1_S1_S1_S1_PKiPfP15HIP_vector_typeIfLj2EEffffjfiS5_IjLj3EEiiiiiiiiiiiliiliiiiil,comdat
	.globl	_ZL18flash_attn_ext_f16ILi128ELi128ELi16ELi1ELb1ELb0EEvPKcS1_S1_S1_S1_PKiPfP15HIP_vector_typeIfLj2EEffffjfiS5_IjLj3EEiiiiiiiiiiiliiliiiiil ; -- Begin function _ZL18flash_attn_ext_f16ILi128ELi128ELi16ELi1ELb1ELb0EEvPKcS1_S1_S1_S1_PKiPfP15HIP_vector_typeIfLj2EEffffjfiS5_IjLj3EEiiiiiiiiiiiliiliiiiil
	.p2align	8
	.type	_ZL18flash_attn_ext_f16ILi128ELi128ELi16ELi1ELb1ELb0EEvPKcS1_S1_S1_S1_PKiPfP15HIP_vector_typeIfLj2EEffffjfiS5_IjLj3EEiiiiiiiiiiiliiliiiiil,@function
_ZL18flash_attn_ext_f16ILi128ELi128ELi16ELi1ELb1ELb0EEvPKcS1_S1_S1_S1_PKiPfP15HIP_vector_typeIfLj2EEffffjfiS5_IjLj3EEiiiiiiiiiiiliiliiiiil: ; @_ZL18flash_attn_ext_f16ILi128ELi128ELi16ELi1ELb1ELb0EEvPKcS1_S1_S1_S1_PKiPfP15HIP_vector_typeIfLj2EEffffjfiS5_IjLj3EEiiiiiiiiiiiliiliiiiil
; %bb.0:
	s_load_dwordx2 s[14:15], s[4:5], 0x80
	s_load_dwordx4 s[60:63], s[4:5], 0x64
	s_add_u32 flat_scratch_lo, s6, s9
	s_addc_u32 flat_scratch_hi, s7, 0
	s_add_u32 s0, s0, s9
	s_addc_u32 s1, s1, 0
	s_waitcnt lgkmcnt(0)
	s_abs_i32 s6, s15
	v_cvt_f32_u32_e32 v1, s6
	s_sub_i32 s10, 0, s6
	s_abs_i32 s9, s61
	s_xor_b32 s7, s61, s15
	v_rcp_iflag_f32_e32 v1, v1
	s_ashr_i32 s7, s7, 31
                                        ; implicit-def: $vgpr219 : SGPR spill to VGPR lane
	s_load_dword s65, s[4:5], 0xd0
	s_mov_b32 s64, s8
	v_mul_f32_e32 v1, 0x4f7ffffe, v1
	v_cvt_u32_f32_e32 v1, v1
	s_mov_b32 s8, 0
	s_waitcnt lgkmcnt(0)
	v_cvt_f32_u32_e32 v2, s65
	v_cvt_f32_ubyte0_e32 v3, 0
	v_readfirstlane_b32 s11, v1
	s_mul_i32 s10, s10, s11
	s_mul_hi_u32 s10, s11, s10
	s_add_i32 s11, s11, s10
	s_mul_hi_u32 s10, s9, s11
	s_mul_i32 s11, s10, s6
	s_sub_i32 s9, s9, s11
	s_add_i32 s12, s10, 1
	s_sub_i32 s11, s9, s6
	s_cmp_ge_u32 s9, s6
	s_cselect_b32 s10, s12, s10
	s_cselect_b32 s9, s11, s9
	s_add_i32 s11, s10, 1
	s_cmp_ge_u32 s9, s6
	s_cselect_b32 s6, s11, s10
	s_add_i32 s9, s14, 63
	s_xor_b32 s6, s6, s7
	s_ashr_i32 s10, s9, 31
	s_sub_i32 s7, s6, s7
	s_lshr_b32 s6, s10, 26
	s_add_i32 s9, s9, s6
	s_add_i32 s6, s60, 15
	s_lshr_b32 s6, s6, 4
	s_ashr_i32 s9, s9, 6
	v_writelane_b32 v219, s6, 0
	v_writelane_b32 v219, s9, 1
	s_mul_i32 s6, s6, s9
	v_writelane_b32 v219, s7, 2
	v_writelane_b32 v219, s6, 3
	s_mul_i32 s7, s6, s7
	s_mov_b32 s6, s14
	v_writelane_b32 v219, s6, 4
	v_writelane_b32 v219, s7, 5
	s_mul_i32 s6, s7, s15
	s_mul_i32 s10, s6, s62
	v_writelane_b32 v219, s7, 6
	s_ashr_i32 s11, s10, 31
	v_writelane_b32 v219, s6, 7
	s_mul_i32 s6, s11, s64
	s_mul_hi_u32 s7, s10, s64
	s_add_i32 s9, s7, s6
	s_mul_i32 s12, s10, s64
	s_cmp_lg_u64 s[8:9], 0
	s_cbranch_scc0 .LBB25_2
; %bb.1:
	v_madmk_f32 v1, v3, 0x4f800000, v2
	v_rcp_f32_e32 v1, v1
	s_sub_u32 s8, 0, s65
	s_subb_u32 s13, 0, 0
	s_mov_b64 s[6:7], 0
	v_mul_f32_e32 v1, 0x5f7ffffc, v1
	v_mul_f32_e32 v4, 0x2f800000, v1
	v_trunc_f32_e32 v4, v4
	v_madmk_f32 v1, v4, 0xcf800000, v1
	v_cvt_u32_f32_e32 v4, v4
	v_cvt_u32_f32_e32 v1, v1
	v_readfirstlane_b32 s14, v4
	v_readfirstlane_b32 s15, v1
	s_mul_hi_u32 s17, s8, s15
	s_mul_i32 s18, s8, s14
	s_mul_i32 s16, s13, s15
	s_add_i32 s17, s17, s18
	s_add_i32 s17, s17, s16
	s_mul_i32 s19, s8, s15
	s_mul_hi_u32 s16, s15, s17
	s_mul_i32 s18, s15, s17
	s_mul_hi_u32 s15, s15, s19
	s_add_u32 s15, s15, s18
	s_addc_u32 s16, 0, s16
	s_mul_hi_u32 s20, s14, s19
	s_mul_i32 s19, s14, s19
	s_add_u32 s15, s15, s19
	s_mul_hi_u32 s18, s14, s17
	s_addc_u32 s15, s16, s20
	s_addc_u32 s16, s18, 0
	s_mul_i32 s17, s14, s17
	s_add_u32 s15, s15, s17
	s_addc_u32 s16, 0, s16
	v_add_co_u32_e32 v1, vcc, s15, v1
	s_cmp_lg_u64 vcc, 0
	s_addc_u32 s14, s14, s16
	v_readfirstlane_b32 s16, v1
	s_mul_i32 s15, s8, s14
	s_mul_hi_u32 s17, s8, s16
	s_add_i32 s15, s17, s15
	s_mul_i32 s13, s13, s16
	s_add_i32 s15, s15, s13
	s_mul_i32 s8, s8, s16
	s_mul_hi_u32 s17, s14, s8
	s_mul_i32 s18, s14, s8
	s_mul_i32 s20, s16, s15
	s_mul_hi_u32 s8, s16, s8
	s_mul_hi_u32 s19, s16, s15
	s_add_u32 s8, s8, s20
	s_addc_u32 s16, 0, s19
	s_add_u32 s8, s8, s18
	s_mul_hi_u32 s13, s14, s15
	s_addc_u32 s8, s16, s17
	s_addc_u32 s13, s13, 0
	s_mul_i32 s15, s14, s15
	s_add_u32 s8, s8, s15
	s_addc_u32 s13, 0, s13
	v_add_co_u32_e32 v1, vcc, s8, v1
	s_cmp_lg_u64 vcc, 0
	s_addc_u32 s13, s14, s13
	s_ashr_i32 s14, s9, 31
	s_add_u32 s8, s12, s14
	s_mov_b32 s15, s14
	s_addc_u32 s9, s9, s14
	s_xor_b64 s[8:9], s[8:9], s[14:15]
	v_readfirstlane_b32 s18, v1
	s_mul_i32 s17, s8, s13
	s_mul_hi_u32 s19, s8, s18
	s_mul_hi_u32 s16, s8, s13
	s_add_u32 s17, s19, s17
	s_addc_u32 s16, 0, s16
	s_mul_hi_u32 s20, s9, s18
	s_mul_i32 s18, s9, s18
	s_add_u32 s17, s17, s18
	s_mul_hi_u32 s19, s9, s13
	s_addc_u32 s16, s16, s20
	s_addc_u32 s17, s19, 0
	s_mul_i32 s13, s9, s13
	s_add_u32 s13, s16, s13
	s_addc_u32 s16, 0, s17
	s_add_u32 s17, s13, 1
	s_addc_u32 s18, s16, 0
	s_add_u32 s19, s13, 2
	s_mul_i32 s21, s65, s16
	s_mul_hi_u32 s22, s65, s13
	s_addc_u32 s20, s16, 0
	s_add_i32 s22, s22, s21
	s_mul_i32 s21, s65, s13
	v_mov_b32_e32 v1, s21
	v_sub_co_u32_e32 v1, vcc, s8, v1
	s_cmp_lg_u64 vcc, 0
	s_subb_u32 s8, s9, s22
	v_subrev_co_u32_e32 v4, vcc, s65, v1
	s_cmp_lg_u64 vcc, 0
	s_subb_u32 s9, s8, 0
	v_readfirstlane_b32 s21, v4
	s_cmp_ge_u32 s21, s65
	s_cselect_b32 s21, -1, 0
	s_cmp_eq_u32 s9, 0
	s_cselect_b32 s9, s21, -1
	s_cmp_lg_u32 s9, 0
	s_cselect_b32 s9, s20, s18
	v_readfirstlane_b32 s18, v1
	s_cselect_b32 s17, s19, s17
	s_cmp_ge_u32 s18, s65
	s_cselect_b32 s18, -1, 0
	s_cmp_eq_u32 s8, 0
	s_cselect_b32 s8, s18, -1
	s_cmp_lg_u32 s8, 0
	s_cselect_b32 s9, s9, s16
	s_cselect_b32 s8, s17, s13
	s_xor_b64 s[8:9], s[8:9], s[14:15]
	s_sub_u32 s86, s8, s14
	s_branch .LBB25_3
.LBB25_2:
	s_mov_b64 s[6:7], -1
                                        ; implicit-def: $sgpr86_sgpr87
.LBB25_3:
	s_load_dwordx2 s[8:9], s[4:5], 0x74
	v_cvt_f32_u32_e32 v1, s65
	s_andn2_b64 vcc, exec, s[6:7]
	s_waitcnt lgkmcnt(0)
	v_writelane_b32 v219, s8, 8
	v_writelane_b32 v219, s9, 9
	s_cbranch_vccnz .LBB25_5
; %bb.4:
	v_rcp_iflag_f32_e32 v4, v1
	s_sub_i32 s6, 0, s65
	v_mul_f32_e32 v4, 0x4f7ffffe, v4
	v_cvt_u32_f32_e32 v4, v4
	v_readfirstlane_b32 s7, v4
	s_mul_i32 s6, s6, s7
	s_mul_hi_u32 s6, s7, s6
	s_add_i32 s7, s7, s6
	s_mul_hi_u32 s6, s12, s7
	s_mul_i32 s8, s6, s65
	s_sub_i32 s8, s12, s8
	s_add_i32 s7, s6, 1
	s_sub_i32 s9, s8, s65
	s_cmp_ge_u32 s8, s65
	s_cselect_b32 s6, s7, s6
	s_cselect_b32 s8, s9, s8
	s_add_i32 s7, s6, 1
	s_cmp_ge_u32 s8, s65
	s_cselect_b32 s86, s7, s6
.LBB25_5:
	s_add_i32 s6, s64, 1
	s_mul_i32 s7, s11, s6
	s_mul_hi_u32 s8, s10, s6
	s_add_i32 s9, s8, s7
	s_mov_b32 s8, 0
	s_cmp_lg_u64 s[8:9], 0
	s_mul_i32 s8, s10, s6
	s_cbranch_scc0 .LBB25_7
; %bb.6:
	v_madmk_f32 v2, v3, 0x4f800000, v2
	v_rcp_f32_e32 v2, v2
	s_sub_u32 s10, 0, s65
	s_subb_u32 s11, 0, 0
	s_mov_b64 s[6:7], 0
	v_mul_f32_e32 v2, 0x5f7ffffc, v2
	v_mul_f32_e32 v3, 0x2f800000, v2
	v_trunc_f32_e32 v3, v3
	v_madmk_f32 v2, v3, 0xcf800000, v2
	v_cvt_u32_f32_e32 v3, v3
	v_cvt_u32_f32_e32 v2, v2
	v_readfirstlane_b32 s12, v3
	v_readfirstlane_b32 s13, v2
	s_mul_hi_u32 s15, s10, s13
	s_mul_i32 s16, s10, s12
	s_mul_i32 s14, s11, s13
	s_add_i32 s15, s15, s16
	s_add_i32 s15, s15, s14
	s_mul_i32 s17, s10, s13
	s_mul_hi_u32 s14, s13, s15
	s_mul_i32 s16, s13, s15
	s_mul_hi_u32 s13, s13, s17
	s_add_u32 s13, s13, s16
	s_addc_u32 s14, 0, s14
	s_mul_hi_u32 s18, s12, s17
	s_mul_i32 s17, s12, s17
	s_add_u32 s13, s13, s17
	s_mul_hi_u32 s16, s12, s15
	s_addc_u32 s13, s14, s18
	s_addc_u32 s14, s16, 0
	s_mul_i32 s15, s12, s15
	s_add_u32 s13, s13, s15
	s_addc_u32 s14, 0, s14
	v_add_co_u32_e32 v2, vcc, s13, v2
	s_cmp_lg_u64 vcc, 0
	s_addc_u32 s12, s12, s14
	v_readfirstlane_b32 s14, v2
	s_mul_i32 s13, s10, s12
	s_mul_hi_u32 s15, s10, s14
	s_add_i32 s13, s15, s13
	s_mul_i32 s11, s11, s14
	s_add_i32 s13, s13, s11
	s_mul_i32 s10, s10, s14
	s_mul_hi_u32 s15, s12, s10
	s_mul_i32 s16, s12, s10
	s_mul_i32 s18, s14, s13
	s_mul_hi_u32 s10, s14, s10
	s_mul_hi_u32 s17, s14, s13
	s_add_u32 s10, s10, s18
	s_addc_u32 s14, 0, s17
	s_add_u32 s10, s10, s16
	s_mul_hi_u32 s11, s12, s13
	s_addc_u32 s10, s14, s15
	s_addc_u32 s11, s11, 0
	s_mul_i32 s13, s12, s13
	s_add_u32 s10, s10, s13
	s_addc_u32 s11, 0, s11
	v_add_co_u32_e32 v2, vcc, s10, v2
	s_cmp_lg_u64 vcc, 0
	s_addc_u32 s14, s12, s11
	s_ashr_i32 s10, s9, 31
	s_add_u32 s12, s8, s10
	s_mov_b32 s11, s10
	s_addc_u32 s13, s9, s10
	s_xor_b64 s[12:13], s[12:13], s[10:11]
	v_readfirstlane_b32 s16, v2
	s_mul_i32 s15, s12, s14
	s_mul_hi_u32 s17, s12, s16
	s_mul_hi_u32 s9, s12, s14
	s_add_u32 s15, s17, s15
	s_addc_u32 s9, 0, s9
	s_mul_hi_u32 s18, s13, s16
	s_mul_i32 s16, s13, s16
	s_add_u32 s15, s15, s16
	s_mul_hi_u32 s17, s13, s14
	s_addc_u32 s9, s9, s18
	s_addc_u32 s15, s17, 0
	s_mul_i32 s14, s13, s14
	s_add_u32 s9, s9, s14
	s_addc_u32 s14, 0, s15
	s_add_u32 s15, s9, 1
	s_addc_u32 s16, s14, 0
	s_add_u32 s17, s9, 2
	s_mul_i32 s19, s65, s14
	s_mul_hi_u32 s20, s65, s9
	s_addc_u32 s18, s14, 0
	s_add_i32 s20, s20, s19
	s_mul_i32 s19, s65, s9
	v_mov_b32_e32 v2, s19
	v_sub_co_u32_e32 v2, vcc, s12, v2
	s_cmp_lg_u64 vcc, 0
	s_subb_u32 s12, s13, s20
	v_subrev_co_u32_e32 v3, vcc, s65, v2
	s_cmp_lg_u64 vcc, 0
	s_subb_u32 s13, s12, 0
	v_readfirstlane_b32 s19, v3
	s_cmp_ge_u32 s19, s65
	s_cselect_b32 s19, -1, 0
	s_cmp_eq_u32 s13, 0
	s_cselect_b32 s13, s19, -1
	s_cmp_lg_u32 s13, 0
	s_cselect_b32 s13, s18, s16
	v_readfirstlane_b32 s16, v2
	s_cselect_b32 s15, s17, s15
	s_cmp_ge_u32 s16, s65
	s_cselect_b32 s16, -1, 0
	s_cmp_eq_u32 s12, 0
	s_cselect_b32 s12, s16, -1
	s_cmp_lg_u32 s12, 0
	s_cselect_b32 s13, s13, s14
	s_cselect_b32 s12, s15, s9
	s_xor_b64 s[12:13], s[12:13], s[10:11]
	s_sub_u32 s10, s12, s10
	v_writelane_b32 v219, s10, 12
	v_writelane_b32 v219, s11, 13
	s_branch .LBB25_8
.LBB25_7:
	s_mov_b64 s[6:7], -1
                                        ; implicit-def: $sgpr10_sgpr11
                                        ; kill: killed $sgpr10_sgpr11
.LBB25_8:
	s_load_dwordx2 s[10:11], s[4:5], 0x5c
	s_andn2_b64 vcc, exec, s[6:7]
	s_waitcnt lgkmcnt(0)
	v_writelane_b32 v219, s10, 10
	v_writelane_b32 v219, s11, 11
	s_cbranch_vccnz .LBB25_10
; %bb.9:
	v_rcp_iflag_f32_e32 v1, v1
	s_sub_i32 s6, 0, s65
	v_mul_f32_e32 v1, 0x4f7ffffe, v1
	v_cvt_u32_f32_e32 v1, v1
	v_readfirstlane_b32 s7, v1
	s_mul_i32 s6, s6, s7
	s_mul_hi_u32 s6, s7, s6
	s_add_i32 s7, s7, s6
	s_mul_hi_u32 s6, s8, s7
	s_mul_i32 s9, s6, s65
	s_sub_i32 s8, s8, s9
	s_add_i32 s7, s6, 1
	s_sub_i32 s9, s8, s65
	s_cmp_ge_u32 s8, s65
	s_cselect_b32 s6, s7, s6
	s_cselect_b32 s8, s9, s8
	s_add_i32 s7, s6, 1
	s_cmp_ge_u32 s8, s65
	s_cselect_b32 s6, s7, s6
	v_writelane_b32 v219, s6, 12
	v_writelane_b32 v219, s7, 13
.LBB25_10:
	s_load_dwordx16 s[44:59], s[4:5], 0x0
	s_load_dwordx4 s[20:23], s[4:5], 0x40
	s_load_dwordx2 s[72:73], s[4:5], 0x50
	s_load_dwordx2 s[6:7], s[4:5], 0x8c
	s_load_dwordx4 s[8:11], s[4:5], 0x98
	s_load_dwordx2 s[12:13], s[4:5], 0xa8
	s_load_dwordx2 s[24:25], s[4:5], 0xb8
	s_nop 0
	s_load_dwordx2 s[4:5], s[4:5], 0xc8
	v_bfe_u32 v73, v0, 10, 10
	s_waitcnt lgkmcnt(0)
	s_ashr_i32 s62, s6, 2
	s_ashr_i32 s42, s10, 2
	v_writelane_b32 v219, s12, 14
	v_writelane_b32 v219, s13, 15
	;; [unrolled: 1-line block ×4, first 2 shown]
	v_readlane_b32 s12, v219, 1
	s_abs_i32 s93, s12
	v_cvt_f32_u32_e32 v1, s93
	s_ashr_i32 s4, s63, 3
	v_writelane_b32 v219, s4, 18
	s_mov_b32 s5, s7
	v_rcp_iflag_f32_e32 v1, v1
	v_writelane_b32 v219, s4, 19
	v_writelane_b32 v219, s5, 20
	s_mov_b64 s[4:5], s[8:9]
	v_mul_f32_e32 v1, 0x4f7ffffe, v1
	s_mov_b32 s7, s11
	v_cvt_u32_f32_e32 v1, v1
	v_writelane_b32 v219, s4, 21
	v_writelane_b32 v219, s5, 22
	v_writelane_b32 v219, s6, 23
	v_writelane_b32 v219, s7, 24
	s_sub_i32 s6, 0, s93
	v_readfirstlane_b32 s7, v1
	s_mul_i32 s6, s6, s7
	s_ashr_i32 s5, s12, 31
	s_mul_hi_u32 s6, s7, s6
	v_writelane_b32 v219, s5, 25
	s_abs_i32 s5, s86
	s_add_i32 s33, s7, s6
	s_mul_hi_u32 s6, s5, s33
	s_mul_i32 s6, s6, s93
	s_sub_i32 s5, s5, s6
	s_ashr_i32 s66, s25, 1
	s_ashr_i32 s4, s86, 31
	s_sub_i32 s6, s5, s93
	s_cmp_ge_u32 s5, s93
	s_cselect_b32 s5, s6, s5
	s_sub_i32 s6, s5, s93
	s_cmp_ge_u32 s5, s93
	s_cselect_b32 s5, s6, s5
	s_xor_b32 s5, s5, s4
	s_sub_i32 s40, s5, s4
	v_readlane_b32 s4, v219, 12
	s_mov_b32 s8, s4
	s_sub_i32 s4, s4, s86
	s_add_i32 s6, s4, s40
	s_min_i32 s87, s12, s6
	s_cmp_gt_i32 s8, s86
	v_readlane_b32 s5, v219, 13
	s_cselect_b64 s[28:29], -1, 0
	s_cmp_le_i32 s8, s86
	v_cvt_f16_f32_e32 v1, s20
	s_cselect_b64 s[4:5], -1, 0
	s_cmp_gt_i32 s12, s6
	s_cselect_b64 s[6:7], -1, 0
	s_or_b64 s[4:5], s[6:7], s[4:5]
	s_mov_b32 s95, 0
	s_and_b64 vcc, exec, s[4:5]
	v_pack_b32_f16 v79, v1, v1
	v_lshlrev_b32_e32 v75, 2, v73
	v_add_u32_e32 v82, 4, v73
	v_add_u32_e32 v81, 8, v73
	;; [unrolled: 1-line block ×3, first 2 shown]
	v_lshlrev_b32_e32 v71, 4, v73
	v_and_b32_e32 v77, 3, v73
	s_cbranch_vccz .LBB25_13
; %bb.11:
	s_andn2_b64 vcc, exec, s[28:29]
	s_cbranch_vccz .LBB25_340
.LBB25_12:
	s_endpgm
.LBB25_13:
	s_cmp_lg_u64 s[50:51], 0
	v_writelane_b32 v219, s65, 26
	s_cselect_b64 s[4:5], -1, 0
	v_writelane_b32 v219, s4, 27
	v_writelane_b32 v219, s5, 28
	s_mul_i32 s4, s60, s61
	s_cmp_eq_u64 s[52:53], 0
	v_and_b32_e32 v26, 0x3ff, v0
	v_writelane_b32 v219, s4, 29
	s_cselect_b64 s[4:5], -1, 0
	v_lshrrev_b32_e32 v5, 3, v26
	v_writelane_b32 v219, s4, 30
	v_and_b32_e32 v3, 0x3f0, v75
	s_movk_i32 s14, 0x110
	v_and_b32_e32 v1, 15, v26
	v_and_b32_e32 v5, 30, v5
	v_writelane_b32 v219, s5, 31
	s_mov_b64 s[6:7], s[22:23]
	s_mov_b32 s5, s21
	v_mad_u32_u24 v2, v3, s14, 0
	v_mul_u32_u24_e32 v4, 0x110, v1
	v_lshlrev_b32_e32 v10, 2, v5
	v_writelane_b32 v219, s4, 32
	v_add3_u32 v83, v2, v4, v10
	v_mul_u32_u24_e32 v2, 0x90, v73
	v_lshlrev_b32_e32 v28, 1, v26
	v_writelane_b32 v219, s5, 33
	v_add3_u32 v84, 0, v2, v28
	v_lshrrev_b32_e32 v2, 4, v26
	v_lshlrev_b32_e32 v4, 2, v26
	v_writelane_b32 v219, s6, 34
	v_add_u32_e32 v85, v75, v2
	v_and_b32_e32 v30, 60, v4
	v_lshrrev_b32_e32 v18, 2, v26
	v_writelane_b32 v219, s7, 35
	v_cmp_nle_f32_e64 s[4:5], s21, 0
	v_mul_u32_u24_e32 v2, 0x110, v85
	v_lshlrev_b32_e32 v4, 2, v30
	v_and_b32_e32 v11, 48, v71
	v_and_b32_e32 v19, 60, v18
	v_writelane_b32 v219, s4, 36
	s_cmp_lg_u64 s[54:55], 0
	v_add3_u32 v86, 0, v2, v4
	v_add_u16_e32 v4, v11, v19
	v_writelane_b32 v219, s5, 37
	s_cselect_b64 s[4:5], -1, 0
	v_or_b32_e32 v3, v3, v1
	v_lshrrev_b16_e32 v4, 1, v4
	s_lshl_b32 s94, s64, 4
	s_ashr_i32 s67, s66, 31
	s_ashr_i32 s63, s62, 31
	;; [unrolled: 1-line block ×3, first 2 shown]
	s_lshl_b32 s15, s62, 4
	v_mul_u32_u24_e32 v3, 0x90, v3
	v_lshlrev_b32_e32 v4, 2, v4
	s_lshl_b32 s17, s42, 4
	s_lshl_b64 s[10:11], s[94:95], 3
	v_add3_u32 v87, 0, v3, v4
	s_add_u32 s10, s58, s10
	v_or_b32_e32 v3, v75, v26
	s_addc_u32 s11, s59, s11
	v_lshlrev_b32_e32 v3, 3, v3
	v_lshrrev_b32_e32 v88, 2, v73
	v_mov_b32_e32 v4, s11
	v_add_co_u32_e32 v32, vcc, s10, v3
	v_or_b32_e32 v3, v71, v1
	s_movk_i32 s16, 0x44
	v_add_u32_e32 v89, 1, v88
	v_addc_co_u32_e32 v33, vcc, 0, v4, vcc
	v_mad_u32_u24 v20, v3, s16, v5
	v_lshlrev_b32_e32 v3, 2, v89
	v_and_b32_e32 v4, 15, v89
	s_movk_i32 s10, 0x1c0
	v_add_u32_e32 v90, 2, v88
	v_and_or_b32 v21, v3, s10, v4
	v_lshlrev_b32_e32 v3, 2, v90
	v_and_b32_e32 v4, 15, v90
	v_add_u32_e32 v91, 3, v88
	v_and_or_b32 v22, v3, s10, v4
	v_lshlrev_b32_e32 v3, 2, v91
	v_and_b32_e32 v4, 15, v91
	;; [unrolled: 4-line block ×8, first 2 shown]
	v_add_u32_e32 v98, 10, v88
	v_writelane_b32 v219, s4, 38
	v_and_or_b32 v34, v3, s10, v4
	v_lshlrev_b32_e32 v3, 2, v98
	v_and_b32_e32 v4, 15, v98
	v_add_u32_e32 v99, 11, v88
	v_writelane_b32 v219, s5, 39
	v_and_or_b32 v35, v3, s10, v4
	v_lshlrev_b32_e32 v3, 2, v99
	v_and_b32_e32 v4, 15, v99
	v_add_u32_e32 v100, 12, v88
	v_writelane_b32 v219, s64, 40
	v_and_or_b32 v36, v3, s10, v4
	v_lshlrev_b32_e32 v3, 2, v100
	v_and_b32_e32 v4, 15, v100
	v_add_u32_e32 v101, 13, v88
	v_and_or_b32 v37, v3, s10, v4
	v_lshlrev_b32_e32 v3, 2, v101
	v_and_b32_e32 v4, 15, v101
	v_add_u32_e32 v102, 14, v88
	v_readlane_b32 s25, v219, 7
	v_and_or_b32 v38, v3, s10, v4
	v_lshlrev_b32_e32 v3, 2, v102
	v_and_b32_e32 v4, 15, v102
	s_abs_i32 s26, s25
	v_and_or_b32 v39, v3, s10, v4
	v_cvt_f32_u32_e32 v3, s26
	v_readlane_b32 s23, v219, 6
	s_abs_i32 s68, s23
	v_cvt_f32_u32_e32 v6, s68
	v_rcp_iflag_f32_e32 v3, v3
	v_add_u32_e32 v103, 15, v88
	v_readlane_b32 s22, v219, 3
	v_lshlrev_b32_e32 v4, 2, v103
	v_and_b32_e32 v5, 15, v103
	v_mul_f32_e32 v3, 0x4f7ffffe, v3
	s_abs_i32 s69, s22
	v_and_or_b32 v40, v4, s10, v5
	v_cvt_u32_f32_e32 v4, v3
	v_rcp_iflag_f32_e32 v5, v6
	v_cvt_f32_u32_e32 v6, s69
	s_abs_i32 s27, s24
	v_readfirstlane_b32 s18, v4
	v_mul_f32_e32 v4, 0x4f7ffffe, v5
	v_rcp_iflag_f32_e32 v5, v6
	v_cvt_f32_u32_e32 v6, s27
	v_cvt_u32_f32_e32 v4, v4
	v_mul_lo_u32 v2, s62, v85
	v_or_b32_e32 v18, 3, v18
	v_rcp_iflag_f32_e32 v6, v6
	v_readfirstlane_b32 s19, v4
	s_mov_b32 s10, s24
	v_mad_u32_u24 v12, v11, s14, 0
	v_mul_f32_e32 v4, 0x4f7ffffe, v6
	v_cvt_u32_f32_e32 v6, v4
	v_add_u32_e32 v4, s15, v2
	v_mul_u32_u24_e32 v109, 0x110, v18
	v_add_u32_e32 v18, v71, v26
	v_writelane_b32 v219, s10, 41
	v_readfirstlane_b32 s21, v6
	v_add_u32_e32 v6, s15, v4
	v_mad_u32_u24 v42, v1, s14, v12
	s_movk_i32 s14, 0xfef2
	v_mul_u32_u24_e32 v111, 0x110, v18
	v_mad_u32_u24 v18, v73, s16, v26
	v_writelane_b32 v219, s11, 42
	v_add_u32_e32 v8, s15, v6
	v_mad_i32_i24 v107, v1, s14, v42
	s_movk_i32 s14, 0xc0
	s_lshl_b32 s15, s61, 6
	v_lshl_add_u32 v113, v18, 2, 0
	v_bfe_u32 v18, v73, 2, 4
	v_writelane_b32 v219, s15, 43
	v_and_or_b32 v18, v73, s14, v18
	s_ashr_i32 s14, s25, 31
	v_writelane_b32 v219, s14, 44
	s_sub_i32 s14, 0, s26
	v_mul_u32_u24_e32 v114, 0x110, v18
	v_mad_u32_u24 v18, v18, s16, v26
	s_mul_i32 s14, s14, s18
	v_lshl_add_u32 v115, v18, 2, 0
	v_mad_u32_u24 v18, v21, s16, v26
	s_mul_hi_u32 s14, s18, s14
	v_lshl_add_u32 v117, v18, 2, 0
	v_mad_u32_u24 v18, v22, s16, v26
	v_writelane_b32 v219, s26, 45
	s_add_i32 s14, s18, s14
	v_lshl_add_u32 v119, v18, 2, 0
	v_mad_u32_u24 v18, v23, s16, v26
	v_writelane_b32 v219, s14, 46
	s_ashr_i32 s14, s23, 31
	v_mul_f32_e32 v5, 0x4f7ffffe, v5
	v_lshl_add_u32 v121, v18, 2, 0
	v_mad_u32_u24 v18, v24, s16, v26
	v_writelane_b32 v219, s14, 47
	s_sub_i32 s14, 0, s68
	v_cvt_u32_f32_e32 v5, v5
	v_lshl_add_u32 v123, v18, 2, 0
	v_mad_u32_u24 v18, v25, s16, v26
	s_mul_i32 s14, s14, s19
	v_lshl_add_u32 v125, v18, 2, 0
	v_mad_u32_u24 v18, v27, s16, v26
	s_mul_hi_u32 s14, s19, s14
	v_lshl_add_u32 v127, v18, 2, 0
	v_mad_u32_u24 v18, v29, s16, v26
	s_add_i32 s14, s19, s14
	v_mul_u32_u24_e32 v41, 0x88, v19
	v_add_u32_e32 v105, v42, v10
	v_mul_lo_u32 v10, s42, v85
	v_lshl_add_u32 v129, v18, 2, 0
	v_mad_u32_u24 v18, v31, s16, v26
	v_writelane_b32 v219, s14, 48
	s_ashr_i32 s14, s22, 31
	v_readfirstlane_b32 s20, v5
	v_or_b32_e32 v13, v41, v1
	v_add_u32_e32 v106, v11, v19
	v_ashrrev_i32_e32 v11, 31, v10
	v_lshl_add_u32 v131, v18, 2, 0
	v_mad_u32_u24 v18, v34, s16, v26
	v_writelane_b32 v219, s14, 49
	s_sub_i32 s14, 0, s69
	v_lshl_add_u32 v104, v13, 1, v12
	v_add_u32_e32 v12, s17, v10
	v_mul_u32_u24_e32 v132, 0x110, v34
	v_lshl_add_u32 v133, v18, 2, 0
	v_mul_u32_u24_e32 v134, 0x110, v35
	v_mad_u32_u24 v18, v35, s16, v26
	s_mul_i32 s14, s14, s20
	v_lshlrev_b64 v[34:35], 2, v[10:11]
	v_ashrrev_i32_e32 v13, 31, v12
	v_lshl_add_u32 v135, v18, 2, 0
	v_mad_u32_u24 v18, v36, s16, v26
	s_mul_hi_u32 s14, s20, s14
	v_mov_b32_e32 v10, s49
	v_add_co_u32_e32 v146, vcc, s48, v34
	v_add_u32_e32 v14, s17, v12
	v_mul_u32_u24_e32 v136, 0x110, v36
	v_lshl_add_u32 v137, v18, 2, 0
	v_mul_u32_u24_e32 v138, 0x110, v37
	v_mad_u32_u24 v18, v37, s16, v26
	s_add_i32 s14, s20, s14
	v_addc_co_u32_e32 v147, vcc, v10, v35, vcc
	v_lshlrev_b64 v[36:37], 2, v[12:13]
	v_ashrrev_i32_e32 v15, 31, v14
	v_lshl_add_u32 v139, v18, 2, 0
	v_mad_u32_u24 v18, v38, s16, v26
	v_writelane_b32 v219, s14, 50
	s_sub_i32 s14, 0, s27
	v_add_co_u32_e32 v148, vcc, s48, v36
	v_add_u32_e32 v16, s17, v14
	v_mul_u32_u24_e32 v140, 0x110, v38
	v_lshl_add_u32 v141, v18, 2, 0
	v_mul_u32_u24_e32 v142, 0x110, v39
	v_mad_u32_u24 v18, v39, s16, v26
	s_mul_i32 s14, s14, s21
	v_addc_co_u32_e32 v149, vcc, v10, v37, vcc
	v_lshlrev_b64 v[38:39], 2, v[14:15]
	v_ashrrev_i32_e32 v17, 31, v16
	s_mul_hi_u32 s14, s21, s14
	v_add_co_u32_e32 v150, vcc, s48, v38
	v_lshl_add_u32 v110, v41, 1, v107
	v_lshl_add_u32 v143, v18, 2, 0
	v_mul_u32_u24_e32 v144, 0x110, v40
	v_mad_u32_u24 v18, v40, s16, v26
	v_writelane_b32 v219, s27, 51
	s_add_i32 s14, s21, s14
	v_addc_co_u32_e32 v151, vcc, v10, v39, vcc
	v_lshlrev_b64 v[40:41], 2, v[16:17]
	v_ashrrev_i32_e32 v3, 31, v2
	v_writelane_b32 v219, s14, 52
	v_add_co_u32_e32 v152, vcc, s48, v40
	v_cmp_eq_u32_e64 s[22:23], 0, v77
	v_addc_co_u32_e32 v153, vcc, v10, v41, vcc
	v_lshlrev_b64 v[42:43], 2, v[2:3]
	v_writelane_b32 v219, s22, 53
	v_ashrrev_i32_e32 v5, 31, v4
	v_mov_b32_e32 v2, s47
	v_add_co_u32_e32 v154, vcc, s46, v42
	v_writelane_b32 v219, s23, 54
	v_cmp_ne_u32_e64 s[22:23], 0, v77
	v_addc_co_u32_e32 v155, vcc, v2, v43, vcc
	v_lshlrev_b64 v[44:45], 2, v[4:5]
	v_writelane_b32 v219, s22, 55
	v_ashrrev_i32_e32 v7, 31, v6
	v_add_co_u32_e32 v156, vcc, s46, v44
	v_writelane_b32 v219, s23, 56
	v_cmp_gt_u32_e64 s[22:23], 16, v26
	v_addc_co_u32_e32 v157, vcc, v2, v45, vcc
	v_lshlrev_b64 v[46:47], 2, v[6:7]
	v_writelane_b32 v219, s22, 57
	v_ashrrev_i32_e32 v9, 31, v8
	v_add_co_u32_e32 v158, vcc, s46, v46
	v_writelane_b32 v219, s23, 58
	s_mov_b32 s22, s66
	v_addc_co_u32_e32 v159, vcc, v2, v47, vcc
	v_lshlrev_b64 v[48:49], 2, v[8:9]
	v_writelane_b32 v219, s22, 59
	v_add_co_u32_e32 v160, vcc, s46, v48
	v_writelane_b32 v219, s23, 60
	s_lshl_b64 s[22:23], s[66:67], 1
	s_mov_b64 s[8:9], src_private_base
	v_addc_co_u32_e32 v161, vcc, v2, v49, vcc
	v_mbcnt_lo_u32_b32 v2, -1, 0
	v_writelane_b32 v219, s22, 61
	v_cmp_gt_u32_e64 s[4:5], 64, v26
	s_mov_b32 s8, 0
	v_cmp_gt_u32_e64 s[6:7], 64, v85
	v_cmp_gt_u32_e64 s[38:39], 48, v85
	;; [unrolled: 1-line block ×4, first 2 shown]
	v_mul_u32_u24_e32 v108, 0x110, v19
	s_movk_i32 s24, 0x80
	v_lshl_add_u32 v112, v20, 2, 0
	v_mul_u32_u24_e32 v116, 0x110, v21
	v_mul_u32_u24_e32 v118, 0x110, v22
	;; [unrolled: 1-line block ×8, first 2 shown]
	v_lshl_add_u32 v145, v18, 2, 0
	s_mov_b32 s61, 0x42b17218
	s_mov_b32 s25, 0x3fb8aa3b
	;; [unrolled: 1-line block ×3, first 2 shown]
	s_brev_b32 s89, -2
	s_mov_b32 s26, 0x3f200000
	s_mov_b32 s27, 0xc1a00000
	;; [unrolled: 1-line block ×3, first 2 shown]
	v_mbcnt_hi_u32_b32 v162, -1, v2
	v_mov_b32_e32 v163, 0
	v_add_u32_e32 v164, 0x240, v84
	v_add_u32_e32 v165, 0x480, v84
	;; [unrolled: 1-line block ×16, first 2 shown]
	v_or_b32_e32 v180, 1, v106
	v_or_b32_e32 v181, 2, v106
	;; [unrolled: 1-line block ×3, first 2 shown]
	v_lshlrev_b32_e32 v50, 4, v1
	v_mov_b32_e32 v183, 0x3ecccdef
	v_mov_b32_e32 v184, 0xbd5c1c4e
	;; [unrolled: 1-line block ×7, first 2 shown]
	v_cmp_gt_u32_e64 s[14:15], 64, v106
	v_cmp_gt_u32_e64 s[16:17], 63, v106
	;; [unrolled: 1-line block ×4, first 2 shown]
	v_writelane_b32 v219, s23, 62
	s_lshl_b64 s[70:71], s[42:43], 8
	s_lshl_b64 s[74:75], s[62:63], 8
	v_writelane_b32 v219, s33, 63
	s_branch .LBB25_16
.LBB25_14:                              ;   in Loop: Header=BB25_16 Depth=1
	s_or_b64 exec, exec, s[28:29]
	s_barrier
.LBB25_15:                              ;   in Loop: Header=BB25_16 Depth=1
	v_readlane_b32 s30, v219, 1
	s_add_i32 s22, s86, s30
	s_abs_i32 s28, s22
	v_readlane_b32 s33, v219, 63
	s_mul_hi_u32 s29, s28, s33
	s_mul_i32 s29, s29, s93
	s_sub_i32 s28, s28, s29
	s_ashr_i32 s23, s22, 31
	s_sub_i32 s29, s28, s93
	s_cmp_ge_u32 s28, s93
	s_cselect_b32 s28, s29, s28
	s_sub_i32 s29, s28, s93
	s_cmp_ge_u32 s28, s93
	s_cselect_b32 s28, s29, s28
	s_xor_b32 s28, s28, s23
	s_sub_i32 s23, s23, s28
	s_add_i32 s86, s22, s23
	v_readlane_b32 s22, v219, 12
	s_mov_b32 s28, s22
	s_sub_i32 s22, s22, s86
	s_min_i32 s87, s30, s22
	s_cmp_gt_i32 s28, s86
	v_readlane_b32 s23, v219, 13
	s_cselect_b64 s[28:29], -1, 0
	s_cmp_le_i32 s30, s22
	s_cselect_b64 s[22:23], -1, 0
	s_and_b64 s[22:23], s[22:23], s[28:29]
	s_mov_b32 s40, 0
	s_and_b64 vcc, exec, s[22:23]
	s_cbranch_vccz .LBB25_339
.LBB25_16:                              ; =>This Loop Header: Depth=1
                                        ;     Child Loop BB25_203 Depth 2
                                        ;     Child Loop BB25_44 Depth 2
	s_ashr_i32 s22, s86, 31
	v_readlane_b32 s23, v219, 44
	s_xor_b32 s22, s22, s23
	s_abs_i32 s23, s86
	v_readlane_b32 s28, v219, 46
	s_mul_hi_u32 s28, s23, s28
	v_readlane_b32 s31, v219, 45
	s_mul_i32 s29, s28, s31
	s_sub_i32 s23, s23, s29
	s_add_i32 s29, s28, 1
	s_sub_i32 s30, s23, s31
	s_cmp_ge_u32 s23, s31
	s_cselect_b32 s28, s29, s28
	s_cselect_b32 s23, s30, s23
	s_add_i32 s29, s28, 1
	s_cmp_ge_u32 s23, s31
	s_cselect_b32 s23, s29, s28
	s_xor_b32 s23, s23, s22
	s_sub_i32 s41, s23, s22
	v_readlane_b32 s22, v219, 27
	v_readlane_b32 s23, v219, 28
	s_ashr_i32 s64, s41, 31
	s_andn2_b64 vcc, exec, s[22:23]
	s_mov_b64 s[96:97], 0
	s_cbranch_vccnz .LBB25_18
; %bb.17:                               ;   in Loop: Header=BB25_16 Depth=1
	s_abs_i32 s22, s41
	v_readlane_b32 s23, v219, 52
	s_mul_hi_u32 s23, s22, s23
	v_readlane_b32 s28, v219, 51
	s_mul_i32 s23, s23, s28
	s_sub_i32 s22, s22, s23
	s_sub_i32 s23, s22, s28
	s_cmp_ge_u32 s22, s28
	s_cselect_b32 s22, s23, s22
	s_sub_i32 s23, s22, s28
	s_cmp_ge_u32 s22, s28
	s_cselect_b32 s22, s23, s22
	s_xor_b32 s22, s22, s64
	v_readlane_b32 s30, v219, 16
	s_sub_i32 s22, s22, s64
	v_readlane_b32 s31, v219, 17
	s_ashr_i32 s23, s22, 31
	s_mul_i32 s28, s22, s31
	s_mul_hi_u32 s29, s22, s30
	s_add_i32 s28, s29, s28
	s_mul_i32 s23, s23, s30
	s_add_i32 s28, s28, s23
	s_mul_i32 s22, s22, s30
	s_add_u32 s96, s50, s22
	s_addc_u32 s97, s51, s28
.LBB25_18:                              ;   in Loop: Header=BB25_16 Depth=1
	v_readlane_b32 s22, v219, 7
	s_mul_i32 s22, s41, s22
	s_sub_i32 s22, s86, s22
	s_ashr_i32 s23, s22, 31
	v_readlane_b32 s28, v219, 47
	s_xor_b32 s23, s23, s28
	s_abs_i32 s28, s22
	v_readlane_b32 s29, v219, 48
	s_mul_hi_u32 s29, s28, s29
	s_mul_i32 s30, s29, s68
	s_sub_i32 s28, s28, s30
	s_add_i32 s30, s29, 1
	s_sub_i32 s31, s28, s68
	s_cmp_ge_u32 s28, s68
	s_cselect_b32 s29, s30, s29
	s_cselect_b32 s28, s31, s28
	s_add_i32 s30, s29, 1
	s_cmp_ge_u32 s28, s68
	s_cselect_b32 s28, s30, s29
	s_xor_b32 s28, s28, s23
	s_sub_i32 s65, s28, s23
	v_readlane_b32 s23, v219, 6
	s_mul_i32 s23, s65, s23
	s_sub_i32 s22, s22, s23
	s_ashr_i32 s23, s22, 31
	v_readlane_b32 s28, v219, 49
	s_xor_b32 s23, s23, s28
	s_abs_i32 s28, s22
	v_readlane_b32 s29, v219, 50
	s_mul_hi_u32 s29, s28, s29
	s_mul_i32 s30, s29, s69
	s_sub_i32 s28, s28, s30
	s_add_i32 s30, s29, 1
	s_sub_i32 s31, s28, s69
	s_cmp_ge_u32 s28, s69
	s_cselect_b32 s29, s30, s29
	s_cselect_b32 s28, s31, s28
	s_add_i32 s30, s29, 1
	s_cmp_ge_u32 s28, s69
	s_cselect_b32 s28, s30, s29
	s_xor_b32 s28, s28, s23
	s_sub_i32 s23, s28, s23
	v_readlane_b32 s28, v219, 2
	s_mul_i32 s28, s65, s28
	s_add_i32 s36, s28, s23
	v_readlane_b32 s28, v219, 36
	v_readlane_b32 s29, v219, 37
	s_andn2_b64 vcc, exec, s[28:29]
	v_mov_b32_e32 v52, 1.0
	s_cbranch_vccnz .LBB25_20
; %bb.19:                               ;   in Loop: Header=BB25_16 Depth=1
	s_sub_i32 s28, s36, s72
	s_lshl_b32 s28, s28, 1
	s_add_i32 s30, s36, 1
	s_or_b32 s31, s28, 1
	s_cmp_lt_u32 s36, s72
	v_readlane_b32 s76, v219, 32
	s_cselect_b64 vcc, -1, 0
	v_readlane_b32 s78, v219, 34
	v_readlane_b32 s79, v219, 35
	s_and_b64 s[28:29], vcc, exec
	v_mov_b32_e32 v1, s79
	v_mov_b32_e32 v2, s78
	s_cselect_b32 s28, s30, s31
	v_cndmask_b32_e32 v18, v1, v2, vcc
	v_cvt_f32_i32_e32 v1, s28
	v_cmp_neq_f32_e32 vcc, 1.0, v18
	s_mov_b32 s28, 0x3f2aaaab
	s_movk_i32 s30, 0x204
	v_cndmask_b32_e32 v19, 1.0, v1, vcc
	v_cmp_eq_f32_e32 vcc, 0, v19
	v_cndmask_b32_e64 v20, |v18|, 1.0, vcc
	v_frexp_mant_f32_e32 v1, v20
	v_cmp_gt_f32_e64 s[28:29], s28, v1
	v_cndmask_b32_e64 v2, 1.0, 2.0, s[28:29]
	v_mul_f32_e32 v1, v1, v2
	v_add_f32_e32 v2, 1.0, v1
	v_rcp_f32_e32 v10, v2
	v_add_f32_e32 v3, -1.0, v2
	v_sub_f32_e32 v5, v1, v3
	v_add_f32_e32 v3, -1.0, v1
	v_mul_f32_e32 v1, v3, v10
	v_mul_f32_e32 v4, v2, v1
	v_fma_f32 v6, v1, v2, -v4
	v_fmac_f32_e32 v6, v1, v5
	v_add_f32_e32 v2, v4, v6
	v_sub_f32_e32 v5, v3, v2
	v_pk_add_f32 v[8:9], v[2:3], v[4:5] neg_lo:[0,1] neg_hi:[0,1]
	v_mov_b32_e32 v7, v2
	v_pk_add_f32 v[2:3], v[8:9], v[6:7] neg_lo:[0,1] neg_hi:[0,1]
	v_add_f32_e32 v2, v2, v3
	v_add_f32_e32 v2, v5, v2
	v_mul_f32_e32 v3, v10, v2
	v_add_f32_e32 v2, v1, v3
	v_sub_f32_e32 v1, v2, v1
	v_sub_f32_e32 v1, v3, v1
	v_mul_f32_e32 v3, v2, v2
	v_fma_f32 v5, v2, v2, -v3
	v_add_f32_e32 v4, v1, v1
	v_fmac_f32_e32 v5, v2, v4
	v_add_f32_e32 v4, v3, v5
	v_mov_b32_e32 v6, 0x3e91f4c4
	v_fmac_f32_e32 v6, 0x3e76c4e1, v4
	v_fma_f32 v6, v4, v6, v183
	v_sub_f32_e32 v3, v4, v3
	v_sub_f32_e32 v12, v5, v3
	v_mul_f32_e32 v3, v4, v6
	v_fma_f32 v5, v4, v6, -v3
	v_fmac_f32_e32 v5, v12, v6
	v_add_f32_e32 v6, v3, v5
	v_add_f32_e32 v7, 0x3f2aaaaa, v6
	v_sub_f32_e32 v3, v6, v3
	v_sub_f32_e32 v3, v5, v3
	v_add_f32_e32 v5, 0xbf2aaaaa, v7
	v_add_f32_e32 v3, 0x31739010, v3
	v_sub_f32_e32 v5, v6, v5
	v_pk_mul_f32 v[8:9], v[2:3], v[4:5]
	v_fma_f32 v6, v4, v2, -v8
	v_pk_add_f32 v[10:11], v[2:3], v[4:5]
	v_fmac_f32_e32 v6, v4, v1
	v_mov_b32_e32 v9, v11
	v_fmac_f32_e32 v6, v12, v2
	v_pk_add_f32 v[4:5], v[8:9], v[6:7]
	v_sub_f32_e32 v3, v4, v8
	v_sub_f32_e32 v3, v6, v3
	;; [unrolled: 1-line block ×3, first 2 shown]
	v_add_f32_e32 v10, v11, v6
	v_mov_b32_e32 v6, v5
	v_pk_mul_f32 v[6:7], v[4:5], v[6:7]
	v_cvt_f64_f32_e32 v[8:9], v20
	v_frexp_exp_i32_f64_e32 v7, v[8:9]
	v_subbrev_co_u32_e64 v7, s[28:29], 0, v7, s[28:29]
	v_cvt_f32_i32_e32 v7, v7
	v_fma_f32 v8, v4, v5, -v6
	v_fmac_f32_e32 v8, v4, v10
	s_mov_b32 s28, 0x3f317218
	v_mul_f32_e32 v4, 0x3f317218, v7
	v_fmac_f32_e32 v8, v3, v5
	v_fma_f32 v10, v7, s28, -v4
	v_fmac_f32_e32 v10, 0xb102e308, v7
	v_ldexp_f32 v11, v2, 1
	v_add_f32_e32 v5, v6, v8
	v_pk_add_f32 v[2:3], v[4:5], v[10:11]
	v_mov_b32_e32 v12, v5
	v_mov_b32_e32 v13, v3
	;; [unrolled: 1-line block ×3, first 2 shown]
	v_pk_add_f32 v[6:7], v[12:13], v[6:7] neg_lo:[0,1] neg_hi:[0,1]
	v_mov_b32_e32 v9, v5
	v_ldexp_f32 v1, v1, 1
	v_pk_add_f32 v[6:7], v[8:9], v[6:7] neg_lo:[0,1] neg_hi:[0,1]
	v_add_f32_e32 v1, v1, v6
	v_add_f32_e32 v5, v1, v7
	v_pk_add_f32 v[6:7], v[2:3], v[4:5] neg_lo:[0,1] neg_hi:[0,1]
	v_pk_add_f32 v[8:9], v[2:3], v[4:5]
	v_mov_b32_e32 v12, v6
	v_mov_b32_e32 v13, v9
	;; [unrolled: 1-line block ×3, first 2 shown]
	v_pk_add_f32 v[12:13], v[10:11], v[12:13]
	v_mov_b32_e32 v4, v13
	v_pk_add_f32 v[14:15], v[4:5], v[2:3] neg_lo:[0,1] neg_hi:[0,1]
	v_mov_b32_e32 v1, v14
	v_mov_b32_e32 v12, v9
	v_mov_b32_e32 v2, v3
	v_mov_b32_e32 v3, v14
	v_pk_add_f32 v[6:7], v[10:11], v[6:7] neg_lo:[0,1] neg_hi:[0,1]
	v_pk_add_f32 v[16:17], v[8:9], v[0:1] neg_lo:[0,1] neg_hi:[0,1]
	;; [unrolled: 1-line block ×3, first 2 shown]
	v_mov_b32_e32 v10, v5
	v_pk_add_f32 v[2:3], v[10:11], v[2:3] neg_lo:[0,1] neg_hi:[0,1]
	v_mov_b32_e32 v16, v6
	v_pk_add_f32 v[8:9], v[16:17], v[2:3]
	v_mov_b32_e32 v10, v9
	v_pk_add_f32 v[10:11], v[8:9], v[10:11]
	v_pk_add_f32 v[4:5], v[4:5], v[10:11]
	v_mov_b32_e32 v7, v13
	v_mov_b32_e32 v9, v4
	v_pk_add_f32 v[12:13], v[8:9], v[6:7] neg_lo:[0,1] neg_hi:[0,1]
	v_mov_b32_e32 v3, v10
	v_sub_f32_e32 v1, v8, v12
	v_pk_add_f32 v[2:3], v[2:3], v[12:13] neg_lo:[0,1] neg_hi:[0,1]
	v_sub_f32_e32 v1, v6, v1
	v_add_f32_e32 v1, v2, v1
	v_add_f32_e32 v1, v1, v3
	;; [unrolled: 1-line block ×3, first 2 shown]
	v_sub_f32_e32 v3, v2, v4
	v_sub_f32_e32 v1, v1, v3
	v_mul_f32_e32 v3, v19, v2
	v_fma_f32 v2, v19, v2, -v3
	v_fmac_f32_e32 v2, v19, v1
	v_add_f32_e32 v1, v3, v2
	v_cmp_class_f32_e64 s[28:29], v3, s30
	v_sub_f32_e32 v4, v1, v3
	v_cndmask_b32_e64 v1, v1, v3, s[28:29]
	v_cmp_eq_f32_e64 s[28:29], s61, v1
	v_cndmask_b32_e64 v3, 0, v187, s[28:29]
	v_sub_f32_e32 v2, v2, v4
	v_sub_f32_e32 v4, v1, v3
	v_mul_f32_e32 v5, 0x3fb8aa3b, v4
	v_fma_f32 v6, v4, s25, -v5
	v_rndne_f32_e32 v7, v5
	v_fmac_f32_e32 v6, 0x32a5705f, v4
	v_sub_f32_e32 v5, v5, v7
	v_add_f32_e32 v5, v5, v6
	v_exp_f32_e32 v5, v5
	v_cvt_i32_f32_e32 v6, v7
	s_mov_b32 s31, 0x7f800000
	v_cmp_neq_f32_e64 s[28:29], |v1|, s31
	v_cndmask_b32_e64 v1, 0, v2, s[28:29]
	v_ldexp_f32 v2, v5, v6
	v_cmp_ngt_f32_e64 s[28:29], s88, v4
	v_cndmask_b32_e64 v2, 0, v2, s[28:29]
	v_cmp_nlt_f32_e64 s[28:29], s61, v4
	v_add_f32_e32 v1, v3, v1
	v_cndmask_b32_e64 v2, v188, v2, s[28:29]
	v_fma_f32 v1, v2, v1, v2
	v_cmp_class_f32_e64 s[28:29], v2, s30
	v_trunc_f32_e32 v3, v19
	v_cndmask_b32_e64 v1, v1, v2, s[28:29]
	v_cndmask_b32_e64 v2, v18, 1.0, vcc
	v_cmp_eq_f32_e32 vcc, v3, v19
	v_mul_f32_e32 v3, 0.5, v19
	v_trunc_f32_e32 v4, v3
	v_cmp_neq_f32_e64 s[28:29], v4, v3
	s_and_b64 s[28:29], vcc, s[28:29]
	v_cndmask_b32_e64 v3, 1.0, v2, s[28:29]
	v_bfi_b32 v1, s89, v1, v3
	v_cndmask_b32_e32 v3, v189, v1, vcc
	v_cmp_gt_f32_e32 vcc, 0, v2
	v_cndmask_b32_e32 v1, v1, v3, vcc
	v_cmp_eq_f32_e32 vcc, s31, v20
	v_cmp_eq_f32_e64 s[30:31], 0, v2
	v_cmp_gt_f32_e64 s[34:35], 0, v19
	s_xor_b64 s[34:35], s[34:35], s[30:31]
	v_cndmask_b32_e64 v3, v188, 0, s[34:35]
	v_cndmask_b32_e64 v4, 0, v2, s[28:29]
	v_bfi_b32 v3, s89, v3, v4
	s_or_b64 vcc, vcc, s[30:31]
	v_cndmask_b32_e32 v1, v1, v3, vcc
	v_cmp_o_f32_e32 vcc, v2, v2
	v_cndmask_b32_e32 v52, v189, v1, vcc
	v_readlane_b32 s77, v219, 33
.LBB25_20:                              ;   in Loop: Header=BB25_16 Depth=1
	v_readlane_b32 s28, v219, 3
	s_mul_i32 s23, s23, s28
	s_sub_i32 s22, s22, s23
	s_ashr_i32 s23, s22, 31
	v_readlane_b32 s28, v219, 25
	s_abs_i32 s22, s22
	s_xor_b32 s23, s23, s28
	s_mul_hi_u32 s28, s22, s33
	s_mul_i32 s29, s28, s93
	s_sub_i32 s22, s22, s29
	s_add_i32 s29, s28, 1
	s_sub_i32 s30, s22, s93
	s_cmp_ge_u32 s22, s93
	s_cselect_b32 s28, s29, s28
	s_cselect_b32 s22, s30, s22
	s_add_i32 s29, s28, 1
	s_cmp_ge_u32 s22, s93
	s_cselect_b32 s22, s29, s28
	v_readlane_b32 s28, v219, 38
	s_xor_b32 s22, s22, s23
	v_readlane_b32 s29, v219, 39
	s_andn2_b64 vcc, exec, s[28:29]
	s_sub_i32 s33, s22, s23
	s_cbranch_vccnz .LBB25_22
; %bb.21:                               ;   in Loop: Header=BB25_16 Depth=1
	v_readlane_b32 s22, v219, 0
	s_mul_i32 s22, s41, s22
	s_add_i32 s22, s33, s22
	s_ashr_i32 s23, s22, 31
	s_lshl_b64 s[22:23], s[22:23], 2
	s_add_u32 s22, s54, s22
	s_addc_u32 s23, s55, s23
	global_load_dword v1, v163, s[22:23]
	s_waitcnt vmcnt(0)
	v_readfirstlane_b32 s22, v1
	s_ashr_i32 s23, s22, 31
	s_lshr_b32 s23, s23, 26
	s_add_i32 s22, s22, s23
	s_ashr_i32 s22, s22, 6
	s_min_i32 s87, s87, s22
.LBB25_22:                              ;   in Loop: Header=BB25_16 Depth=1
	v_readlane_b32 s22, v219, 29
	s_mul_i32 s22, s22, s41
	s_add_i32 s22, s36, s22
	s_lshl_b32 s94, s22, 6
	s_lshl_b64 s[22:23], s[94:95], 3
	s_add_u32 s22, s56, s22
                                        ; implicit-def: $vgpr218 : SGPR spill to VGPR lane
	v_readlane_b32 s28, v219, 14
	v_writelane_b32 v218, s22, 0
	s_addc_u32 s22, s57, s23
	v_readlane_b32 s29, v219, 15
	v_writelane_b32 v218, s22, 1
	s_mul_i32 s22, s41, s29
	s_mul_hi_u32 s23, s41, s28
	s_add_i32 s22, s23, s22
	s_mul_i32 s23, s64, s28
	v_readlane_b32 s76, v219, 21
	s_add_i32 s94, s22, s23
	s_mul_i32 s22, s41, s28
	v_readlane_b32 s79, v219, 24
	s_add_u32 s23, s48, s22
	s_mul_i32 s29, s65, s79
	v_writelane_b32 v218, s22, 2
	s_addc_u32 s28, s49, s94
	s_ashr_i32 s22, s29, 31
	s_add_u32 s79, s23, s29
	s_addc_u32 s85, s28, s22
	s_ashr_i32 s37, s36, 31
	v_writelane_b32 v218, s29, 3
	s_lshl_b64 s[28:29], s[36:37], 2
	s_add_u32 s23, s52, s28
	s_addc_u32 s30, s53, s29
	v_readlane_b32 s28, v219, 30
	v_readlane_b32 s29, v219, 31
	s_and_b64 s[28:29], s[28:29], exec
	s_cselect_b32 s81, 0, s30
	v_readlane_b32 s30, v219, 8
	v_readlane_b32 s31, v219, 9
	s_cselect_b32 s80, 0, s23
	s_mul_i32 s23, s41, s31
	s_ashr_i32 s28, s23, 31
	s_add_u32 s23, s44, s23
	s_mul_i32 s29, s36, s30
	v_readlane_b32 s78, v219, 23
	s_addc_u32 s28, s45, s28
	s_ashr_i32 s30, s29, 31
	v_readlane_b32 s77, v219, 22
	s_add_u32 s78, s23, s29
	s_addc_u32 s82, s28, s30
	s_mul_i32 s23, s41, s77
	s_mul_hi_u32 s28, s41, s76
	s_add_i32 s23, s28, s23
	s_mul_i32 s64, s64, s76
	v_readlane_b32 s30, v219, 19
	s_add_i32 s64, s23, s64
	s_mul_i32 s23, s41, s76
	v_readlane_b32 s31, v219, 20
	v_writelane_b32 v218, s23, 4
	s_add_u32 s28, s46, s23
	s_mul_i32 s23, s65, s31
	s_addc_u32 s29, s47, s64
	s_ashr_i32 s65, s23, 31
	s_add_u32 s83, s28, s23
	s_addc_u32 s92, s29, s65
	s_cmp_lg_u32 s40, 0
	s_cbranch_scc0 .LBB25_66
; %bb.23:                               ;   in Loop: Header=BB25_16 Depth=1
	s_lshl_b32 s76, s33, 4
	v_add_u32_e32 v191, s76, v73
	v_cmp_le_i32_e32 vcc, s60, v191
	s_and_saveexec_b64 s[28:29], vcc
	s_xor_b64 s[28:29], exec, s[28:29]
	s_cbranch_execz .LBB25_25
; %bb.24:                               ;   in Loop: Header=BB25_16 Depth=1
	ds_write_b32 v113, v163
.LBB25_25:                              ;   in Loop: Header=BB25_16 Depth=1
	s_andn2_saveexec_b64 s[28:29], s[28:29]
	s_cbranch_execz .LBB25_27
; %bb.26:                               ;   in Loop: Header=BB25_16 Depth=1
	v_readlane_b32 s30, v219, 18
	v_mad_u64_u32 v[2:3], s[30:31], v191, s30, v[26:27]
	v_ashrrev_i32_e32 v3, 31, v2
	v_lshlrev_b64 v[2:3], 3, v[2:3]
	v_mov_b32_e32 v1, s82
	v_add_co_u32_e32 v2, vcc, s78, v2
	v_addc_co_u32_e32 v3, vcc, v1, v3, vcc
	global_load_dwordx2 v[2:3], v[2:3], off
	s_waitcnt vmcnt(0)
	v_cvt_f16_f32_e32 v1, v2
	v_cvt_f16_f32_e32 v2, v3
	v_pack_b32_f16 v1, v1, v2
	v_pk_mul_f16 v1, v79, v1
	ds_write_b32 v113, v1
.LBB25_27:                              ;   in Loop: Header=BB25_16 Depth=1
	s_or_b64 exec, exec, s[28:29]
	v_add_u32_e32 v192, s76, v82
	v_cmp_le_i32_e32 vcc, s60, v192
	s_and_saveexec_b64 s[28:29], vcc
	s_xor_b64 s[28:29], exec, s[28:29]
	s_cbranch_execz .LBB25_29
; %bb.28:                               ;   in Loop: Header=BB25_16 Depth=1
	ds_write_b32 v113, v163 offset:1088
.LBB25_29:                              ;   in Loop: Header=BB25_16 Depth=1
	s_andn2_saveexec_b64 s[28:29], s[28:29]
	s_cbranch_execz .LBB25_31
; %bb.30:                               ;   in Loop: Header=BB25_16 Depth=1
	v_readlane_b32 s30, v219, 18
	v_mad_u64_u32 v[2:3], s[30:31], v192, s30, v[26:27]
	v_ashrrev_i32_e32 v3, 31, v2
	v_lshlrev_b64 v[2:3], 3, v[2:3]
	v_mov_b32_e32 v1, s82
	v_add_co_u32_e32 v2, vcc, s78, v2
	v_addc_co_u32_e32 v3, vcc, v1, v3, vcc
	global_load_dwordx2 v[2:3], v[2:3], off
	s_waitcnt vmcnt(0)
	v_cvt_f16_f32_e32 v1, v2
	v_cvt_f16_f32_e32 v2, v3
	v_pack_b32_f16 v1, v1, v2
	v_pk_mul_f16 v1, v79, v1
	ds_write_b32 v113, v1 offset:1088
.LBB25_31:                              ;   in Loop: Header=BB25_16 Depth=1
	s_or_b64 exec, exec, s[28:29]
	v_add_u32_e32 v194, s76, v81
	v_cmp_le_i32_e32 vcc, s60, v194
	s_and_saveexec_b64 s[28:29], vcc
	s_xor_b64 s[28:29], exec, s[28:29]
	s_cbranch_execz .LBB25_33
; %bb.32:                               ;   in Loop: Header=BB25_16 Depth=1
	ds_write_b32 v113, v163 offset:2176
.LBB25_33:                              ;   in Loop: Header=BB25_16 Depth=1
	s_andn2_saveexec_b64 s[28:29], s[28:29]
	s_cbranch_execz .LBB25_35
; %bb.34:                               ;   in Loop: Header=BB25_16 Depth=1
	v_readlane_b32 s30, v219, 18
	v_mad_u64_u32 v[2:3], s[30:31], v194, s30, v[26:27]
	v_ashrrev_i32_e32 v3, 31, v2
	v_lshlrev_b64 v[2:3], 3, v[2:3]
	v_mov_b32_e32 v1, s82
	v_add_co_u32_e32 v2, vcc, s78, v2
	v_addc_co_u32_e32 v3, vcc, v1, v3, vcc
	global_load_dwordx2 v[2:3], v[2:3], off
	s_waitcnt vmcnt(0)
	v_cvt_f16_f32_e32 v1, v2
	v_cvt_f16_f32_e32 v2, v3
	v_pack_b32_f16 v1, v1, v2
	v_pk_mul_f16 v1, v79, v1
	ds_write_b32 v113, v1 offset:2176
.LBB25_35:                              ;   in Loop: Header=BB25_16 Depth=1
	;; [unrolled: 27-line block ×3, first 2 shown]
	s_or_b64 exec, exec, s[28:29]
	s_waitcnt lgkmcnt(0)
	s_barrier
	ds_read2_b64 v[14:17], v83 offset1:4
	ds_read2_b64 v[10:13], v83 offset0:8 offset1:12
	ds_read2_b64 v[6:9], v83 offset0:16 offset1:20
	;; [unrolled: 1-line block ×3, first 2 shown]
	s_add_i32 s36, s87, -1
	s_cmp_le_i32 s36, s40
	v_mov_b32_e32 v51, 0
	s_waitcnt lgkmcnt(0)
	s_barrier
	s_cbranch_scc1 .LBB25_67
; %bb.40:                               ;   in Loop: Header=BB25_16 Depth=1
	v_lshlrev_b32_e32 v1, 1, v26
	v_readlane_b32 s34, v219, 10
	v_add_co_u32_e32 v195, vcc, s96, v1
	v_mul_hi_u32 v1, s34, v191
	v_readlane_b32 s35, v219, 11
	v_add_u32_e32 v1, v191, v1
	v_lshrrev_b32_e32 v1, s35, v1
	v_mul_lo_u32 v1, v1, s60
	v_readlane_b32 s30, v219, 59
	v_mov_b32_e32 v18, s97
	v_sub_u32_e32 v1, v191, v1
	v_readlane_b32 s31, v219, 60
	s_mov_b32 s66, s30
	v_addc_co_u32_e32 v196, vcc, 0, v18, vcc
	v_mad_i64_i32 v[18:19], s[30:31], v1, s66, 0
	v_mul_hi_u32 v1, s34, v192
	v_add_u32_e32 v1, v192, v1
	v_lshrrev_b32_e32 v1, s35, v1
	v_mul_lo_u32 v1, v1, s60
	v_sub_u32_e32 v1, v192, v1
	v_mad_i64_i32 v[20:21], s[30:31], v1, s66, 0
	v_mul_hi_u32 v1, s34, v194
	v_add_u32_e32 v1, v194, v1
	v_lshrrev_b32_e32 v1, s35, v1
	v_mul_lo_u32 v1, v1, s60
	v_sub_u32_e32 v1, v194, v1
	;; [unrolled: 6-line block ×3, first 2 shown]
	v_mad_i64_i32 v[24:25], s[30:31], v1, s66, 0
	v_and_b32_e32 v1, 64, v162
	v_add_u32_e32 v1, 64, v1
	v_xor_b32_e32 v29, 32, v162
	v_cmp_lt_i32_e32 vcc, v29, v1
	v_cndmask_b32_e32 v29, v162, v29, vcc
	v_lshlrev_b32_e32 v197, 2, v29
	v_xor_b32_e32 v29, 16, v162
	v_cmp_lt_i32_e32 vcc, v29, v1
	s_cmp_lg_u64 s[96:97], 0
	v_cndmask_b32_e32 v1, v162, v29, vcc
	s_cselect_b64 s[28:29], -1, 0
	v_mov_b32_e32 v27, 0
	v_lshlrev_b32_e32 v198, 2, v1
	v_mov_b32_e32 v54, v52
	v_mov_b32_e32 v55, v52
	s_lshl_b32 s30, s40, 6
	v_mov_b32_e32 v200, 0
	v_mov_b32_e32 v201, 0xfeffffff
	v_lshlrev_b64 v[56:57], 1, v[18:19]
	v_lshlrev_b64 v[58:59], 1, v[20:21]
	;; [unrolled: 1-line block ×4, first 2 shown]
	v_mov_b32_e32 v29, 0
	v_mov_b32_e32 v190, 0
	;; [unrolled: 1-line block ×15, first 2 shown]
	s_andn2_b64 vcc, exec, s[28:29]
	s_ashr_i32 s31, s30, 31
	s_cbranch_vccnz .LBB25_44
.LBB25_41:                              ;   in Loop: Header=BB25_16 Depth=1
	v_mov_b32_e32 v1, 0
	v_mov_b32_e32 v18, 0
	;; [unrolled: 1-line block ×4, first 2 shown]
	s_and_saveexec_b64 s[34:35], s[4:5]
	s_cbranch_execz .LBB25_43
; %bb.42:                               ;   in Loop: Header=BB25_16 Depth=1
	s_lshl_b64 s[90:91], s[30:31], 1
	v_add_co_u32_e32 v22, vcc, s90, v195
	v_mov_b32_e32 v1, s91
	v_addc_co_u32_e32 v23, vcc, v196, v1, vcc
	v_add_co_u32_e32 v18, vcc, v22, v56
	v_addc_co_u32_e32 v19, vcc, v23, v57, vcc
	flat_load_ushort v1, v[18:19]
	v_add_co_u32_e32 v18, vcc, v22, v58
	v_addc_co_u32_e32 v19, vcc, v23, v59, vcc
	v_add_co_u32_e32 v20, vcc, v22, v60
	v_addc_co_u32_e32 v21, vcc, v23, v61, vcc
	flat_load_ushort v18, v[18:19]
	s_nop 0
	flat_load_ushort v19, v[20:21]
	v_add_co_u32_e32 v20, vcc, v22, v62
	v_addc_co_u32_e32 v21, vcc, v23, v63, vcc
	flat_load_ushort v20, v[20:21]
.LBB25_43:                              ;   in Loop: Header=BB25_16 Depth=1
	s_or_b64 exec, exec, s[34:35]
	s_waitcnt vmcnt(0) lgkmcnt(0)
	ds_write_b16 v84, v1 offset:17408
	ds_write_b16 v164, v18 offset:17408
	;; [unrolled: 1-line block ×4, first 2 shown]
.LBB25_44:                              ;   Parent Loop BB25_16 Depth=1
                                        ; =>  This Inner Loop Header: Depth=2
	s_mul_hi_i32 s35, s30, s62
	s_mul_i32 s34, s30, s62
	s_lshl_b64 s[34:35], s[34:35], 2
	s_add_u32 s31, s83, s34
	s_addc_u32 s34, s92, s35
	v_mov_b32_e32 v1, s34
	v_add_co_u32_e32 v18, vcc, s31, v42
	v_addc_co_u32_e32 v1, vcc, v1, v43, vcc
	v_lshlrev_b32_e32 v199, 2, v30
	v_add_co_u32_e32 v18, vcc, v18, v199
	v_addc_co_u32_e32 v1, vcc, 0, v1, vcc
	v_mov_b32_e32 v24, s9
	v_cndmask_b32_e64 v19, v24, v1, s[6:7]
	v_mov_b32_e32 v1, s8
	buffer_store_dword v163, off, s[0:3], 0
	buffer_store_dword v163, off, s[0:3], 0 offset:4
	buffer_store_dword v163, off, s[0:3], 0 offset:8
	;; [unrolled: 1-line block ×3, first 2 shown]
	v_cndmask_b32_e64 v18, v1, v18, s[6:7]
	flat_load_dwordx4 v[18:21], v[18:19]
	v_mov_b32_e32 v22, s34
	v_add_co_u32_e32 v23, vcc, s31, v44
	v_addc_co_u32_e32 v22, vcc, v22, v45, vcc
	v_add_co_u32_e32 v23, vcc, v23, v199
	v_addc_co_u32_e32 v25, vcc, 0, v22, vcc
	v_cndmask_b32_e64 v22, v1, v23, s[38:39]
	v_cndmask_b32_e64 v23, v24, v25, s[38:39]
	s_waitcnt vmcnt(0) lgkmcnt(0)
	ds_write_b128 v86, v[18:21]
	flat_load_dwordx4 v[18:21], v[22:23]
	v_mov_b32_e32 v22, s34
	v_add_co_u32_e32 v23, vcc, s31, v46
	v_addc_co_u32_e32 v22, vcc, v22, v47, vcc
	v_add_co_u32_e32 v23, vcc, v23, v199
	v_addc_co_u32_e32 v25, vcc, 0, v22, vcc
	v_cndmask_b32_e64 v22, v1, v23, s[10:11]
	v_cndmask_b32_e64 v23, v24, v25, s[10:11]
	s_waitcnt vmcnt(0) lgkmcnt(0)
	ds_write_b128 v168, v[18:21]
	flat_load_dwordx4 v[18:21], v[22:23]
	v_mov_b32_e32 v22, s34
	v_add_co_u32_e32 v23, vcc, s31, v48
	v_addc_co_u32_e32 v22, vcc, v22, v49, vcc
	v_add_co_u32_e32 v23, vcc, v23, v199
	v_addc_co_u32_e32 v25, vcc, 0, v22, vcc
	v_cndmask_b32_e64 v22, v1, v23, s[12:13]
	v_cndmask_b32_e64 v23, v24, v25, s[12:13]
                                        ; implicit-def: $vgpr1
	s_waitcnt vmcnt(0) lgkmcnt(0)
	ds_write_b128 v170, v[18:21]
	flat_load_dwordx4 v[18:21], v[22:23]
	s_waitcnt vmcnt(0) lgkmcnt(0)
	ds_write_b128 v172, v[18:21]
	s_waitcnt lgkmcnt(0)
	s_barrier
	ds_read2_b64 v[18:21], v105 offset1:4
	s_waitcnt lgkmcnt(0)
	v_mfma_f32_16x16x16f16 v[22:25], v[18:19], v[14:15], 0
	v_mfma_f32_16x16x16f16 v[18:21], v[20:21], v[16:17], v[22:25]
	s_nop 7
	s_nop 1
	ds_read2_b64 v[22:25], v105 offset0:8 offset1:12
	s_waitcnt lgkmcnt(0)
	v_mfma_f32_16x16x16f16 v[18:21], v[22:23], v[10:11], v[18:21]
	v_mfma_f32_16x16x16f16 v[18:21], v[24:25], v[12:13], v[18:21]
	ds_read2_b64 v[22:25], v105 offset0:16 offset1:20
	s_waitcnt lgkmcnt(0)
	v_mfma_f32_16x16x16f16 v[18:21], v[22:23], v[6:7], v[18:21]
	v_mfma_f32_16x16x16f16 v[18:21], v[24:25], v[8:9], v[18:21]
	ds_read2_b64 v[22:25], v105 offset0:24 offset1:28
	s_waitcnt lgkmcnt(0)
	s_barrier
	v_mfma_f32_16x16x16f16 v[18:21], v[22:23], v[2:3], v[18:21]
	v_mfma_f32_16x16x16f16 v[18:21], v[24:25], v[4:5], v[18:21]
	s_nop 7
	s_nop 2
	v_cmp_nlt_f32_e64 s[34:35], |v18|, s26
	s_and_saveexec_b64 s[90:91], s[34:35]
	s_xor_b64 s[34:35], exec, s[90:91]
	s_cbranch_execz .LBB25_46
; %bb.45:                               ;   in Loop: Header=BB25_44 Depth=2
	v_add_f32_e64 v1, |v18|, |v18|
	v_mul_f32_e32 v22, 0x3fb8aa3b, v1
	v_rndne_f32_e32 v23, v22
	v_sub_f32_e32 v24, v22, v23
	v_fma_f32 v22, v1, s25, -v22
	v_fmac_f32_e32 v22, 0x32a5705f, v1
	v_add_f32_e32 v22, v24, v22
	v_cvt_i32_f32_e32 v23, v23
	v_exp_f32_e32 v22, v22
	v_cmp_ngt_f32_e32 vcc, s88, v1
	v_ldexp_f32 v22, v22, v23
	v_cndmask_b32_e32 v22, 0, v22, vcc
	v_cmp_nlt_f32_e32 vcc, s61, v1
	v_cndmask_b32_e32 v1, v188, v22, vcc
	v_add_f32_e32 v1, 1.0, v1
	v_rcp_f32_e32 v1, v1
	v_fma_f32 v1, v1, -2.0, 1.0
.LBB25_46:                              ;   in Loop: Header=BB25_44 Depth=2
	s_andn2_saveexec_b64 s[34:35], s[34:35]
; %bb.47:                               ;   in Loop: Header=BB25_44 Depth=2
	v_mul_f32_e32 v1, v18, v18
	v_mov_b32_e32 v22, 0x3ca908c9
	v_fmac_f32_e32 v22, 0xbbbac73d, v1
	v_fma_f32 v22, v1, v22, v184
	v_fma_f32 v22, v1, v22, v185
	;; [unrolled: 1-line block ×3, first 2 shown]
	v_mul_f32_e64 v22, |v18|, v22
	v_fma_f32 v1, v1, v22, |v18|
; %bb.48:                               ;   in Loop: Header=BB25_44 Depth=2
	s_or_b64 exec, exec, s[34:35]
	v_cmp_nlt_f32_e64 s[34:35], |v19|, s26
                                        ; implicit-def: $vgpr23
	s_and_saveexec_b64 s[90:91], s[34:35]
	s_xor_b64 s[34:35], exec, s[90:91]
	s_cbranch_execz .LBB25_50
; %bb.49:                               ;   in Loop: Header=BB25_44 Depth=2
	v_add_f32_e64 v22, |v19|, |v19|
	v_mul_f32_e32 v23, 0x3fb8aa3b, v22
	v_rndne_f32_e32 v24, v23
	v_sub_f32_e32 v25, v23, v24
	v_fma_f32 v23, v22, s25, -v23
	v_fmac_f32_e32 v23, 0x32a5705f, v22
	v_add_f32_e32 v23, v25, v23
	v_cvt_i32_f32_e32 v24, v24
	v_exp_f32_e32 v23, v23
	v_cmp_ngt_f32_e32 vcc, s88, v22
	v_ldexp_f32 v23, v23, v24
	v_cndmask_b32_e32 v23, 0, v23, vcc
	v_cmp_nlt_f32_e32 vcc, s61, v22
	v_cndmask_b32_e32 v22, v188, v23, vcc
	v_add_f32_e32 v22, 1.0, v22
	v_rcp_f32_e32 v22, v22
	v_fma_f32 v23, v22, -2.0, 1.0
.LBB25_50:                              ;   in Loop: Header=BB25_44 Depth=2
	s_andn2_saveexec_b64 s[34:35], s[34:35]
; %bb.51:                               ;   in Loop: Header=BB25_44 Depth=2
	v_mul_f32_e32 v22, v19, v19
	v_mov_b32_e32 v23, 0x3ca908c9
	v_fmac_f32_e32 v23, 0xbbbac73d, v22
	v_fma_f32 v23, v22, v23, v184
	v_fma_f32 v23, v22, v23, v185
	;; [unrolled: 1-line block ×3, first 2 shown]
	v_mul_f32_e64 v23, |v19|, v23
	v_fma_f32 v23, v22, v23, |v19|
; %bb.52:                               ;   in Loop: Header=BB25_44 Depth=2
	s_or_b64 exec, exec, s[34:35]
	v_cmp_nlt_f32_e64 s[34:35], |v20|, s26
                                        ; implicit-def: $vgpr24
	s_and_saveexec_b64 s[90:91], s[34:35]
	s_xor_b64 s[34:35], exec, s[90:91]
	s_cbranch_execz .LBB25_54
; %bb.53:                               ;   in Loop: Header=BB25_44 Depth=2
	v_add_f32_e64 v22, |v20|, |v20|
	v_mul_f32_e32 v24, 0x3fb8aa3b, v22
	v_rndne_f32_e32 v25, v24
	v_sub_f32_e32 v53, v24, v25
	v_fma_f32 v24, v22, s25, -v24
	v_fmac_f32_e32 v24, 0x32a5705f, v22
	v_add_f32_e32 v24, v53, v24
	v_cvt_i32_f32_e32 v25, v25
	v_exp_f32_e32 v24, v24
	v_cmp_ngt_f32_e32 vcc, s88, v22
	v_ldexp_f32 v24, v24, v25
	v_cndmask_b32_e32 v24, 0, v24, vcc
	v_cmp_nlt_f32_e32 vcc, s61, v22
	v_cndmask_b32_e32 v22, v188, v24, vcc
	v_add_f32_e32 v22, 1.0, v22
	v_rcp_f32_e32 v22, v22
	v_fma_f32 v24, v22, -2.0, 1.0
.LBB25_54:                              ;   in Loop: Header=BB25_44 Depth=2
	s_andn2_saveexec_b64 s[34:35], s[34:35]
; %bb.55:                               ;   in Loop: Header=BB25_44 Depth=2
	v_mul_f32_e32 v22, v20, v20
	v_mov_b32_e32 v24, 0x3ca908c9
	v_fmac_f32_e32 v24, 0xbbbac73d, v22
	v_fma_f32 v24, v22, v24, v184
	v_fma_f32 v24, v22, v24, v185
	;; [unrolled: 1-line block ×3, first 2 shown]
	v_mul_f32_e64 v24, |v20|, v24
	v_fma_f32 v24, v22, v24, |v20|
; %bb.56:                               ;   in Loop: Header=BB25_44 Depth=2
	s_or_b64 exec, exec, s[34:35]
	v_cmp_nlt_f32_e64 s[34:35], |v21|, s26
                                        ; implicit-def: $vgpr25
	s_and_saveexec_b64 s[90:91], s[34:35]
	s_xor_b64 s[34:35], exec, s[90:91]
	s_cbranch_execz .LBB25_58
; %bb.57:                               ;   in Loop: Header=BB25_44 Depth=2
	v_add_f32_e64 v22, |v21|, |v21|
	v_mul_f32_e32 v25, 0x3fb8aa3b, v22
	v_rndne_f32_e32 v53, v25
	v_sub_f32_e32 v202, v25, v53
	v_fma_f32 v25, v22, s25, -v25
	v_fmac_f32_e32 v25, 0x32a5705f, v22
	v_add_f32_e32 v25, v202, v25
	v_cvt_i32_f32_e32 v53, v53
	v_exp_f32_e32 v25, v25
	v_cmp_ngt_f32_e32 vcc, s88, v22
	v_ldexp_f32 v25, v25, v53
	v_cndmask_b32_e32 v25, 0, v25, vcc
	v_cmp_nlt_f32_e32 vcc, s61, v22
	v_cndmask_b32_e32 v22, v188, v25, vcc
	v_add_f32_e32 v22, 1.0, v22
	v_rcp_f32_e32 v22, v22
	v_fma_f32 v25, v22, -2.0, 1.0
.LBB25_58:                              ;   in Loop: Header=BB25_44 Depth=2
	s_andn2_saveexec_b64 s[34:35], s[34:35]
; %bb.59:                               ;   in Loop: Header=BB25_44 Depth=2
	v_mul_f32_e32 v22, v21, v21
	v_mov_b32_e32 v25, 0x3ca908c9
	v_fmac_f32_e32 v25, 0xbbbac73d, v22
	v_fma_f32 v25, v22, v25, v184
	v_fma_f32 v25, v22, v25, v185
	;; [unrolled: 1-line block ×3, first 2 shown]
	v_mul_f32_e64 v25, |v21|, v25
	v_fma_f32 v25, v22, v25, |v21|
; %bb.60:                               ;   in Loop: Header=BB25_44 Depth=2
	s_or_b64 exec, exec, s[34:35]
	v_bfi_b32 v1, s89, v1, v18
	v_mul_f32_e32 v22, s73, v1
	v_bfi_b32 v1, s89, v23, v19
	v_mul_f32_e32 v23, s73, v1
	;; [unrolled: 2-line block ×4, first 2 shown]
	s_and_b64 vcc, exec, s[28:29]
	s_cbranch_vccz .LBB25_65
; %bb.61:                               ;   in Loop: Header=BB25_44 Depth=2
	v_add_u32_e32 v1, 0x4400, v87
	ds_read2_b32 v[18:19], v1 offset1:1
	v_mov_b32_e32 v53, v52
	s_waitcnt lgkmcnt(0)
	v_cvt_f32_f16_e32 v202, v18
	v_cvt_f32_f16_e32 v20, v19
	v_cvt_f32_f16_sdwa v21, v19 dst_sel:DWORD dst_unused:UNUSED_PAD src0_sel:WORD_1
	v_cvt_f32_f16_sdwa v203, v18 dst_sel:DWORD dst_unused:UNUSED_PAD src0_sel:WORD_1
	v_pk_fma_f32 v[20:21], v[52:53], v[20:21], v[24:25]
	v_pk_fma_f32 v[18:19], v[54:55], v[202:203], v[22:23]
	s_cbranch_execnz .LBB25_63
.LBB25_62:                              ;   in Loop: Header=BB25_44 Depth=2
	v_pk_mov_b32 v[18:19], v[22:23], v[22:23] op_sel:[0,1]
	v_pk_mov_b32 v[20:21], v[24:25], v[24:25] op_sel:[0,1]
.LBB25_63:                              ;   in Loop: Header=BB25_44 Depth=2
	v_add_f32_e32 v1, 0x40051340, v18
	v_max_f32_e32 v22, v201, v201
	v_max_f32_e32 v1, v22, v1
	v_cndmask_b32_e64 v1, v201, v1, s[14:15]
	v_add_f32_e32 v22, 0x40051340, v19
	v_max_f32_e32 v23, v1, v1
	v_max_f32_e32 v22, v23, v22
	v_cndmask_b32_e64 v1, v1, v22, s[16:17]
	;; [unrolled: 4-line block ×4, first 2 shown]
	ds_bpermute_b32 v22, v197, v1
	v_max_f32_e32 v1, v1, v1
	v_cndmask_b32_e64 v20, v20, v20, s[16:17]
	v_cndmask_b32_e64 v21, v21, v21, s[16:17]
	s_mul_hi_i32 s35, s30, s42
	s_waitcnt lgkmcnt(0)
	v_max_f32_e32 v22, v22, v22
	v_max_f32_e32 v1, v1, v22
	ds_bpermute_b32 v22, v198, v1
	s_mul_i32 s34, s30, s42
	s_lshl_b64 s[34:35], s[34:35], 2
	s_add_u32 s31, s79, s34
	s_addc_u32 s34, s85, s35
	s_waitcnt lgkmcnt(0)
	v_max_f32_e32 v22, v22, v22
	v_max_f32_e32 v22, v1, v22
	v_sub_f32_e32 v1, v18, v22
	v_mul_f32_e32 v18, 0x3fb8aa3b, v1
	v_fma_f32 v23, v1, s25, -v18
	v_rndne_f32_e32 v24, v18
	v_fmac_f32_e32 v23, 0x32a5705f, v1
	v_sub_f32_e32 v18, v18, v24
	v_add_f32_e32 v18, v18, v23
	v_exp_f32_e32 v18, v18
	v_cvt_i32_f32_e32 v23, v24
	v_cmp_ngt_f32_e32 vcc, s88, v1
	buffer_store_dword v163, off, s[0:3], 0
	buffer_store_dword v163, off, s[0:3], 0 offset:4
	buffer_store_dword v163, off, s[0:3], 0 offset:8
	;; [unrolled: 1-line block ×3, first 2 shown]
	s_add_i32 s40, s40, 1
	v_ldexp_f32 v18, v18, v23
	v_cndmask_b32_e32 v18, 0, v18, vcc
	v_cmp_nlt_f32_e32 vcc, s61, v1
	v_cndmask_b32_e32 v1, v188, v18, vcc
	v_cndmask_b32_e64 v18, 0, v1, s[14:15]
	v_sub_f32_e32 v1, v19, v22
	v_mul_f32_e32 v19, 0x3fb8aa3b, v1
	v_fma_f32 v23, v1, s25, -v19
	v_rndne_f32_e32 v24, v19
	v_fmac_f32_e32 v23, 0x32a5705f, v1
	v_sub_f32_e32 v19, v19, v24
	v_add_f32_e32 v19, v19, v23
	v_exp_f32_e32 v19, v19
	v_cvt_i32_f32_e32 v23, v24
	v_cmp_ngt_f32_e32 vcc, s88, v1
	s_add_i32 s30, s30, 64
	s_cmp_lt_i32 s40, s36
	v_ldexp_f32 v19, v19, v23
	v_cndmask_b32_e32 v19, 0, v19, vcc
	v_cmp_nlt_f32_e32 vcc, s61, v1
	v_cndmask_b32_e32 v19, v188, v19, vcc
	v_mov_b32_e32 v1, s95
	v_add_f32_e32 v23, v19, v18
	v_cndmask_b32_e64 v202, v1, v19, s[16:17]
	v_sub_f32_e32 v19, v20, v22
	v_mul_f32_e32 v20, 0x3fb8aa3b, v19
	v_cndmask_b32_e64 v1, v18, v23, s[16:17]
	v_fma_f32 v23, v19, s25, -v20
	v_rndne_f32_e32 v24, v20
	v_fmac_f32_e32 v23, 0x32a5705f, v19
	v_sub_f32_e32 v20, v20, v24
	v_add_f32_e32 v20, v20, v23
	v_exp_f32_e32 v20, v20
	v_cvt_i32_f32_e32 v23, v24
	v_cmp_ngt_f32_e32 vcc, s88, v19
	v_cvt_f16_f32_e32 v18, v18
	v_ldexp_f32 v20, v20, v23
	v_cndmask_b32_e32 v20, 0, v20, vcc
	v_cmp_nlt_f32_e32 vcc, s61, v19
	v_cndmask_b32_e32 v19, v188, v20, vcc
	v_mov_b32_e32 v20, s95
	v_add_f32_e32 v23, v1, v19
	v_cndmask_b32_e64 v203, v20, v19, s[18:19]
	v_sub_f32_e32 v19, v21, v22
	v_mul_f32_e32 v20, 0x3fb8aa3b, v19
	v_cndmask_b32_e64 v1, v1, v23, s[18:19]
	v_fma_f32 v21, v19, s25, -v20
	v_rndne_f32_e32 v23, v20
	v_fmac_f32_e32 v21, 0x32a5705f, v19
	v_sub_f32_e32 v20, v20, v23
	v_add_f32_e32 v20, v20, v21
	v_exp_f32_e32 v20, v20
	v_cvt_i32_f32_e32 v21, v23
	v_cmp_ngt_f32_e32 vcc, s88, v19
	v_ldexp_f32 v20, v20, v21
	v_cndmask_b32_e32 v20, 0, v20, vcc
	v_cmp_nlt_f32_e32 vcc, s61, v19
	v_cndmask_b32_e32 v20, v188, v20, vcc
	v_mov_b32_e32 v19, s95
	v_add_f32_e32 v21, v1, v20
	v_cndmask_b32_e64 v19, v19, v20, s[20:21]
	v_sub_f32_e32 v20, v201, v22
	v_cndmask_b32_e64 v1, v1, v21, s[20:21]
	v_mul_f32_e32 v21, 0x3fb8aa3b, v20
	v_fma_f32 v23, v20, s25, -v21
	v_rndne_f32_e32 v24, v21
	v_fmac_f32_e32 v23, 0x32a5705f, v20
	v_sub_f32_e32 v21, v21, v24
	v_add_f32_e32 v21, v21, v23
	v_exp_f32_e32 v21, v21
	v_cvt_i32_f32_e32 v23, v24
	v_cmp_ngt_f32_e32 vcc, s88, v20
	v_cvt_f16_f32_e32 v19, v19
	v_ldexp_f32 v21, v21, v23
	v_cndmask_b32_e32 v21, 0, v21, vcc
	v_cmp_nlt_f32_e32 vcc, s61, v20
	v_cndmask_b32_e32 v21, v188, v21, vcc
	v_cmp_le_f32_e32 vcc, s27, v20
	v_cndmask_b32_e32 v20, 0, v21, vcc
	v_fmac_f32_e32 v1, v200, v20
	v_cvt_f16_f32_e32 v20, v20
	v_pk_mul_f16 v21, v20, v27 op_sel_hi:[0,1]
	v_cvt_f16_f32_e32 v27, v202
	v_pk_mul_f16 v64, v20, v64 op_sel_hi:[0,1]
	v_pk_mul_f16 v51, v20, v51 op_sel_hi:[0,1]
	;; [unrolled: 1-line block ×3, first 2 shown]
	v_pack_b32_f16 v18, v18, v27
	v_cvt_f16_f32_e32 v27, v203
	v_pk_mul_f16 v65, v20, v65 op_sel_hi:[0,1]
	v_pk_mul_f16 v68, v20, v68 op_sel_hi:[0,1]
	;; [unrolled: 1-line block ×12, first 2 shown]
	v_pack_b32_f16 v19, v27, v19
	v_add_co_u32_e32 v27, vcc, s31, v34
	v_mov_b32_e32 v29, s34
	v_addc_co_u32_e32 v29, vcc, v29, v35, vcc
	v_add_co_u32_e32 v27, vcc, v27, v199
	v_addc_co_u32_e32 v29, vcc, 0, v29, vcc
	v_mov_b32_e32 v31, s9
	v_cndmask_b32_e64 v201, v31, v29, s[6:7]
	v_mov_b32_e32 v29, s8
	v_cndmask_b32_e64 v200, v29, v27, s[6:7]
	flat_load_dwordx4 v[200:203], v[200:201]
	v_add_co_u32_e32 v27, vcc, s31, v36
	v_mov_b32_e32 v76, s34
	v_addc_co_u32_e32 v76, vcc, v76, v37, vcc
	v_add_co_u32_e32 v27, vcc, v27, v199
	v_addc_co_u32_e32 v76, vcc, 0, v76, vcc
	s_waitcnt vmcnt(0) lgkmcnt(0)
	ds_write_b128 v86, v[200:203]
	v_cndmask_b32_e64 v201, v31, v76, s[38:39]
	v_cndmask_b32_e64 v200, v29, v27, s[38:39]
	flat_load_dwordx4 v[200:203], v[200:201]
	v_add_co_u32_e32 v27, vcc, s31, v38
	v_mov_b32_e32 v76, s34
	v_addc_co_u32_e32 v76, vcc, v76, v39, vcc
	v_add_co_u32_e32 v27, vcc, v27, v199
	v_addc_co_u32_e32 v76, vcc, 0, v76, vcc
	s_waitcnt vmcnt(0) lgkmcnt(0)
	ds_write_b128 v168, v[200:203]
	v_cndmask_b32_e64 v201, v31, v76, s[10:11]
	v_cndmask_b32_e64 v200, v29, v27, s[10:11]
	flat_load_dwordx4 v[200:203], v[200:201]
	v_add_co_u32_e32 v27, vcc, s31, v40
	v_mov_b32_e32 v76, s34
	v_addc_co_u32_e32 v76, vcc, v76, v41, vcc
	v_add_co_u32_e32 v27, vcc, v27, v199
	v_addc_co_u32_e32 v76, vcc, 0, v76, vcc
	v_add_u32_e32 v199, v107, v109
	s_waitcnt vmcnt(0) lgkmcnt(0)
	ds_write_b128 v170, v[200:203]
	v_cndmask_b32_e64 v201, v31, v76, s[12:13]
	v_cndmask_b32_e64 v200, v29, v27, s[12:13]
	flat_load_dwordx4 v[200:203], v[200:201]
	v_add_u32_e32 v27, v107, v108
	s_waitcnt vmcnt(0) lgkmcnt(0)
	ds_write_b128 v172, v[200:203]
	s_waitcnt lgkmcnt(0)
	s_barrier
	ds_read_u16 v29, v110 offset:544
	ds_read_u16 v31, v199
	ds_read_u16 v76, v199 offset:32
	v_cvt_f32_f16_e32 v202, v51
	v_cvt_f32_f16_sdwa v203, v51 dst_sel:DWORD dst_unused:UNUSED_PAD src0_sel:WORD_1
	v_cvt_f32_f16_e32 v200, v64
	s_waitcnt lgkmcnt(1)
	v_perm_b32 v205, v31, v29, s84
	ds_read_u16 v29, v104
	ds_read_u16 v31, v104 offset:32
	ds_read_u16 v51, v27 offset:272
	;; [unrolled: 1-line block ×3, first 2 shown]
	v_cvt_f32_f16_sdwa v201, v64 dst_sel:DWORD dst_unused:UNUSED_PAD src0_sel:WORD_1
	s_waitcnt lgkmcnt(1)
	v_perm_b32 v204, v51, v29, s84
	s_nop 1
	v_mfma_f32_16x16x16f16 v[200:203], v[204:205], v[18:19], v[200:203]
	s_waitcnt lgkmcnt(0)
	v_perm_b32 v204, v78, v31, s84
	s_nop 7
	s_nop 0
	v_cvt_f16_f32_e32 v29, v200
	v_cvt_f16_f32_e32 v51, v201
	v_cvt_f16_f32_e32 v190, v202
	v_cvt_f16_f32_e32 v200, v203
	v_cvt_f32_f16_sdwa v201, v66 dst_sel:DWORD dst_unused:UNUSED_PAD src0_sel:WORD_1
	v_pack_b32_f16 v64, v29, v51
	ds_read_u16 v29, v173 offset:544
	v_pack_b32_f16 v51, v190, v200
	v_cvt_f32_f16_e32 v200, v66
	v_cvt_f32_f16_e32 v202, v65
	v_cvt_f32_f16_sdwa v203, v65 dst_sel:DWORD dst_unused:UNUSED_PAD src0_sel:WORD_1
	s_waitcnt lgkmcnt(0)
	v_perm_b32 v205, v76, v29, s84
	s_nop 1
	v_mfma_f32_16x16x16f16 v[200:203], v[204:205], v[18:19], v[200:203]
	s_nop 7
	s_nop 2
	v_cvt_f16_f32_e32 v29, v200
	v_cvt_f16_f32_e32 v31, v201
	v_cvt_f16_f32_e32 v65, v202
	v_cvt_f16_f32_e32 v76, v203
	v_cvt_f32_f16_e32 v200, v68
	v_pack_b32_f16 v66, v29, v31
	v_cvt_f32_f16_sdwa v201, v68 dst_sel:DWORD dst_unused:UNUSED_PAD src0_sel:WORD_1
	v_pack_b32_f16 v65, v65, v76
	ds_read_u16 v29, v104 offset:64
	ds_read_u16 v31, v27 offset:336
	ds_read_u16 v76, v174 offset:544
	ds_read_u16 v78, v199 offset:64
	v_cvt_f32_f16_e32 v202, v67
	v_cvt_f32_f16_sdwa v203, v67 dst_sel:DWORD dst_unused:UNUSED_PAD src0_sel:WORD_1
	s_waitcnt lgkmcnt(2)
	v_perm_b32 v204, v31, v29, s84
	s_waitcnt lgkmcnt(0)
	v_perm_b32 v205, v78, v76, s84
	s_nop 1
	v_mfma_f32_16x16x16f16 v[200:203], v[204:205], v[18:19], v[200:203]
	s_nop 7
	s_nop 2
	v_cvt_f16_f32_e32 v29, v200
	v_cvt_f16_f32_e32 v31, v201
	v_cvt_f16_f32_e32 v67, v202
	v_cvt_f16_f32_e32 v76, v203
	v_cvt_f32_f16_e32 v200, v70
	v_pack_b32_f16 v68, v29, v31
	v_cvt_f32_f16_sdwa v201, v70 dst_sel:DWORD dst_unused:UNUSED_PAD src0_sel:WORD_1
	v_pack_b32_f16 v67, v67, v76
	ds_read_u16 v29, v104 offset:96
	ds_read_u16 v31, v27 offset:368
	ds_read_u16 v76, v175 offset:544
	ds_read_u16 v78, v199 offset:96
	v_cvt_f32_f16_e32 v202, v69
	v_cvt_f32_f16_sdwa v203, v69 dst_sel:DWORD dst_unused:UNUSED_PAD src0_sel:WORD_1
	s_waitcnt lgkmcnt(2)
	v_perm_b32 v204, v31, v29, s84
	;; [unrolled: 22-line block ×6, first 2 shown]
	s_waitcnt lgkmcnt(0)
	v_perm_b32 v21, v27, v25, s84
	s_barrier
	s_nop 0
	v_mfma_f32_16x16x16f16 v[18:21], v[20:21], v[18:19], v[200:203]
	s_nop 7
	s_nop 2
	v_cvt_f16_f32_e32 v18, v18
	v_cvt_f16_f32_e32 v19, v19
	;; [unrolled: 1-line block ×4, first 2 shown]
	v_pack_b32_f16 v27, v18, v19
	v_pack_b32_f16 v29, v20, v21
	s_cbranch_scc0 .LBB25_68
; %bb.64:                               ;   in Loop: Header=BB25_44 Depth=2
	v_mov_b32_e32 v200, v1
	v_mov_b32_e32 v201, v22
	s_andn2_b64 vcc, exec, s[28:29]
	s_ashr_i32 s31, s30, 31
	s_cbranch_vccz .LBB25_41
	s_branch .LBB25_44
.LBB25_65:                              ;   in Loop: Header=BB25_44 Depth=2
                                        ; implicit-def: $vgpr18_vgpr19_vgpr20_vgpr21
	s_branch .LBB25_62
.LBB25_66:                              ;   in Loop: Header=BB25_16 Depth=1
	s_cbranch_execz .LBB25_15
	s_branch .LBB25_182
.LBB25_67:                              ;   in Loop: Header=BB25_16 Depth=1
	v_mov_b32_e32 v1, 0
	v_mov_b32_e32 v22, 0xfeffffff
	;; [unrolled: 1-line block ×17, first 2 shown]
.LBB25_68:                              ;   in Loop: Header=BB25_16 Depth=1
	s_lshl_b32 s40, s40, 6
	v_readlane_b32 s28, v219, 4
	s_sub_i32 s77, s28, s40
	s_cmp_lg_u64 s[96:97], 0
	s_cselect_b64 s[98:99], -1, 0
	s_ashr_i32 s41, s40, 31
	s_cmp_eq_u64 s[96:97], 0
	v_readlane_b32 s29, v219, 5
	s_cbranch_scc1 .LBB25_74
; %bb.69:                               ;   in Loop: Header=BB25_16 Depth=1
	v_cmp_le_i32_e32 vcc, s77, v26
                                        ; implicit-def: $sgpr30
	s_and_saveexec_b64 s[28:29], vcc
	s_xor_b64 s[28:29], exec, s[28:29]
	s_cbranch_execz .LBB25_71
; %bb.70:                               ;   in Loop: Header=BB25_16 Depth=1
	ds_write_b16 v84, v163 offset:17408
	ds_write_b16 v164, v163 offset:17408
	s_mov_b32 s30, 0
                                        ; implicit-def: $vgpr191
                                        ; implicit-def: $vgpr192
                                        ; implicit-def: $vgpr194
                                        ; implicit-def: $vgpr193
.LBB25_71:                              ;   in Loop: Header=BB25_16 Depth=1
	s_or_saveexec_b64 s[28:29], s[28:29]
	v_mov_b32_e32 v18, s30
	v_mov_b32_e32 v19, s30
	s_xor_b64 exec, exec, s[28:29]
	s_cbranch_execz .LBB25_73
; %bb.72:                               ;   in Loop: Header=BB25_16 Depth=1
	s_lshl_b64 s[30:31], s[40:41], 1
	s_add_u32 s30, s96, s30
	s_addc_u32 s31, s97, s31
	v_lshlrev_b32_e32 v18, 1, v26
	v_add_co_u32_e32 v23, vcc, s30, v18
	v_mov_b32_e32 v18, s31
	v_readlane_b32 s34, v219, 10
	v_addc_co_u32_e32 v24, vcc, 0, v18, vcc
	v_mul_hi_u32 v18, s34, v191
	v_readlane_b32 s35, v219, 11
	v_add_u32_e32 v18, v191, v18
	v_lshrrev_b32_e32 v18, s35, v18
	v_mul_lo_u32 v18, v18, s60
	v_readlane_b32 s30, v219, 59
	v_sub_u32_e32 v18, v191, v18
	v_readlane_b32 s31, v219, 60
	s_mov_b32 s36, s30
	v_mad_i64_i32 v[18:19], s[30:31], v18, s36, 0
	v_lshlrev_b64 v[18:19], 1, v[18:19]
	v_add_co_u32_e32 v18, vcc, v23, v18
	v_addc_co_u32_e32 v19, vcc, v24, v19, vcc
	flat_load_ushort v20, v[18:19]
	v_mul_hi_u32 v18, s34, v192
	v_add_u32_e32 v18, v192, v18
	v_lshrrev_b32_e32 v18, s35, v18
	v_mul_lo_u32 v18, v18, s60
	v_sub_u32_e32 v18, v192, v18
	v_mad_i64_i32 v[18:19], s[30:31], v18, s36, 0
	v_lshlrev_b64 v[18:19], 1, v[18:19]
	v_add_co_u32_e32 v18, vcc, v23, v18
	v_addc_co_u32_e32 v19, vcc, v24, v19, vcc
	flat_load_ushort v18, v[18:19]
	s_waitcnt vmcnt(0) lgkmcnt(0)
	ds_write_b16 v84, v20 offset:17408
	ds_write_b16 v164, v18 offset:17408
	v_mul_hi_u32 v18, s34, v194
	v_add_u32_e32 v18, v194, v18
	v_lshrrev_b32_e32 v18, s35, v18
	v_mul_lo_u32 v18, v18, s60
	v_sub_u32_e32 v18, v194, v18
	v_mad_i64_i32 v[18:19], s[30:31], v18, s36, 0
	v_lshlrev_b64 v[18:19], 1, v[18:19]
	v_add_co_u32_e32 v18, vcc, v23, v18
	v_addc_co_u32_e32 v19, vcc, v24, v19, vcc
	flat_load_ushort v18, v[18:19]
	v_mul_hi_u32 v19, s34, v193
	v_add_u32_e32 v19, v193, v19
	v_lshrrev_b32_e32 v19, s35, v19
	v_mul_lo_u32 v19, v19, s60
	v_sub_u32_e32 v19, v193, v19
	v_mad_i64_i32 v[20:21], s[30:31], v19, s36, 0
	v_lshlrev_b64 v[20:21], 1, v[20:21]
	v_add_co_u32_e32 v20, vcc, v23, v20
	v_addc_co_u32_e32 v21, vcc, v24, v21, vcc
	flat_load_ushort v19, v[20:21]
.LBB25_73:                              ;   in Loop: Header=BB25_16 Depth=1
	s_or_b64 exec, exec, s[28:29]
	s_waitcnt vmcnt(0) lgkmcnt(0)
	ds_write_b16 v165, v18 offset:17408
	ds_write_b16 v166, v19 offset:17408
.LBB25_74:                              ;   in Loop: Header=BB25_16 Depth=1
	s_mul_hi_i32 s29, s40, s62
	s_mul_i32 s28, s40, s62
	s_lshl_b64 s[28:29], s[28:29], 2
	s_add_u32 s28, s83, s28
	s_addc_u32 s29, s92, s29
	v_mov_b32_e32 v18, s29
	v_add_co_u32_e32 v19, vcc, s28, v42
	v_addc_co_u32_e32 v20, vcc, v18, v43, vcc
	v_lshlrev_b32_e32 v18, 2, v30
	v_add_co_u32_e32 v19, vcc, v19, v18
	v_addc_co_u32_e32 v20, vcc, 0, v20, vcc
	v_mov_b32_e32 v23, s9
	v_cmp_gt_i32_e64 s[30:31], s77, v85
	v_mov_b32_e32 v24, s8
	buffer_store_dword v163, off, s[0:3], 0
	buffer_store_dword v163, off, s[0:3], 0 offset:4
	buffer_store_dword v163, off, s[0:3], 0 offset:8
	;; [unrolled: 1-line block ×3, first 2 shown]
	v_cndmask_b32_e64 v21, v23, v20, s[30:31]
	v_cndmask_b32_e64 v20, v24, v19, s[30:31]
	flat_load_dwordx4 v[54:57], v[20:21]
	v_mov_b32_e32 v19, s29
	v_add_co_u32_e32 v20, vcc, s28, v44
	v_addc_co_u32_e32 v19, vcc, v19, v45, vcc
	v_add_co_u32_e32 v20, vcc, v20, v18
	v_addc_co_u32_e32 v19, vcc, 0, v19, vcc
	v_cmp_gt_i32_e64 s[34:35], s77, v167
	v_cndmask_b32_e64 v21, v23, v19, s[34:35]
	v_cndmask_b32_e64 v20, v24, v20, s[34:35]
	v_mov_b32_e32 v19, s29
	v_cmp_gt_i32_e64 s[36:37], s77, v169
	s_waitcnt vmcnt(0) lgkmcnt(0)
	ds_write_b128 v86, v[54:57]
	flat_load_dwordx4 v[54:57], v[20:21]
	v_add_co_u32_e32 v20, vcc, s28, v46
	v_addc_co_u32_e32 v19, vcc, v19, v47, vcc
	v_add_co_u32_e32 v20, vcc, v20, v18
	v_addc_co_u32_e32 v19, vcc, 0, v19, vcc
	v_cndmask_b32_e64 v21, v23, v19, s[36:37]
	v_cndmask_b32_e64 v20, v24, v20, s[36:37]
	v_mov_b32_e32 v19, s29
	s_waitcnt vmcnt(0) lgkmcnt(0)
	ds_write_b128 v168, v[54:57]
	flat_load_dwordx4 v[54:57], v[20:21]
	v_add_co_u32_e32 v20, vcc, s28, v48
	v_addc_co_u32_e32 v19, vcc, v19, v49, vcc
	v_add_co_u32_e32 v20, vcc, v20, v18
	v_addc_co_u32_e32 v19, vcc, 0, v19, vcc
	v_cmp_gt_i32_e64 s[28:29], s77, v171
	v_cndmask_b32_e64 v21, v23, v19, s[28:29]
	v_cndmask_b32_e64 v20, v24, v20, s[28:29]
	s_waitcnt vmcnt(0) lgkmcnt(0)
	ds_write_b128 v170, v[54:57]
	flat_load_dwordx4 v[54:57], v[20:21]
	s_waitcnt vmcnt(0) lgkmcnt(0)
	ds_write_b128 v172, v[54:57]
	s_waitcnt lgkmcnt(0)
	s_barrier
	ds_read2_b64 v[54:57], v105 offset1:4
	s_waitcnt lgkmcnt(0)
	v_mfma_f32_16x16x16f16 v[58:61], v[54:55], v[14:15], 0
	v_mfma_f32_16x16x16f16 v[14:17], v[56:57], v[16:17], v[58:61]
	ds_read2_b64 v[54:57], v105 offset0:8 offset1:12
	s_waitcnt lgkmcnt(0)
	v_mfma_f32_16x16x16f16 v[14:17], v[54:55], v[10:11], v[14:17]
	v_mfma_f32_16x16x16f16 v[10:13], v[56:57], v[12:13], v[14:17]
	s_nop 7
	s_nop 1
	ds_read2_b64 v[14:17], v105 offset0:16 offset1:20
	s_waitcnt lgkmcnt(0)
	v_mfma_f32_16x16x16f16 v[10:13], v[14:15], v[6:7], v[10:13]
	v_mfma_f32_16x16x16f16 v[6:9], v[16:17], v[8:9], v[10:13]
	s_nop 7
	s_nop 1
	ds_read2_b64 v[10:13], v105 offset0:24 offset1:28
	s_waitcnt lgkmcnt(0)
	v_mfma_f32_16x16x16f16 v[6:9], v[10:11], v[2:3], v[6:9]
	s_barrier
	v_mfma_f32_16x16x16f16 v[2:5], v[12:13], v[4:5], v[6:9]
                                        ; implicit-def: $vgpr6
	s_nop 7
	s_nop 2
	v_cmp_nlt_f32_e64 s[90:91], |v2|, s26
	s_and_saveexec_b64 vcc, s[90:91]
	s_xor_b64 s[90:91], exec, vcc
	s_cbranch_execz .LBB25_76
; %bb.75:                               ;   in Loop: Header=BB25_16 Depth=1
	v_add_f32_e64 v6, |v2|, |v2|
	v_mul_f32_e32 v7, 0x3fb8aa3b, v6
	v_rndne_f32_e32 v8, v7
	v_sub_f32_e32 v9, v7, v8
	v_fma_f32 v7, v6, s25, -v7
	v_fmac_f32_e32 v7, 0x32a5705f, v6
	v_add_f32_e32 v7, v9, v7
	v_cvt_i32_f32_e32 v8, v8
	v_exp_f32_e32 v7, v7
	v_cmp_ngt_f32_e32 vcc, s88, v6
	v_ldexp_f32 v7, v7, v8
	v_cndmask_b32_e32 v7, 0, v7, vcc
	v_cmp_nlt_f32_e32 vcc, s61, v6
	v_cndmask_b32_e32 v6, v188, v7, vcc
	v_add_f32_e32 v6, 1.0, v6
	v_rcp_f32_e32 v6, v6
	v_fma_f32 v6, v6, -2.0, 1.0
.LBB25_76:                              ;   in Loop: Header=BB25_16 Depth=1
	s_andn2_saveexec_b64 s[90:91], s[90:91]
; %bb.77:                               ;   in Loop: Header=BB25_16 Depth=1
	v_mul_f32_e32 v6, v2, v2
	v_mov_b32_e32 v7, 0x3ca908c9
	v_fmac_f32_e32 v7, 0xbbbac73d, v6
	v_fma_f32 v7, v6, v7, v184
	v_fma_f32 v7, v6, v7, v185
	v_fma_f32 v7, v6, v7, v186
	v_mul_f32_e64 v7, |v2|, v7
	v_fma_f32 v6, v6, v7, |v2|
; %bb.78:                               ;   in Loop: Header=BB25_16 Depth=1
	s_or_b64 exec, exec, s[90:91]
	v_cmp_nlt_f32_e64 s[66:67], |v3|, s26
                                        ; implicit-def: $vgpr7
	s_and_saveexec_b64 s[90:91], s[66:67]
	s_xor_b64 s[90:91], exec, s[90:91]
	s_cbranch_execz .LBB25_80
; %bb.79:                               ;   in Loop: Header=BB25_16 Depth=1
	v_add_f32_e64 v7, |v3|, |v3|
	v_mul_f32_e32 v8, 0x3fb8aa3b, v7
	v_rndne_f32_e32 v9, v8
	v_sub_f32_e32 v10, v8, v9
	v_fma_f32 v8, v7, s25, -v8
	v_fmac_f32_e32 v8, 0x32a5705f, v7
	v_add_f32_e32 v8, v10, v8
	v_cvt_i32_f32_e32 v9, v9
	v_exp_f32_e32 v8, v8
	v_cmp_ngt_f32_e32 vcc, s88, v7
	v_ldexp_f32 v8, v8, v9
	v_cndmask_b32_e32 v8, 0, v8, vcc
	v_cmp_nlt_f32_e32 vcc, s61, v7
	v_cndmask_b32_e32 v7, v188, v8, vcc
	v_add_f32_e32 v7, 1.0, v7
	v_rcp_f32_e32 v7, v7
	v_fma_f32 v7, v7, -2.0, 1.0
.LBB25_80:                              ;   in Loop: Header=BB25_16 Depth=1
	s_andn2_saveexec_b64 s[90:91], s[90:91]
; %bb.81:                               ;   in Loop: Header=BB25_16 Depth=1
	v_mul_f32_e32 v7, v3, v3
	v_mov_b32_e32 v8, 0x3ca908c9
	v_fmac_f32_e32 v8, 0xbbbac73d, v7
	v_fma_f32 v8, v7, v8, v184
	v_fma_f32 v8, v7, v8, v185
	;; [unrolled: 1-line block ×3, first 2 shown]
	v_mul_f32_e64 v8, |v3|, v8
	v_fma_f32 v7, v7, v8, |v3|
; %bb.82:                               ;   in Loop: Header=BB25_16 Depth=1
	s_or_b64 exec, exec, s[90:91]
	v_cmp_nlt_f32_e64 s[66:67], |v4|, s26
                                        ; implicit-def: $vgpr8
	s_and_saveexec_b64 s[90:91], s[66:67]
	s_xor_b64 s[90:91], exec, s[90:91]
	s_cbranch_execz .LBB25_84
; %bb.83:                               ;   in Loop: Header=BB25_16 Depth=1
	v_add_f32_e64 v8, |v4|, |v4|
	v_mul_f32_e32 v9, 0x3fb8aa3b, v8
	v_rndne_f32_e32 v10, v9
	v_sub_f32_e32 v11, v9, v10
	v_fma_f32 v9, v8, s25, -v9
	v_fmac_f32_e32 v9, 0x32a5705f, v8
	v_add_f32_e32 v9, v11, v9
	v_cvt_i32_f32_e32 v10, v10
	v_exp_f32_e32 v9, v9
	v_cmp_ngt_f32_e32 vcc, s88, v8
	v_ldexp_f32 v9, v9, v10
	v_cndmask_b32_e32 v9, 0, v9, vcc
	v_cmp_nlt_f32_e32 vcc, s61, v8
	v_cndmask_b32_e32 v8, v188, v9, vcc
	v_add_f32_e32 v8, 1.0, v8
	v_rcp_f32_e32 v8, v8
	v_fma_f32 v8, v8, -2.0, 1.0
.LBB25_84:                              ;   in Loop: Header=BB25_16 Depth=1
	s_andn2_saveexec_b64 s[90:91], s[90:91]
; %bb.85:                               ;   in Loop: Header=BB25_16 Depth=1
	v_mul_f32_e32 v8, v4, v4
	v_mov_b32_e32 v9, 0x3ca908c9
	v_fmac_f32_e32 v9, 0xbbbac73d, v8
	v_fma_f32 v9, v8, v9, v184
	v_fma_f32 v9, v8, v9, v185
	v_fma_f32 v9, v8, v9, v186
	v_mul_f32_e64 v9, |v4|, v9
	v_fma_f32 v8, v8, v9, |v4|
; %bb.86:                               ;   in Loop: Header=BB25_16 Depth=1
	s_or_b64 exec, exec, s[90:91]
	v_cmp_nlt_f32_e64 s[66:67], |v5|, s26
                                        ; implicit-def: $vgpr9
	s_and_saveexec_b64 s[90:91], s[66:67]
	s_xor_b64 s[90:91], exec, s[90:91]
	s_cbranch_execz .LBB25_88
; %bb.87:                               ;   in Loop: Header=BB25_16 Depth=1
	v_add_f32_e64 v9, |v5|, |v5|
	v_mul_f32_e32 v10, 0x3fb8aa3b, v9
	v_rndne_f32_e32 v11, v10
	v_sub_f32_e32 v12, v10, v11
	v_fma_f32 v10, v9, s25, -v10
	v_fmac_f32_e32 v10, 0x32a5705f, v9
	v_add_f32_e32 v10, v12, v10
	v_cvt_i32_f32_e32 v11, v11
	v_exp_f32_e32 v10, v10
	v_cmp_ngt_f32_e32 vcc, s88, v9
	v_ldexp_f32 v10, v10, v11
	v_cndmask_b32_e32 v10, 0, v10, vcc
	v_cmp_nlt_f32_e32 vcc, s61, v9
	v_cndmask_b32_e32 v9, v188, v10, vcc
	v_add_f32_e32 v9, 1.0, v9
	v_rcp_f32_e32 v9, v9
	v_fma_f32 v9, v9, -2.0, 1.0
.LBB25_88:                              ;   in Loop: Header=BB25_16 Depth=1
	s_andn2_saveexec_b64 s[90:91], s[90:91]
; %bb.89:                               ;   in Loop: Header=BB25_16 Depth=1
	v_mul_f32_e32 v9, v5, v5
	v_mov_b32_e32 v10, 0x3ca908c9
	v_fmac_f32_e32 v10, 0xbbbac73d, v9
	v_fma_f32 v10, v9, v10, v184
	v_fma_f32 v10, v9, v10, v185
	;; [unrolled: 1-line block ×3, first 2 shown]
	v_mul_f32_e64 v10, |v5|, v10
	v_fma_f32 v9, v9, v10, |v5|
; %bb.90:                               ;   in Loop: Header=BB25_16 Depth=1
	s_or_b64 exec, exec, s[90:91]
	v_bfi_b32 v2, s89, v6, v2
	v_mul_f32_e32 v6, s73, v2
	v_bfi_b32 v2, s89, v7, v3
	v_mul_f32_e32 v7, s73, v2
	;; [unrolled: 2-line block ×4, first 2 shown]
	s_and_b64 vcc, exec, s[98:99]
	s_cbranch_vccz .LBB25_337
; %bb.91:                               ;   in Loop: Header=BB25_16 Depth=1
	v_add_u32_e32 v2, 0x4400, v87
	ds_read2_b32 v[2:3], v2 offset1:1
	s_waitcnt lgkmcnt(0)
	v_cvt_f32_f16_e32 v10, v2
	v_cvt_f32_f16_e32 v4, v3
	v_cvt_f32_f16_sdwa v5, v3 dst_sel:DWORD dst_unused:UNUSED_PAD src0_sel:WORD_1
	v_cvt_f32_f16_sdwa v11, v2 dst_sel:DWORD dst_unused:UNUSED_PAD src0_sel:WORD_1
	v_pk_fma_f32 v[4:5], v[52:53], v[4:5], v[8:9] op_sel_hi:[0,1,1]
	v_pk_fma_f32 v[2:3], v[52:53], v[10:11], v[6:7] op_sel_hi:[0,1,1]
	s_cbranch_execnz .LBB25_93
.LBB25_92:                              ;   in Loop: Header=BB25_16 Depth=1
	v_pk_mov_b32 v[2:3], v[6:7], v[6:7] op_sel:[0,1]
	v_pk_mov_b32 v[4:5], v[8:9], v[8:9] op_sel:[0,1]
.LBB25_93:                              ;   in Loop: Header=BB25_16 Depth=1
	s_mul_hi_i32 s41, s40, s42
	s_mul_i32 s40, s40, s42
	s_lshl_b64 s[40:41], s[40:41], 2
	s_add_u32 s40, s79, s40
	s_addc_u32 s41, s85, s41
	v_mov_b32_e32 v6, s41
	v_add_co_u32_e32 v7, vcc, s40, v34
	v_addc_co_u32_e32 v6, vcc, v6, v35, vcc
	v_add_co_u32_e32 v8, vcc, v7, v18
	v_addc_co_u32_e32 v6, vcc, 0, v6, vcc
	v_mov_b32_e32 v12, s9
	v_mov_b32_e32 v14, s8
	buffer_store_dword v163, off, s[0:3], 0
	buffer_store_dword v163, off, s[0:3], 0 offset:4
	buffer_store_dword v163, off, s[0:3], 0 offset:8
	;; [unrolled: 1-line block ×3, first 2 shown]
	v_cndmask_b32_e64 v7, v12, v6, s[30:31]
	v_cndmask_b32_e64 v6, v14, v8, s[30:31]
	flat_load_dwordx4 v[6:9], v[6:7]
	v_mov_b32_e32 v10, s41
	v_add_co_u32_e32 v11, vcc, s40, v36
	v_addc_co_u32_e32 v10, vcc, v10, v37, vcc
	v_add_co_u32_e32 v11, vcc, v11, v18
	v_addc_co_u32_e32 v13, vcc, 0, v10, vcc
	v_cndmask_b32_e64 v10, v14, v11, s[34:35]
	v_cndmask_b32_e64 v11, v12, v13, s[34:35]
	v_add_f32_e32 v15, 0x40051340, v2
	v_max_f32_e32 v16, v22, v22
	v_and_b32_e32 v19, 64, v162
	v_xor_b32_e32 v23, 32, v162
	v_max_f32_e32 v15, v16, v15
	v_add_u32_e32 v16, 64, v19
	v_xor_b32_e32 v24, 16, v162
	v_add_f32_e32 v17, 0x40051340, v3
	v_cmp_gt_u32_e64 s[30:31], s77, v180
	v_add_f32_e32 v20, 0x40051340, v4
	v_cmp_gt_u32_e64 s[34:35], s77, v181
	v_add_f32_e32 v21, 0x40051340, v5
	v_cndmask_b32_e64 v5, v5, v5, s[30:31]
	v_add_u32_e32 v25, v107, v108
	v_add_u32_e32 v53, v107, v109
	s_cmp_eq_u64 s[80:81], 0
	s_waitcnt vmcnt(0) lgkmcnt(0)
	ds_write_b128 v86, v[6:9]
	flat_load_dwordx4 v[6:9], v[10:11]
	v_mov_b32_e32 v10, s41
	v_add_co_u32_e32 v11, vcc, s40, v38
	v_addc_co_u32_e32 v10, vcc, v10, v39, vcc
	v_add_co_u32_e32 v11, vcc, v11, v18
	v_addc_co_u32_e32 v13, vcc, 0, v10, vcc
	v_cndmask_b32_e64 v10, v14, v11, s[36:37]
	v_cndmask_b32_e64 v11, v12, v13, s[36:37]
	v_cmp_gt_u32_e64 s[36:37], s77, v106
	v_cmp_lt_i32_e32 vcc, v23, v16
	v_cndmask_b32_e64 v15, v22, v15, s[36:37]
	v_cndmask_b32_e32 v19, v162, v23, vcc
	v_cmp_lt_i32_e32 vcc, v24, v16
	v_cndmask_b32_e32 v16, v162, v24, vcc
	v_max_f32_e32 v24, v15, v15
	v_lshlrev_b32_e32 v23, 2, v19
	v_lshlrev_b32_e32 v19, 2, v16
	v_max_f32_e32 v16, v24, v17
	v_cndmask_b32_e64 v15, v15, v16, s[30:31]
	v_cndmask_b32_e64 v16, v4, v4, s[30:31]
	v_max_f32_e32 v4, v15, v15
	v_max_f32_e32 v4, v4, v20
	v_cndmask_b32_e64 v4, v15, v4, s[34:35]
	v_max_f32_e32 v15, v4, v4
	v_max_f32_e32 v15, v15, v21
	v_cmp_gt_u32_e32 vcc, s77, v182
	v_cndmask_b32_e32 v4, v4, v15, vcc
	ds_bpermute_b32 v15, v23, v4
	v_mov_b32_e32 v17, s41
	v_add_co_u32_e64 v20, s[40:41], s40, v40
	v_addc_co_u32_e64 v17, s[40:41], v17, v41, s[40:41]
	v_max_f32_e32 v4, v4, v4
	s_waitcnt lgkmcnt(0)
	v_max_f32_e32 v15, v15, v15
	v_max_f32_e32 v4, v4, v15
	v_add_co_u32_e64 v15, s[40:41], v20, v18
	v_addc_co_u32_e64 v17, s[40:41], 0, v17, s[40:41]
	v_cndmask_b32_e64 v14, v14, v15, s[28:29]
	v_cndmask_b32_e64 v15, v12, v17, s[28:29]
	ds_bpermute_b32 v21, v19, v4
	v_mov_b32_e32 v13, s95
	s_waitcnt lgkmcnt(0)
	v_max_f32_e32 v12, v21, v21
	v_max_f32_e32 v4, v4, v12
	v_sub_f32_e32 v2, v2, v4
	v_sub_f32_e32 v3, v3, v4
	v_mul_f32_e32 v17, 0x3fb8aa3b, v2
	v_sub_f32_e32 v12, v16, v4
	v_mul_f32_e32 v18, 0x3fb8aa3b, v3
	v_fma_f32 v24, v2, s25, -v17
	v_rndne_f32_e32 v54, v17
	v_sub_f32_e32 v5, v5, v4
	v_mul_f32_e32 v20, 0x3fb8aa3b, v12
	v_fma_f32 v55, v3, s25, -v18
	v_rndne_f32_e32 v56, v18
	v_fmac_f32_e32 v24, 0x32a5705f, v2
	v_sub_f32_e32 v17, v17, v54
	v_sub_f32_e32 v16, v22, v4
	v_mul_f32_e32 v21, 0x3fb8aa3b, v5
	v_fma_f32 v57, v12, s25, -v20
	v_rndne_f32_e32 v58, v20
	v_fmac_f32_e32 v55, 0x32a5705f, v3
	v_add_f32_e32 v17, v17, v24
	v_mul_f32_e32 v22, 0x3fb8aa3b, v16
	v_fma_f32 v59, v5, s25, -v21
	v_rndne_f32_e32 v60, v21
	v_cvt_i32_f32_e32 v54, v54
	v_fmac_f32_e32 v57, 0x32a5705f, v12
	v_exp_f32_e32 v17, v17
	v_fma_f32 v61, v16, s25, -v22
	v_rndne_f32_e32 v62, v22
	s_waitcnt vmcnt(0)
	ds_write_b128 v168, v[6:9]
	flat_load_dwordx4 v[6:9], v[10:11]
	v_fmac_f32_e32 v59, 0x32a5705f, v5
	v_sub_f32_e32 v21, v21, v60
	v_fmac_f32_e32 v61, 0x32a5705f, v16
	v_sub_f32_e32 v22, v22, v62
	v_add_f32_e32 v21, v21, v59
	v_add_f32_e32 v22, v22, v61
	v_exp_f32_e32 v21, v21
	v_exp_f32_e32 v22, v22
	v_ldexp_f32 v17, v17, v54
	v_cmp_ngt_f32_e64 s[28:29], s88, v2
	v_cndmask_b32_e64 v17, 0, v17, s[28:29]
	v_cmp_ngt_f32_e64 s[28:29], s88, v3
	v_mov_b32_e32 v11, s95
	v_mov_b32_e32 v10, s95
	s_waitcnt vmcnt(0) lgkmcnt(0)
	ds_write_b128 v170, v[6:9]
	flat_load_dwordx4 v[6:9], v[14:15]
	v_sub_f32_e32 v14, v18, v56
	v_sub_f32_e32 v18, v20, v58
	v_add_f32_e32 v14, v14, v55
	v_cvt_i32_f32_e32 v15, v56
	v_add_f32_e32 v18, v18, v57
	v_exp_f32_e32 v14, v14
	v_cvt_i32_f32_e32 v20, v58
	v_exp_f32_e32 v18, v18
	v_cvt_i32_f32_e32 v56, v60
	v_cvt_i32_f32_e32 v58, v62
	v_ldexp_f32 v14, v14, v15
	v_ldexp_f32 v15, v18, v20
	v_cndmask_b32_e64 v14, 0, v14, s[28:29]
	v_cmp_ngt_f32_e64 s[28:29], s88, v12
	v_ldexp_f32 v18, v21, v56
	v_cndmask_b32_e64 v15, 0, v15, s[28:29]
	v_cmp_ngt_f32_e64 s[28:29], s88, v5
	;; [unrolled: 3-line block ×3, first 2 shown]
	v_cndmask_b32_e64 v20, 0, v20, s[28:29]
	v_cmp_nlt_f32_e64 s[28:29], s61, v2
	v_cndmask_b32_e64 v2, v188, v17, s[28:29]
	v_cmp_nlt_f32_e64 s[28:29], s61, v3
	;; [unrolled: 2-line block ×5, first 2 shown]
	v_cndmask_b32_e64 v14, v188, v20, s[28:29]
	v_cmp_le_f32_e64 s[28:29], s27, v16
	v_cndmask_b32_e64 v18, 0, v14, s[28:29]
	v_cndmask_b32_e64 v2, 0, v2, s[36:37]
	;; [unrolled: 1-line block ×3, first 2 shown]
	v_cvt_f16_f32_e32 v22, v18
	v_add_f32_e32 v3, v3, v2
	v_cvt_f16_f32_e32 v14, v2
	v_cvt_f16_f32_e32 v11, v11
	v_cndmask_b32_e64 v2, v2, v3, s[30:31]
	v_add_f32_e32 v3, v2, v12
	v_cndmask_b32_e64 v10, v10, v12, s[34:35]
	v_cndmask_b32_e32 v13, v13, v5, vcc
	v_cndmask_b32_e64 v24, v2, v3, s[34:35]
	v_pk_mul_f16 v3, v22, v64 op_sel_hi:[0,1]
	v_cvt_f16_f32_e32 v15, v10
	v_cvt_f16_f32_e32 v16, v13
	v_pk_mul_f16 v13, v22, v51 op_sel_hi:[0,1]
	v_pk_mul_f16 v17, v22, v66 op_sel_hi:[0,1]
	;; [unrolled: 1-line block ×12, first 2 shown]
	v_pack_b32_f16 v2, v14, v11
	v_cvt_f32_f16_e32 v10, v3
	v_cvt_f32_f16_sdwa v11, v3 dst_sel:DWORD dst_unused:UNUSED_PAD src0_sel:WORD_1
	v_cvt_f32_f16_e32 v12, v13
	v_cvt_f32_f16_sdwa v13, v13 dst_sel:DWORD dst_unused:UNUSED_PAD src0_sel:WORD_1
	v_pk_mul_f16 v31, v22, v31 op_sel_hi:[0,1]
	v_pk_mul_f16 v27, v22, v27 op_sel_hi:[0,1]
	;; [unrolled: 1-line block ×3, first 2 shown]
	v_add_f32_e32 v5, v24, v5
	v_cndmask_b32_e32 v5, v24, v5, vcc
	v_fmac_f32_e32 v5, v1, v18
	ds_bpermute_b32 v18, v23, v5
	v_readlane_b32 s30, v219, 53
	v_readlane_b32 s31, v219, 54
	s_cselect_b64 s[28:29], -1, 0
	s_xor_b64 s[30:31], s[30:31], -1
	s_waitcnt lgkmcnt(0)
	v_add_f32_e32 v5, v5, v18
	s_or_b64 s[28:29], s[30:31], s[28:29]
	s_waitcnt vmcnt(0)
	ds_write_b128 v172, v[6:9]
	s_waitcnt lgkmcnt(0)
	s_barrier
	ds_read_u16 v3, v104
	ds_read_u16 v14, v104 offset:32
	ds_read_u16 v54, v104 offset:64
	;; [unrolled: 1-line block ×23, first 2 shown]
	ds_read_u16 v8, v53
	ds_read_u16 v195, v53 offset:32
	ds_read_u16 v196, v53 offset:64
	;; [unrolled: 1-line block ×7, first 2 shown]
	s_waitcnt lgkmcnt(7)
	v_perm_b32 v9, v8, v7, s84
	v_perm_b32 v8, v6, v3, s84
	v_pack_b32_f16 v3, v15, v16
	v_cvt_f32_f16_e32 v6, v17
	v_cvt_f32_f16_sdwa v7, v17 dst_sel:DWORD dst_unused:UNUSED_PAD src0_sel:WORD_1
	s_waitcnt lgkmcnt(6)
	v_perm_b32 v17, v195, v76, s84
	v_perm_b32 v16, v56, v14, s84
	v_mfma_f32_16x16x16f16 v[10:13], v[8:9], v[2:3], v[10:13]
	v_cvt_f32_f16_e32 v8, v20
	v_cvt_f32_f16_sdwa v9, v20 dst_sel:DWORD dst_unused:UNUSED_PAD src0_sel:WORD_1
	v_cvt_f32_f16_e32 v14, v21
	v_cvt_f32_f16_sdwa v15, v21 dst_sel:DWORD dst_unused:UNUSED_PAD src0_sel:WORD_1
	s_waitcnt lgkmcnt(5)
	v_perm_b32 v21, v196, v78, s84
	v_perm_b32 v20, v60, v54, s84
	v_cvt_f32_f16_e32 v54, v55
	v_mfma_f32_16x16x16f16 v[6:9], v[16:17], v[2:3], v[6:9]
	v_cvt_f32_f16_e32 v16, v51
	v_cvt_f32_f16_sdwa v17, v51 dst_sel:DWORD dst_unused:UNUSED_PAD src0_sel:WORD_1
	v_cvt_f32_f16_sdwa v55, v55 dst_sel:DWORD dst_unused:UNUSED_PAD src0_sel:WORD_1
	v_cvt_f32_f16_e32 v56, v57
	v_cvt_f32_f16_sdwa v57, v57 dst_sel:DWORD dst_unused:UNUSED_PAD src0_sel:WORD_1
	v_cvt_f32_f16_e32 v60, v61
	v_cvt_f32_f16_sdwa v61, v61 dst_sel:DWORD dst_unused:UNUSED_PAD src0_sel:WORD_1
	v_mfma_f32_16x16x16f16 v[14:17], v[20:21], v[2:3], v[14:17]
	s_waitcnt lgkmcnt(4)
	v_perm_b32 v21, v197, v190, s84
	v_perm_b32 v20, v64, v58, s84
	v_cvt_f32_f16_e32 v58, v59
	v_cvt_f32_f16_sdwa v59, v59 dst_sel:DWORD dst_unused:UNUSED_PAD src0_sel:WORD_1
	v_cvt_f32_f16_e32 v64, v65
	v_cvt_f32_f16_sdwa v65, v65 dst_sel:DWORD dst_unused:UNUSED_PAD src0_sel:WORD_1
	v_cvt_f32_f16_e32 v190, v27
	v_mfma_f32_16x16x16f16 v[54:57], v[20:21], v[2:3], v[54:57]
	s_waitcnt lgkmcnt(3)
	v_perm_b32 v21, v198, v191, s84
	v_perm_b32 v20, v68, v62, s84
	v_cvt_f32_f16_e32 v62, v63
	v_cvt_f32_f16_sdwa v63, v63 dst_sel:DWORD dst_unused:UNUSED_PAD src0_sel:WORD_1
	v_cvt_f32_f16_e32 v68, v31
	v_cvt_f32_f16_sdwa v191, v27 dst_sel:DWORD dst_unused:UNUSED_PAD src0_sel:WORD_1
	v_cvt_f16_f32_e32 v1, v10
	v_mfma_f32_16x16x16f16 v[58:61], v[20:21], v[2:3], v[58:61]
	s_waitcnt lgkmcnt(2)
	v_perm_b32 v21, v199, v192, s84
	v_perm_b32 v20, v69, v66, s84
	v_cvt_f32_f16_e32 v66, v67
	v_cvt_f32_f16_sdwa v67, v67 dst_sel:DWORD dst_unused:UNUSED_PAD src0_sel:WORD_1
	v_cvt_f32_f16_sdwa v69, v31 dst_sel:DWORD dst_unused:UNUSED_PAD src0_sel:WORD_1
	v_cvt_f32_f16_e32 v192, v22
	v_cvt_f16_f32_e32 v10, v13
	v_mfma_f32_16x16x16f16 v[62:65], v[20:21], v[2:3], v[62:65]
	s_waitcnt lgkmcnt(1)
	v_perm_b32 v21, v200, v193, s84
	v_perm_b32 v20, v74, v70, s84
	v_cvt_f32_f16_sdwa v193, v22 dst_sel:DWORD dst_unused:UNUSED_PAD src0_sel:WORD_1
	v_cvt_f16_f32_e32 v8, v8
	v_cvt_f16_f32_e32 v9, v9
	;; [unrolled: 1-line block ×4, first 2 shown]
	v_mfma_f32_16x16x16f16 v[66:69], v[20:21], v[2:3], v[66:69]
	s_waitcnt lgkmcnt(0)
	v_perm_b32 v21, v53, v194, s84
	v_perm_b32 v20, v25, v72, s84
	v_cvt_f16_f32_e32 v13, v16
	v_cvt_f16_f32_e32 v16, v55
	;; [unrolled: 1-line block ×5, first 2 shown]
	v_mfma_f32_16x16x16f16 v[190:193], v[20:21], v[2:3], v[190:193]
	v_cvt_f16_f32_e32 v2, v11
	v_cvt_f16_f32_e32 v3, v12
	;; [unrolled: 1-line block ×6, first 2 shown]
	v_pack_b32_f16 v2, v1, v2
	v_pack_b32_f16 v1, v3, v10
	;; [unrolled: 1-line block ×5, first 2 shown]
	ds_bpermute_b32 v20, v19, v5
	v_cvt_f16_f32_e32 v14, v17
	v_cvt_f16_f32_e32 v15, v54
	;; [unrolled: 1-line block ×15, first 2 shown]
	v_pack_b32_f16 v6, v6, v7
	v_pack_b32_f16 v7, v13, v14
	;; [unrolled: 1-line block ×11, first 2 shown]
	s_waitcnt lgkmcnt(0)
	v_add_f32_e32 v5, v5, v20
	s_barrier
	s_and_saveexec_b64 s[30:31], s[28:29]
	s_xor_b64 s[28:29], exec, s[30:31]
	s_andn2_saveexec_b64 s[28:29], s[28:29]
	s_cbranch_execz .LBB25_95
; %bb.94:                               ;   in Loop: Header=BB25_16 Depth=1
	global_load_dword v21, v163, s[80:81]
	v_max_f32_e32 v22, v4, v4
	s_waitcnt vmcnt(0)
	v_max_f32_e32 v20, v21, v21
	v_max_f32_e32 v20, v22, v20
	v_sub_f32_e32 v4, v4, v20
	v_mul_f32_e32 v22, 0x3fb8aa3b, v4
	v_fma_f32 v24, v4, s25, -v22
	v_rndne_f32_e32 v25, v22
	v_fmac_f32_e32 v24, 0x32a5705f, v4
	v_sub_f32_e32 v22, v22, v25
	v_add_f32_e32 v22, v22, v24
	v_exp_f32_e32 v22, v22
	v_cvt_i32_f32_e32 v24, v25
	v_cmp_ngt_f32_e32 vcc, s88, v4
	v_sub_f32_e32 v21, v21, v20
	v_ldexp_f32 v22, v22, v24
	v_cndmask_b32_e32 v22, 0, v22, vcc
	v_cmp_nlt_f32_e32 vcc, s61, v4
	v_cndmask_b32_e32 v22, v188, v22, vcc
	v_cmp_le_f32_e32 vcc, s27, v4
	v_cndmask_b32_e32 v4, 0, v22, vcc
	v_cvt_f16_f32_e32 v22, v4
	v_cmp_ngt_f32_e32 vcc, s88, v21
	v_pk_mul_f16 v2, v22, v2 op_sel_hi:[0,1]
	v_pk_mul_f16 v1, v22, v1 op_sel_hi:[0,1]
	;; [unrolled: 1-line block ×16, first 2 shown]
	v_mul_f32_e32 v22, 0x3fb8aa3b, v21
	v_fma_f32 v24, v21, s25, -v22
	v_rndne_f32_e32 v25, v22
	v_fmac_f32_e32 v24, 0x32a5705f, v21
	v_sub_f32_e32 v22, v22, v25
	v_add_f32_e32 v22, v22, v24
	v_exp_f32_e32 v22, v22
	v_cvt_i32_f32_e32 v24, v25
	v_ldexp_f32 v22, v22, v24
	v_cndmask_b32_e32 v22, 0, v22, vcc
	v_cmp_nlt_f32_e32 vcc, s61, v21
	v_cndmask_b32_e32 v21, v188, v22, vcc
	v_fmac_f32_e32 v21, v5, v4
	v_pk_mov_b32 v[4:5], v[20:21], v[20:21] op_sel:[0,1]
.LBB25_95:                              ;   in Loop: Header=BB25_16 Depth=1
	s_or_b64 exec, exec, s[28:29]
	s_mov_b64 s[28:29], exec
	v_readlane_b32 s30, v219, 57
	v_readlane_b32 s31, v219, 58
	s_and_b64 s[30:31], s[28:29], s[30:31]
	s_mov_b64 exec, s[30:31]
	s_cbranch_execz .LBB25_97
; %bb.96:                               ;   in Loop: Header=BB25_16 Depth=1
	v_add_u32_e32 v20, 0, v111
	ds_write2_b32 v20, v4, v5 offset0:64 offset1:65
.LBB25_97:                              ;   in Loop: Header=BB25_16 Depth=1
	s_or_b64 exec, exec, s[28:29]
	s_waitcnt lgkmcnt(0)
	s_barrier
	s_mov_b64 s[28:29], exec
	v_readlane_b32 s30, v219, 55
	v_readlane_b32 s31, v219, 56
	s_and_b64 s[30:31], s[28:29], s[30:31]
	s_xor_b64 s[28:29], s[30:31], s[28:29]
	s_mov_b64 exec, s[30:31]
	s_cbranch_execz .LBB25_99
; %bb.98:                               ;   in Loop: Header=BB25_16 Depth=1
	s_barrier
	s_waitcnt lgkmcnt(0)
                                        ; implicit-def: $vgpr23
                                        ; implicit-def: $vgpr19
.LBB25_99:                              ;   in Loop: Header=BB25_16 Depth=1
	s_andn2_saveexec_b64 s[28:29], s[28:29]
	s_cbranch_execz .LBB25_103
; %bb.100:                              ;   in Loop: Header=BB25_16 Depth=1
	v_add_u32_e32 v5, 0, v111
	ds_read_b64 v[20:21], v5 offset:256
	s_waitcnt lgkmcnt(0)
	s_barrier
	ds_bpermute_b32 v4, v23, v20
	v_max_f32_e32 v22, v20, v20
	s_waitcnt lgkmcnt(0)
	v_max_f32_e32 v4, v4, v4
	v_max_f32_e32 v4, v22, v4
	ds_bpermute_b32 v22, v19, v4
	s_waitcnt lgkmcnt(0)
	v_max_f32_e32 v22, v22, v22
	v_max_f32_e32 v4, v4, v22
	v_sub_f32_e32 v20, v20, v4
	v_mul_f32_e32 v22, 0x3fb8aa3b, v20
	v_fma_f32 v24, v20, s25, -v22
	v_rndne_f32_e32 v25, v22
	v_fmac_f32_e32 v24, 0x32a5705f, v20
	v_sub_f32_e32 v22, v22, v25
	v_add_f32_e32 v22, v22, v24
	v_cvt_i32_f32_e32 v25, v25
	v_exp_f32_e32 v22, v22
	v_cmp_ngt_f32_e32 vcc, s88, v20
	v_ldexp_f32 v22, v22, v25
	v_cndmask_b32_e32 v22, 0, v22, vcc
	v_cmp_nlt_f32_e32 vcc, s61, v20
	v_cndmask_b32_e32 v20, v188, v22, vcc
	v_mul_f32_e32 v22, v21, v20
	ds_bpermute_b32 v22, v23, v22
	s_waitcnt lgkmcnt(0)
	v_fmac_f32_e32 v22, v21, v20
	ds_bpermute_b32 v19, v19, v22
	s_waitcnt lgkmcnt(0)
	v_add_f32_e32 v21, v22, v19
	ds_write_b64 v5, v[20:21] offset:256
	s_mov_b64 s[30:31], exec
	v_readlane_b32 s34, v219, 57
	v_readlane_b32 s35, v219, 58
	s_and_b64 s[34:35], s[30:31], s[34:35]
	s_mov_b64 exec, s[34:35]
	s_cbranch_execz .LBB25_102
; %bb.101:                              ;   in Loop: Header=BB25_16 Depth=1
	v_mov_b32_e32 v5, v21
	global_store_dwordx2 v[32:33], v[4:5], off
.LBB25_102:                             ;   in Loop: Header=BB25_16 Depth=1
	s_or_b64 exec, exec, s[30:31]
.LBB25_103:                             ;   in Loop: Header=BB25_16 Depth=1
	s_or_b64 exec, exec, s[28:29]
	ds_write2_b32 v112, v2, v1 offset1:1
	ds_write2_b32 v112, v6, v3 offset0:8 offset1:9
	ds_write2_b32 v112, v8, v7 offset0:16 offset1:17
	;; [unrolled: 1-line block ×7, first 2 shown]
	s_waitcnt lgkmcnt(0)
	s_barrier
	s_mov_b64 s[28:29], exec
	v_readlane_b32 s30, v219, 53
	v_readlane_b32 s31, v219, 54
	s_and_b64 s[30:31], s[28:29], s[30:31]
	s_mov_b64 exec, s[30:31]
	s_cbranch_execz .LBB25_181
; %bb.104:                              ;   in Loop: Header=BB25_16 Depth=1
	v_add_u32_e32 v1, s76, v88
	v_cmp_gt_i32_e32 vcc, s60, v1
	v_mov_b32_e32 v2, 0x47
	s_and_saveexec_b64 s[30:31], vcc
	s_cbranch_execz .LBB25_106
; %bb.105:                              ;   in Loop: Header=BB25_16 Depth=1
	v_add_u32_e32 v6, 0, v114
	ds_read2st64_b32 v[2:3], v6 offset0:1 offset1:18
	ds_read2st64_b32 v[4:5], v115 offset1:17
	ds_read2st64_b32 v[6:7], v6 offset0:35 offset1:52
	ds_read2st64_b32 v[8:9], v115 offset0:34 offset1:51
	v_readlane_b32 s34, v219, 43
	v_mad_u64_u32 v[10:11], s[34:35], s34, v1, v[26:27]
	s_waitcnt lgkmcnt(2)
	v_cvt_f32_f16_sdwa v13, v4 dst_sel:DWORD dst_unused:UNUSED_PAD src0_sel:WORD_1
	v_cvt_f32_f16_e32 v12, v4
	v_cvt_f32_f16_sdwa v15, v5 dst_sel:DWORD dst_unused:UNUSED_PAD src0_sel:WORD_1
	v_cvt_f32_f16_e32 v14, v5
	s_waitcnt lgkmcnt(0)
	v_cvt_f32_f16_sdwa v5, v8 dst_sel:DWORD dst_unused:UNUSED_PAD src0_sel:WORD_1
	v_cvt_f32_f16_e32 v4, v8
	v_pk_fma_f32 v[12:13], v[2:3], v[12:13], 0 op_sel_hi:[0,1,0]
	v_mov_b32_e32 v2, v3
	v_pk_fma_f32 v[2:3], v[2:3], v[14:15], v[12:13] op_sel_hi:[0,1,1]
	v_ashrrev_i32_e32 v11, 31, v10
	v_pk_fma_f32 v[2:3], v[6:7], v[4:5], v[2:3] op_sel_hi:[0,1,1]
	v_cvt_f32_f16_sdwa v5, v9 dst_sel:DWORD dst_unused:UNUSED_PAD src0_sel:WORD_1
	v_cvt_f32_f16_e32 v4, v9
	v_lshlrev_b64 v[10:11], 3, v[10:11]
	v_readlane_b32 s34, v218, 0
	v_add_co_u32_e32 v10, vcc, s34, v10
	v_readlane_b32 s34, v218, 1
	v_mov_b32_e32 v1, s34
	v_mov_b32_e32 v6, v7
	v_addc_co_u32_e32 v11, vcc, v1, v11, vcc
	v_pk_fma_f32 v[2:3], v[6:7], v[4:5], v[2:3] op_sel_hi:[0,1,1]
	global_store_dwordx2 v[10:11], v[2:3], off
	v_mov_b32_e32 v2, 0
.LBB25_106:                             ;   in Loop: Header=BB25_16 Depth=1
	s_or_b64 exec, exec, s[30:31]
	s_movk_i32 s30, 0x47
	v_cmp_gt_i32_e32 vcc, s30, v2
	s_mov_b64 s[30:31], -1
	s_and_saveexec_b64 s[34:35], vcc
; %bb.107:                              ;   in Loop: Header=BB25_16 Depth=1
	v_cmp_eq_u32_e32 vcc, 0, v2
	s_orn2_b64 s[30:31], vcc, exec
; %bb.108:                              ;   in Loop: Header=BB25_16 Depth=1
	s_or_b64 exec, exec, s[34:35]
	s_and_b64 exec, exec, s[30:31]
	s_cbranch_execz .LBB25_181
; %bb.109:                              ;   in Loop: Header=BB25_16 Depth=1
	v_add_u32_e32 v1, s76, v89
	v_cmp_gt_i32_e32 vcc, s60, v1
	v_mov_b32_e32 v2, 0x47
	s_and_saveexec_b64 s[30:31], vcc
	s_cbranch_execz .LBB25_111
; %bb.110:                              ;   in Loop: Header=BB25_16 Depth=1
	v_add_u32_e32 v6, 0, v116
	ds_read2st64_b32 v[2:3], v6 offset0:1 offset1:18
	ds_read2st64_b32 v[4:5], v117 offset1:17
	ds_read2st64_b32 v[6:7], v6 offset0:35 offset1:52
	ds_read2st64_b32 v[8:9], v117 offset0:34 offset1:51
	v_readlane_b32 s34, v219, 43
	v_mad_u64_u32 v[10:11], s[34:35], s34, v1, v[26:27]
	s_waitcnt lgkmcnt(2)
	v_cvt_f32_f16_sdwa v13, v4 dst_sel:DWORD dst_unused:UNUSED_PAD src0_sel:WORD_1
	v_cvt_f32_f16_e32 v12, v4
	v_cvt_f32_f16_sdwa v15, v5 dst_sel:DWORD dst_unused:UNUSED_PAD src0_sel:WORD_1
	v_cvt_f32_f16_e32 v14, v5
	s_waitcnt lgkmcnt(0)
	v_cvt_f32_f16_sdwa v5, v8 dst_sel:DWORD dst_unused:UNUSED_PAD src0_sel:WORD_1
	v_cvt_f32_f16_e32 v4, v8
	v_pk_fma_f32 v[12:13], v[2:3], v[12:13], 0 op_sel_hi:[0,1,0]
	v_mov_b32_e32 v2, v3
	v_pk_fma_f32 v[2:3], v[2:3], v[14:15], v[12:13] op_sel_hi:[0,1,1]
	v_ashrrev_i32_e32 v11, 31, v10
	v_pk_fma_f32 v[2:3], v[6:7], v[4:5], v[2:3] op_sel_hi:[0,1,1]
	v_cvt_f32_f16_sdwa v5, v9 dst_sel:DWORD dst_unused:UNUSED_PAD src0_sel:WORD_1
	v_cvt_f32_f16_e32 v4, v9
	v_lshlrev_b64 v[10:11], 3, v[10:11]
	v_readlane_b32 s34, v218, 0
	v_add_co_u32_e32 v10, vcc, s34, v10
	v_readlane_b32 s34, v218, 1
	v_mov_b32_e32 v1, s34
	v_mov_b32_e32 v6, v7
	v_addc_co_u32_e32 v11, vcc, v1, v11, vcc
	v_pk_fma_f32 v[2:3], v[6:7], v[4:5], v[2:3] op_sel_hi:[0,1,1]
	global_store_dwordx2 v[10:11], v[2:3], off
	v_mov_b32_e32 v2, 0
.LBB25_111:                             ;   in Loop: Header=BB25_16 Depth=1
	s_or_b64 exec, exec, s[30:31]
	s_movk_i32 s30, 0x47
	v_cmp_gt_i32_e32 vcc, s30, v2
	s_mov_b64 s[30:31], -1
	s_and_saveexec_b64 s[34:35], vcc
; %bb.112:                              ;   in Loop: Header=BB25_16 Depth=1
	v_cmp_eq_u32_e32 vcc, 0, v2
	s_orn2_b64 s[30:31], vcc, exec
; %bb.113:                              ;   in Loop: Header=BB25_16 Depth=1
	s_or_b64 exec, exec, s[34:35]
	s_and_b64 exec, exec, s[30:31]
	;; [unrolled: 52-line block ×15, first 2 shown]
	s_cbranch_execz .LBB25_181
; %bb.179:                              ;   in Loop: Header=BB25_16 Depth=1
	v_add_u32_e32 v1, s76, v103
	v_cmp_gt_i32_e32 vcc, s60, v1
	s_and_b64 exec, exec, vcc
	s_cbranch_execz .LBB25_181
; %bb.180:                              ;   in Loop: Header=BB25_16 Depth=1
	v_add_u32_e32 v6, 0, v144
	ds_read2st64_b32 v[2:3], v6 offset0:1 offset1:18
	ds_read2st64_b32 v[4:5], v145 offset1:17
	ds_read2st64_b32 v[6:7], v6 offset0:35 offset1:52
	ds_read2st64_b32 v[8:9], v145 offset0:34 offset1:51
	v_readlane_b32 s30, v219, 43
	v_mad_u64_u32 v[10:11], s[30:31], s30, v1, v[26:27]
	s_waitcnt lgkmcnt(2)
	v_cvt_f32_f16_sdwa v13, v4 dst_sel:DWORD dst_unused:UNUSED_PAD src0_sel:WORD_1
	v_cvt_f32_f16_e32 v12, v4
	v_cvt_f32_f16_sdwa v15, v5 dst_sel:DWORD dst_unused:UNUSED_PAD src0_sel:WORD_1
	v_cvt_f32_f16_e32 v14, v5
	s_waitcnt lgkmcnt(0)
	v_cvt_f32_f16_sdwa v5, v8 dst_sel:DWORD dst_unused:UNUSED_PAD src0_sel:WORD_1
	v_cvt_f32_f16_e32 v4, v8
	v_pk_fma_f32 v[12:13], v[2:3], v[12:13], 0 op_sel_hi:[0,1,0]
	v_mov_b32_e32 v2, v3
	v_pk_fma_f32 v[2:3], v[2:3], v[14:15], v[12:13] op_sel_hi:[0,1,1]
	v_ashrrev_i32_e32 v11, 31, v10
	v_pk_fma_f32 v[2:3], v[6:7], v[4:5], v[2:3] op_sel_hi:[0,1,1]
	v_cvt_f32_f16_sdwa v5, v9 dst_sel:DWORD dst_unused:UNUSED_PAD src0_sel:WORD_1
	v_cvt_f32_f16_e32 v4, v9
	v_lshlrev_b64 v[10:11], 3, v[10:11]
	v_readlane_b32 s30, v218, 0
	v_add_co_u32_e32 v10, vcc, s30, v10
	v_readlane_b32 s30, v218, 1
	v_mov_b32_e32 v1, s30
	v_mov_b32_e32 v6, v7
	v_addc_co_u32_e32 v11, vcc, v1, v11, vcc
	v_pk_fma_f32 v[2:3], v[6:7], v[4:5], v[2:3] op_sel_hi:[0,1,1]
	global_store_dwordx2 v[10:11], v[2:3], off
.LBB25_181:                             ;   in Loop: Header=BB25_16 Depth=1
	s_or_b64 exec, exec, s[28:29]
	s_barrier
	s_branch .LBB25_15
.LBB25_182:                             ;   in Loop: Header=BB25_16 Depth=1
	s_lshl_b32 s98, s33, 4
	v_add_u32_e32 v206, s98, v73
	v_cmp_le_i32_e32 vcc, s60, v206
	s_and_saveexec_b64 s[28:29], vcc
	s_xor_b64 s[28:29], exec, s[28:29]
	s_cbranch_execz .LBB25_184
; %bb.183:                              ;   in Loop: Header=BB25_16 Depth=1
	ds_write_b32 v113, v163
.LBB25_184:                             ;   in Loop: Header=BB25_16 Depth=1
	s_andn2_saveexec_b64 s[28:29], s[28:29]
	s_cbranch_execz .LBB25_186
; %bb.185:                              ;   in Loop: Header=BB25_16 Depth=1
	v_readlane_b32 s30, v219, 18
	v_mad_u64_u32 v[2:3], s[30:31], v206, s30, v[26:27]
	v_ashrrev_i32_e32 v3, 31, v2
	v_lshlrev_b64 v[2:3], 3, v[2:3]
	v_mov_b32_e32 v1, s82
	v_add_co_u32_e32 v2, vcc, s78, v2
	v_addc_co_u32_e32 v3, vcc, v1, v3, vcc
	global_load_dwordx2 v[2:3], v[2:3], off
	s_waitcnt vmcnt(0)
	v_cvt_f16_f32_e32 v1, v2
	v_cvt_f16_f32_e32 v2, v3
	v_pack_b32_f16 v1, v1, v2
	v_pk_mul_f16 v1, v79, v1
	ds_write_b32 v113, v1
.LBB25_186:                             ;   in Loop: Header=BB25_16 Depth=1
	s_or_b64 exec, exec, s[28:29]
	v_add_u32_e32 v207, s98, v82
	v_cmp_le_i32_e32 vcc, s60, v207
	s_and_saveexec_b64 s[28:29], vcc
	s_xor_b64 s[28:29], exec, s[28:29]
	s_cbranch_execz .LBB25_188
; %bb.187:                              ;   in Loop: Header=BB25_16 Depth=1
	ds_write_b32 v113, v163 offset:1088
.LBB25_188:                             ;   in Loop: Header=BB25_16 Depth=1
	s_andn2_saveexec_b64 s[28:29], s[28:29]
	s_cbranch_execz .LBB25_190
; %bb.189:                              ;   in Loop: Header=BB25_16 Depth=1
	v_readlane_b32 s30, v219, 18
	v_mad_u64_u32 v[2:3], s[30:31], v207, s30, v[26:27]
	v_ashrrev_i32_e32 v3, 31, v2
	v_lshlrev_b64 v[2:3], 3, v[2:3]
	v_mov_b32_e32 v1, s82
	v_add_co_u32_e32 v2, vcc, s78, v2
	v_addc_co_u32_e32 v3, vcc, v1, v3, vcc
	global_load_dwordx2 v[2:3], v[2:3], off
	s_waitcnt vmcnt(0)
	v_cvt_f16_f32_e32 v1, v2
	v_cvt_f16_f32_e32 v2, v3
	v_pack_b32_f16 v1, v1, v2
	v_pk_mul_f16 v1, v79, v1
	ds_write_b32 v113, v1 offset:1088
.LBB25_190:                             ;   in Loop: Header=BB25_16 Depth=1
	s_or_b64 exec, exec, s[28:29]
	v_add_u32_e32 v209, s98, v81
	v_cmp_le_i32_e32 vcc, s60, v209
	s_and_saveexec_b64 s[28:29], vcc
	s_xor_b64 s[28:29], exec, s[28:29]
	s_cbranch_execz .LBB25_192
; %bb.191:                              ;   in Loop: Header=BB25_16 Depth=1
	ds_write_b32 v113, v163 offset:2176
.LBB25_192:                             ;   in Loop: Header=BB25_16 Depth=1
	s_andn2_saveexec_b64 s[28:29], s[28:29]
	s_cbranch_execz .LBB25_194
; %bb.193:                              ;   in Loop: Header=BB25_16 Depth=1
	v_readlane_b32 s30, v219, 18
	v_mad_u64_u32 v[2:3], s[30:31], v209, s30, v[26:27]
	v_ashrrev_i32_e32 v3, 31, v2
	v_lshlrev_b64 v[2:3], 3, v[2:3]
	v_mov_b32_e32 v1, s82
	v_add_co_u32_e32 v2, vcc, s78, v2
	v_addc_co_u32_e32 v3, vcc, v1, v3, vcc
	global_load_dwordx2 v[2:3], v[2:3], off
	s_waitcnt vmcnt(0)
	v_cvt_f16_f32_e32 v1, v2
	v_cvt_f16_f32_e32 v2, v3
	v_pack_b32_f16 v1, v1, v2
	v_pk_mul_f16 v1, v79, v1
	ds_write_b32 v113, v1 offset:2176
.LBB25_194:                             ;   in Loop: Header=BB25_16 Depth=1
	;; [unrolled: 27-line block ×3, first 2 shown]
	s_or_b64 exec, exec, s[28:29]
	s_waitcnt lgkmcnt(0)
	s_barrier
	ds_read2_b64 v[14:17], v83 offset1:4
	ds_read2_b64 v[10:13], v83 offset0:8 offset1:12
	ds_read2_b64 v[6:9], v83 offset0:16 offset1:20
	ds_read2_b64 v[2:5], v83 offset0:24 offset1:28
	s_mov_b32 s33, 0
	s_cmp_lt_i32 s87, 2
	v_mov_b32_e32 v196, 0
	s_waitcnt lgkmcnt(0)
	s_barrier
	s_cbranch_scc1 .LBB25_225
; %bb.199:                              ;   in Loop: Header=BB25_16 Depth=1
	v_readlane_b32 s30, v219, 10
	v_mul_hi_u32 v18, s30, v207
	v_readlane_b32 s31, v219, 11
	v_add_u32_e32 v18, v207, v18
	v_lshrrev_b32_e32 v18, s31, v18
	v_mul_lo_u32 v18, v18, s60
	v_sub_u32_e32 v20, v207, v18
	v_mul_hi_u32 v18, s30, v209
	v_add_u32_e32 v18, v209, v18
	v_lshrrev_b32_e32 v18, s31, v18
	v_mul_lo_u32 v18, v18, s60
	v_sub_u32_e32 v21, v209, v18
	v_mul_hi_u32 v18, s30, v208
	v_add_u32_e32 v18, v208, v18
	v_lshrrev_b32_e32 v18, s31, v18
	v_mul_lo_u32 v18, v18, s60
	v_sub_u32_e32 v22, v208, v18
	v_and_b32_e32 v18, 64, v162
	v_add_u32_e32 v18, 64, v18
	v_xor_b32_e32 v19, 32, v162
	v_cmp_lt_i32_e32 vcc, v19, v18
	v_cndmask_b32_e32 v19, v162, v19, vcc
	v_mul_hi_u32 v1, s30, v206
	v_lshlrev_b32_e32 v210, 2, v19
	v_xor_b32_e32 v19, 16, v162
	v_add_u32_e32 v1, v206, v1
	v_cmp_lt_i32_e32 vcc, v19, v18
	v_lshrrev_b32_e32 v1, s31, v1
	v_cndmask_b32_e32 v18, v162, v19, vcc
	v_mul_lo_u32 v1, v1, s60
	v_lshlrev_b32_e32 v211, 2, v18
	v_mov_b32_e32 v19, s97
	v_add_co_u32_e32 v18, vcc, s96, v28
	v_readlane_b32 s30, v219, 61
	v_sub_u32_e32 v1, v206, v1
	v_addc_co_u32_e32 v19, vcc, 0, v19, vcc
	v_readlane_b32 s31, v219, 62
	s_mov_b32 s34, s30
	s_add_i32 s33, s87, -1
	v_mad_i64_i32 v[56:57], s[30:31], s34, v22, v[18:19]
	v_mad_i64_i32 v[58:59], s[30:31], s34, v21, v[18:19]
	;; [unrolled: 1-line block ×4, first 2 shown]
	s_cmp_lg_u64 s[96:97], 0
	v_readlane_b32 s30, v218, 2
	v_readlane_b32 s31, v218, 3
	s_cselect_b64 s[28:29], -1, 0
	s_add_u32 s30, s30, s31
	s_addc_u32 s22, s94, s22
	v_mov_b32_e32 v1, s22
	v_add_co_u32_e32 v64, vcc, s30, v146
	v_addc_co_u32_e32 v1, vcc, v147, v1, vcc
	v_mov_b32_e32 v18, s22
	v_add_co_u32_e32 v66, vcc, s30, v148
	v_addc_co_u32_e32 v27, vcc, v149, v18, vcc
	v_add_co_u32_e32 v68, vcc, s30, v150
	v_addc_co_u32_e32 v29, vcc, v151, v18, vcc
	v_readlane_b32 s22, v218, 4
	v_add_co_u32_e32 v70, vcc, s30, v152
	s_add_u32 s22, s22, s23
	v_addc_co_u32_e32 v31, vcc, v153, v18, vcc
	s_addc_u32 s23, s64, s65
	v_mov_b32_e32 v18, s23
	v_add_co_u32_e32 v72, vcc, s22, v154
	v_addc_co_u32_e32 v51, vcc, v155, v18, vcc
	v_add_co_u32_e32 v74, vcc, s22, v156
	v_addc_co_u32_e32 v65, vcc, v157, v18, vcc
	;; [unrolled: 2-line block ×3, first 2 shown]
	v_add_co_u32_e32 v78, vcc, s22, v160
	v_mov_b32_e32 v190, 0
	v_mov_b32_e32 v54, v52
	;; [unrolled: 1-line block ×3, first 2 shown]
	v_addc_co_u32_e32 v69, vcc, v161, v18, vcc
	v_mov_b32_e32 v212, 0
	v_mov_b32_e32 v213, 0xfeffffff
	s_mov_b32 s22, s33
	v_mov_b32_e32 v191, 0
	v_mov_b32_e32 v194, 0
	;; [unrolled: 1-line block ×15, first 2 shown]
	s_andn2_b64 vcc, exec, s[28:29]
	s_cbranch_vccnz .LBB25_203
.LBB25_200:                             ;   in Loop: Header=BB25_16 Depth=1
	v_mov_b32_e32 v18, 0
	v_mov_b32_e32 v19, 0
	;; [unrolled: 1-line block ×4, first 2 shown]
	s_and_saveexec_b64 s[30:31], s[4:5]
	s_cbranch_execz .LBB25_202
; %bb.201:                              ;   in Loop: Header=BB25_16 Depth=1
	flat_load_ushort v18, v[62:63]
	flat_load_ushort v19, v[60:61]
	;; [unrolled: 1-line block ×4, first 2 shown]
.LBB25_202:                             ;   in Loop: Header=BB25_16 Depth=1
	s_or_b64 exec, exec, s[30:31]
	s_waitcnt vmcnt(0) lgkmcnt(0)
	ds_write_b16 v84, v18 offset:17408
	ds_write_b16 v164, v19 offset:17408
	;; [unrolled: 1-line block ×4, first 2 shown]
.LBB25_203:                             ;   Parent Loop BB25_16 Depth=1
                                        ; =>  This Inner Loop Header: Depth=2
	v_add_co_u32_e32 v18, vcc, v72, v50
	v_addc_co_u32_e32 v19, vcc, 0, v51, vcc
	v_mov_b32_e32 v24, s9
	v_mov_b32_e32 v25, s8
	buffer_store_dword v163, off, s[0:3], 0
	buffer_store_dword v163, off, s[0:3], 0 offset:4
	buffer_store_dword v163, off, s[0:3], 0 offset:8
	;; [unrolled: 1-line block ×3, first 2 shown]
	v_cndmask_b32_e64 v19, v24, v19, s[6:7]
	v_cndmask_b32_e64 v18, v25, v18, s[6:7]
	flat_load_dwordx4 v[18:21], v[18:19]
	v_add_co_u32_e32 v22, vcc, v74, v50
	v_addc_co_u32_e32 v23, vcc, 0, v65, vcc
	v_cndmask_b32_e64 v23, v24, v23, s[38:39]
	v_cndmask_b32_e64 v22, v25, v22, s[38:39]
	s_waitcnt vmcnt(0) lgkmcnt(0)
	ds_write_b128 v86, v[18:21]
	flat_load_dwordx4 v[18:21], v[22:23]
	v_add_co_u32_e32 v22, vcc, v76, v50
	v_addc_co_u32_e32 v23, vcc, 0, v67, vcc
	v_cndmask_b32_e64 v23, v24, v23, s[10:11]
	v_cndmask_b32_e64 v22, v25, v22, s[10:11]
	s_waitcnt vmcnt(0) lgkmcnt(0)
	ds_write_b128 v168, v[18:21]
	;; [unrolled: 7-line block ×3, first 2 shown]
	flat_load_dwordx4 v[18:21], v[22:23]
	s_waitcnt vmcnt(0) lgkmcnt(0)
	ds_write_b128 v172, v[18:21]
	s_waitcnt lgkmcnt(0)
	s_barrier
	ds_read2_b64 v[18:21], v105 offset1:4
	s_waitcnt lgkmcnt(0)
	v_mfma_f32_16x16x16f16 v[22:25], v[18:19], v[14:15], 0
	v_mfma_f32_16x16x16f16 v[18:21], v[20:21], v[16:17], v[22:25]
	s_nop 7
	s_nop 1
	ds_read2_b64 v[22:25], v105 offset0:8 offset1:12
	s_waitcnt lgkmcnt(0)
	v_mfma_f32_16x16x16f16 v[18:21], v[22:23], v[10:11], v[18:21]
	v_mfma_f32_16x16x16f16 v[18:21], v[24:25], v[12:13], v[18:21]
	ds_read2_b64 v[22:25], v105 offset0:16 offset1:20
	s_waitcnt lgkmcnt(0)
	v_mfma_f32_16x16x16f16 v[18:21], v[22:23], v[6:7], v[18:21]
	v_mfma_f32_16x16x16f16 v[18:21], v[24:25], v[8:9], v[18:21]
	ds_read2_b64 v[22:25], v105 offset0:24 offset1:28
	s_waitcnt lgkmcnt(0)
	s_barrier
	v_mfma_f32_16x16x16f16 v[18:21], v[22:23], v[2:3], v[18:21]
                                        ; implicit-def: $vgpr22
	v_mfma_f32_16x16x16f16 v[18:21], v[24:25], v[4:5], v[18:21]
	s_nop 7
	s_nop 2
	v_cmp_nlt_f32_e64 s[30:31], |v18|, s26
	s_and_saveexec_b64 s[34:35], s[30:31]
	s_xor_b64 s[30:31], exec, s[34:35]
	s_cbranch_execz .LBB25_205
; %bb.204:                              ;   in Loop: Header=BB25_203 Depth=2
	v_add_f32_e64 v22, |v18|, |v18|
	v_mul_f32_e32 v23, 0x3fb8aa3b, v22
	v_rndne_f32_e32 v24, v23
	v_sub_f32_e32 v25, v23, v24
	v_fma_f32 v23, v22, s25, -v23
	v_fmac_f32_e32 v23, 0x32a5705f, v22
	v_add_f32_e32 v23, v25, v23
	v_cvt_i32_f32_e32 v24, v24
	v_exp_f32_e32 v23, v23
	v_cmp_ngt_f32_e32 vcc, s88, v22
	v_ldexp_f32 v23, v23, v24
	v_cndmask_b32_e32 v23, 0, v23, vcc
	v_cmp_nlt_f32_e32 vcc, s61, v22
	v_cndmask_b32_e32 v22, v188, v23, vcc
	v_add_f32_e32 v22, 1.0, v22
	v_rcp_f32_e32 v22, v22
	v_fma_f32 v22, v22, -2.0, 1.0
.LBB25_205:                             ;   in Loop: Header=BB25_203 Depth=2
	s_andn2_saveexec_b64 s[30:31], s[30:31]
; %bb.206:                              ;   in Loop: Header=BB25_203 Depth=2
	v_mul_f32_e32 v22, v18, v18
	v_mov_b32_e32 v23, 0x3ca908c9
	v_fmac_f32_e32 v23, 0xbbbac73d, v22
	v_fma_f32 v23, v22, v23, v184
	v_fma_f32 v23, v22, v23, v185
	;; [unrolled: 1-line block ×3, first 2 shown]
	v_mul_f32_e64 v23, |v18|, v23
	v_fma_f32 v22, v22, v23, |v18|
; %bb.207:                              ;   in Loop: Header=BB25_203 Depth=2
	s_or_b64 exec, exec, s[30:31]
	v_cmp_nlt_f32_e64 s[30:31], |v19|, s26
                                        ; implicit-def: $vgpr23
	s_and_saveexec_b64 s[34:35], s[30:31]
	s_xor_b64 s[30:31], exec, s[34:35]
	s_cbranch_execz .LBB25_209
; %bb.208:                              ;   in Loop: Header=BB25_203 Depth=2
	v_add_f32_e64 v23, |v19|, |v19|
	v_mul_f32_e32 v24, 0x3fb8aa3b, v23
	v_rndne_f32_e32 v25, v24
	v_sub_f32_e32 v53, v24, v25
	v_fma_f32 v24, v23, s25, -v24
	v_fmac_f32_e32 v24, 0x32a5705f, v23
	v_add_f32_e32 v24, v53, v24
	v_cvt_i32_f32_e32 v25, v25
	v_exp_f32_e32 v24, v24
	v_cmp_ngt_f32_e32 vcc, s88, v23
	v_ldexp_f32 v24, v24, v25
	v_cndmask_b32_e32 v24, 0, v24, vcc
	v_cmp_nlt_f32_e32 vcc, s61, v23
	v_cndmask_b32_e32 v23, v188, v24, vcc
	v_add_f32_e32 v23, 1.0, v23
	v_rcp_f32_e32 v23, v23
	v_fma_f32 v23, v23, -2.0, 1.0
.LBB25_209:                             ;   in Loop: Header=BB25_203 Depth=2
	s_andn2_saveexec_b64 s[30:31], s[30:31]
; %bb.210:                              ;   in Loop: Header=BB25_203 Depth=2
	v_mul_f32_e32 v23, v19, v19
	v_mov_b32_e32 v24, 0x3ca908c9
	v_fmac_f32_e32 v24, 0xbbbac73d, v23
	v_fma_f32 v24, v23, v24, v184
	v_fma_f32 v24, v23, v24, v185
	;; [unrolled: 1-line block ×3, first 2 shown]
	v_mul_f32_e64 v24, |v19|, v24
	v_fma_f32 v23, v23, v24, |v19|
; %bb.211:                              ;   in Loop: Header=BB25_203 Depth=2
	s_or_b64 exec, exec, s[30:31]
	v_cmp_nlt_f32_e64 s[30:31], |v20|, s26
                                        ; implicit-def: $vgpr24
	s_and_saveexec_b64 s[34:35], s[30:31]
	s_xor_b64 s[30:31], exec, s[34:35]
	s_cbranch_execz .LBB25_213
; %bb.212:                              ;   in Loop: Header=BB25_203 Depth=2
	v_add_f32_e64 v24, |v20|, |v20|
	v_mul_f32_e32 v25, 0x3fb8aa3b, v24
	v_rndne_f32_e32 v53, v25
	v_sub_f32_e32 v214, v25, v53
	v_fma_f32 v25, v24, s25, -v25
	v_fmac_f32_e32 v25, 0x32a5705f, v24
	v_add_f32_e32 v25, v214, v25
	v_cvt_i32_f32_e32 v53, v53
	v_exp_f32_e32 v25, v25
	v_cmp_ngt_f32_e32 vcc, s88, v24
	v_ldexp_f32 v25, v25, v53
	v_cndmask_b32_e32 v25, 0, v25, vcc
	v_cmp_nlt_f32_e32 vcc, s61, v24
	v_cndmask_b32_e32 v24, v188, v25, vcc
	v_add_f32_e32 v24, 1.0, v24
	v_rcp_f32_e32 v24, v24
	v_fma_f32 v24, v24, -2.0, 1.0
.LBB25_213:                             ;   in Loop: Header=BB25_203 Depth=2
	s_andn2_saveexec_b64 s[30:31], s[30:31]
; %bb.214:                              ;   in Loop: Header=BB25_203 Depth=2
	v_mul_f32_e32 v24, v20, v20
	v_mov_b32_e32 v25, 0x3ca908c9
	v_fmac_f32_e32 v25, 0xbbbac73d, v24
	v_fma_f32 v25, v24, v25, v184
	v_fma_f32 v25, v24, v25, v185
	;; [unrolled: 1-line block ×3, first 2 shown]
	v_mul_f32_e64 v25, |v20|, v25
	v_fma_f32 v24, v24, v25, |v20|
; %bb.215:                              ;   in Loop: Header=BB25_203 Depth=2
	s_or_b64 exec, exec, s[30:31]
	v_cmp_nlt_f32_e64 s[30:31], |v21|, s26
                                        ; implicit-def: $vgpr25
	s_and_saveexec_b64 s[34:35], s[30:31]
	s_xor_b64 s[30:31], exec, s[34:35]
	s_cbranch_execz .LBB25_217
; %bb.216:                              ;   in Loop: Header=BB25_203 Depth=2
	v_add_f32_e64 v25, |v21|, |v21|
	v_mul_f32_e32 v53, 0x3fb8aa3b, v25
	v_rndne_f32_e32 v214, v53
	v_sub_f32_e32 v215, v53, v214
	v_fma_f32 v53, v25, s25, -v53
	v_fmac_f32_e32 v53, 0x32a5705f, v25
	v_add_f32_e32 v53, v215, v53
	v_cvt_i32_f32_e32 v214, v214
	v_exp_f32_e32 v53, v53
	v_cmp_ngt_f32_e32 vcc, s88, v25
	v_ldexp_f32 v53, v53, v214
	v_cndmask_b32_e32 v53, 0, v53, vcc
	v_cmp_nlt_f32_e32 vcc, s61, v25
	v_cndmask_b32_e32 v25, v188, v53, vcc
	v_add_f32_e32 v25, 1.0, v25
	v_rcp_f32_e32 v25, v25
	v_fma_f32 v25, v25, -2.0, 1.0
.LBB25_217:                             ;   in Loop: Header=BB25_203 Depth=2
	s_andn2_saveexec_b64 s[30:31], s[30:31]
; %bb.218:                              ;   in Loop: Header=BB25_203 Depth=2
	v_mul_f32_e32 v25, v21, v21
	v_mov_b32_e32 v53, 0x3ca908c9
	v_fmac_f32_e32 v53, 0xbbbac73d, v25
	v_fma_f32 v53, v25, v53, v184
	v_fma_f32 v53, v25, v53, v185
	;; [unrolled: 1-line block ×3, first 2 shown]
	v_mul_f32_e64 v53, |v21|, v53
	v_fma_f32 v25, v25, v53, |v21|
; %bb.219:                              ;   in Loop: Header=BB25_203 Depth=2
	s_or_b64 exec, exec, s[30:31]
	v_bfi_b32 v18, s89, v22, v18
	v_mul_f32_e32 v22, s73, v18
	v_bfi_b32 v18, s89, v23, v19
	v_mul_f32_e32 v23, s73, v18
	;; [unrolled: 2-line block ×4, first 2 shown]
	s_and_b64 vcc, exec, s[28:29]
	s_cbranch_vccz .LBB25_224
; %bb.220:                              ;   in Loop: Header=BB25_203 Depth=2
	v_add_u32_e32 v18, 0x4400, v87
	ds_read2_b32 v[18:19], v18 offset1:1
	v_mov_b32_e32 v53, v52
	s_waitcnt lgkmcnt(0)
	v_cvt_f32_f16_e32 v214, v18
	v_cvt_f32_f16_e32 v20, v19
	v_cvt_f32_f16_sdwa v21, v19 dst_sel:DWORD dst_unused:UNUSED_PAD src0_sel:WORD_1
	v_cvt_f32_f16_sdwa v215, v18 dst_sel:DWORD dst_unused:UNUSED_PAD src0_sel:WORD_1
	v_pk_fma_f32 v[20:21], v[52:53], v[20:21], v[24:25]
	v_pk_fma_f32 v[18:19], v[54:55], v[214:215], v[22:23]
	s_cbranch_execnz .LBB25_222
.LBB25_221:                             ;   in Loop: Header=BB25_203 Depth=2
	v_pk_mov_b32 v[18:19], v[22:23], v[22:23] op_sel:[0,1]
	v_pk_mov_b32 v[20:21], v[24:25], v[24:25] op_sel:[0,1]
.LBB25_222:                             ;   in Loop: Header=BB25_203 Depth=2
	v_add_f32_e32 v22, 0x40051340, v18
	v_max_f32_e32 v23, v213, v213
	v_max_f32_e32 v22, v23, v22
	v_cndmask_b32_e64 v22, v213, v22, s[14:15]
	v_add_f32_e32 v23, 0x40051340, v19
	v_max_f32_e32 v24, v22, v22
	v_max_f32_e32 v23, v24, v23
	v_cndmask_b32_e64 v22, v22, v23, s[16:17]
	;; [unrolled: 4-line block ×4, first 2 shown]
	ds_bpermute_b32 v23, v210, v22
	v_max_f32_e32 v22, v22, v22
	v_cndmask_b32_e64 v20, v20, v20, s[16:17]
	v_cndmask_b32_e64 v21, v21, v21, s[16:17]
	buffer_store_dword v163, off, s[0:3], 0
	buffer_store_dword v163, off, s[0:3], 0 offset:4
	buffer_store_dword v163, off, s[0:3], 0 offset:8
	;; [unrolled: 1-line block ×3, first 2 shown]
	s_waitcnt lgkmcnt(0)
	v_max_f32_e32 v23, v23, v23
	v_max_f32_e32 v22, v22, v23
	ds_bpermute_b32 v23, v211, v22
	v_add_u32_e32 v217, v107, v109
	v_add_u32_e32 v216, v107, v108
	s_add_i32 s22, s22, -1
	s_cmp_lg_u32 s22, 0
	s_waitcnt lgkmcnt(0)
	v_max_f32_e32 v23, v23, v23
	v_max_f32_e32 v22, v22, v23
	v_sub_f32_e32 v18, v18, v22
	v_mul_f32_e32 v23, 0x3fb8aa3b, v18
	v_fma_f32 v24, v18, s25, -v23
	v_rndne_f32_e32 v25, v23
	v_fmac_f32_e32 v24, 0x32a5705f, v18
	v_sub_f32_e32 v23, v23, v25
	v_add_f32_e32 v23, v23, v24
	v_exp_f32_e32 v23, v23
	v_cvt_i32_f32_e32 v24, v25
	v_cmp_ngt_f32_e32 vcc, s88, v18
	v_sub_f32_e32 v19, v19, v22
	v_sub_f32_e32 v20, v20, v22
	v_ldexp_f32 v23, v23, v24
	v_cndmask_b32_e32 v23, 0, v23, vcc
	v_cmp_nlt_f32_e32 vcc, s61, v18
	v_cndmask_b32_e32 v18, v188, v23, vcc
	v_mul_f32_e32 v23, 0x3fb8aa3b, v19
	v_fma_f32 v24, v19, s25, -v23
	v_rndne_f32_e32 v25, v23
	v_fmac_f32_e32 v24, 0x32a5705f, v19
	v_sub_f32_e32 v23, v23, v25
	v_add_f32_e32 v23, v23, v24
	v_exp_f32_e32 v23, v23
	v_cvt_i32_f32_e32 v24, v25
	v_cmp_ngt_f32_e32 vcc, s88, v19
	v_cndmask_b32_e64 v18, 0, v18, s[14:15]
	v_ldexp_f32 v23, v23, v24
	v_cndmask_b32_e32 v23, 0, v23, vcc
	v_cmp_nlt_f32_e32 vcc, s61, v19
	v_cndmask_b32_e32 v23, v188, v23, vcc
	v_mov_b32_e32 v19, s95
	v_add_f32_e32 v24, v23, v18
	v_cndmask_b32_e64 v214, v19, v23, s[16:17]
	v_mul_f32_e32 v23, 0x3fb8aa3b, v20
	v_cndmask_b32_e64 v19, v18, v24, s[16:17]
	v_fma_f32 v24, v20, s25, -v23
	v_rndne_f32_e32 v25, v23
	v_fmac_f32_e32 v24, 0x32a5705f, v20
	v_sub_f32_e32 v23, v23, v25
	v_add_f32_e32 v23, v23, v24
	v_exp_f32_e32 v23, v23
	v_cvt_i32_f32_e32 v24, v25
	v_cmp_ngt_f32_e32 vcc, s88, v20
	v_cvt_f16_f32_e32 v18, v18
	v_ldexp_f32 v23, v23, v24
	v_cndmask_b32_e32 v23, 0, v23, vcc
	v_cmp_nlt_f32_e32 vcc, s61, v20
	v_cndmask_b32_e32 v23, v188, v23, vcc
	v_add_f32_e32 v24, v19, v23
	v_mov_b32_e32 v20, s95
	v_cndmask_b32_e64 v215, v20, v23, s[18:19]
	v_cndmask_b32_e64 v20, v19, v24, s[18:19]
	v_sub_f32_e32 v19, v21, v22
	v_mul_f32_e32 v21, 0x3fb8aa3b, v19
	v_fma_f32 v23, v19, s25, -v21
	v_rndne_f32_e32 v24, v21
	v_fmac_f32_e32 v23, 0x32a5705f, v19
	v_sub_f32_e32 v21, v21, v24
	v_add_f32_e32 v21, v21, v23
	v_exp_f32_e32 v21, v21
	v_cvt_i32_f32_e32 v23, v24
	v_cmp_ngt_f32_e32 vcc, s88, v19
	v_ldexp_f32 v21, v21, v23
	v_cndmask_b32_e32 v21, 0, v21, vcc
	v_cmp_nlt_f32_e32 vcc, s61, v19
	v_cndmask_b32_e32 v21, v188, v21, vcc
	v_mov_b32_e32 v19, s95
	v_add_f32_e32 v23, v20, v21
	v_cndmask_b32_e64 v19, v19, v21, s[20:21]
	v_sub_f32_e32 v21, v213, v22
	v_cndmask_b32_e64 v20, v20, v23, s[20:21]
	v_mul_f32_e32 v23, 0x3fb8aa3b, v21
	v_fma_f32 v24, v21, s25, -v23
	v_rndne_f32_e32 v25, v23
	v_fmac_f32_e32 v24, 0x32a5705f, v21
	v_sub_f32_e32 v23, v23, v25
	v_add_f32_e32 v23, v23, v24
	v_exp_f32_e32 v23, v23
	v_cvt_i32_f32_e32 v24, v25
	v_cmp_ngt_f32_e32 vcc, s88, v21
	v_cvt_f16_f32_e32 v19, v19
	v_ldexp_f32 v23, v23, v24
	v_cndmask_b32_e32 v23, 0, v23, vcc
	v_cmp_nlt_f32_e32 vcc, s61, v21
	v_cndmask_b32_e32 v23, v188, v23, vcc
	v_cmp_le_f32_e32 vcc, s27, v21
	v_cndmask_b32_e32 v21, 0, v23, vcc
	v_fmac_f32_e32 v20, v212, v21
	v_cvt_f16_f32_e32 v21, v21
	v_mov_b32_e32 v212, s8
	v_pk_mul_f16 v23, v21, v190 op_sel_hi:[0,1]
	v_cvt_f16_f32_e32 v190, v214
	v_pk_mul_f16 v197, v21, v197 op_sel_hi:[0,1]
	v_pk_mul_f16 v196, v21, v196 op_sel_hi:[0,1]
	;; [unrolled: 1-line block ×3, first 2 shown]
	v_pack_b32_f16 v18, v18, v190
	v_cvt_f16_f32_e32 v190, v215
	v_pk_mul_f16 v198, v21, v198 op_sel_hi:[0,1]
	v_pk_mul_f16 v201, v21, v201 op_sel_hi:[0,1]
	;; [unrolled: 1-line block ×3, first 2 shown]
	v_pack_b32_f16 v19, v190, v19
	v_add_co_u32_e32 v190, vcc, v64, v50
	v_pk_mul_f16 v203, v21, v203 op_sel_hi:[0,1]
	v_pk_mul_f16 v202, v21, v202 op_sel_hi:[0,1]
	;; [unrolled: 1-line block ×9, first 2 shown]
	v_addc_co_u32_e32 v191, vcc, 0, v1, vcc
	v_mov_b32_e32 v194, s9
	v_cndmask_b32_e64 v191, v194, v191, s[6:7]
	v_cndmask_b32_e64 v190, v212, v190, s[6:7]
	flat_load_dwordx4 v[190:193], v[190:191]
	v_cvt_f32_f16_sdwa v215, v24 dst_sel:DWORD dst_unused:UNUSED_PAD src0_sel:WORD_1
	s_waitcnt vmcnt(0) lgkmcnt(0)
	ds_write_b128 v86, v[190:193]
	v_add_co_u32_e32 v190, vcc, v66, v50
	v_addc_co_u32_e32 v191, vcc, 0, v27, vcc
	v_cndmask_b32_e64 v191, v194, v191, s[38:39]
	v_cndmask_b32_e64 v190, v212, v190, s[38:39]
	flat_load_dwordx4 v[190:193], v[190:191]
	s_waitcnt vmcnt(0) lgkmcnt(0)
	ds_write_b128 v168, v[190:193]
	v_add_co_u32_e32 v190, vcc, v68, v50
	v_addc_co_u32_e32 v191, vcc, 0, v29, vcc
	v_cndmask_b32_e64 v191, v194, v191, s[10:11]
	v_cndmask_b32_e64 v190, v212, v190, s[10:11]
	flat_load_dwordx4 v[190:193], v[190:191]
	;; [unrolled: 7-line block ×3, first 2 shown]
	v_add_co_u32_e32 v56, vcc, s24, v56
	v_addc_co_u32_e32 v57, vcc, 0, v57, vcc
	v_add_co_u32_e32 v58, vcc, s24, v58
	v_addc_co_u32_e32 v59, vcc, 0, v59, vcc
	;; [unrolled: 2-line block ×4, first 2 shown]
	v_add_co_u32_e32 v64, vcc, s70, v64
	s_waitcnt vmcnt(0) lgkmcnt(0)
	ds_write_b128 v172, v[190:193]
	s_waitcnt lgkmcnt(0)
	s_barrier
	ds_read_u16 v194, v110 offset:544
	v_cvt_f32_f16_e32 v192, v196
	v_cvt_f32_f16_sdwa v193, v196 dst_sel:DWORD dst_unused:UNUSED_PAD src0_sel:WORD_1
	ds_read_u16 v196, v217
	ds_read_u16 v212, v217 offset:32
	v_cvt_f32_f16_e32 v190, v197
	v_cvt_f32_f16_sdwa v191, v197 dst_sel:DWORD dst_unused:UNUSED_PAD src0_sel:WORD_1
	s_waitcnt lgkmcnt(1)
	v_perm_b32 v197, v196, v194, s84
	ds_read_u16 v194, v104
	ds_read_u16 v213, v104 offset:32
	ds_read_u16 v196, v216 offset:272
	;; [unrolled: 1-line block ×3, first 2 shown]
	s_waitcnt lgkmcnt(1)
	v_perm_b32 v196, v196, v194, s84
	s_nop 1
	v_mfma_f32_16x16x16f16 v[190:193], v[196:197], v[18:19], v[190:193]
	ds_read_u16 v194, v173 offset:544
	s_nop 7
	s_nop 1
	v_cvt_f16_f32_e32 v190, v190
	v_cvt_f16_f32_e32 v191, v191
	v_cvt_f16_f32_e32 v192, v192
	v_cvt_f16_f32_e32 v193, v193
	v_pack_b32_f16 v197, v190, v191
	v_cvt_f32_f16_e32 v190, v199
	v_pack_b32_f16 v196, v192, v193
	v_cvt_f32_f16_sdwa v191, v199 dst_sel:DWORD dst_unused:UNUSED_PAD src0_sel:WORD_1
	v_cvt_f32_f16_e32 v192, v198
	v_cvt_f32_f16_sdwa v193, v198 dst_sel:DWORD dst_unused:UNUSED_PAD src0_sel:WORD_1
	s_waitcnt lgkmcnt(0)
	v_perm_b32 v199, v212, v194, s84
	v_perm_b32 v198, v214, v213, s84
	ds_read_u16 v194, v104 offset:64
	ds_read_u16 v212, v216 offset:336
	ds_read_u16 v213, v174 offset:544
	ds_read_u16 v214, v217 offset:64
	v_mfma_f32_16x16x16f16 v[190:193], v[198:199], v[18:19], v[190:193]
	s_nop 7
	s_nop 2
	v_cvt_f16_f32_e32 v190, v190
	v_cvt_f16_f32_e32 v191, v191
	v_cvt_f16_f32_e32 v192, v192
	v_cvt_f16_f32_e32 v193, v193
	v_pack_b32_f16 v199, v190, v191
	v_cvt_f32_f16_e32 v190, v201
	v_pack_b32_f16 v198, v192, v193
	v_cvt_f32_f16_sdwa v191, v201 dst_sel:DWORD dst_unused:UNUSED_PAD src0_sel:WORD_1
	v_cvt_f32_f16_e32 v192, v200
	v_cvt_f32_f16_sdwa v193, v200 dst_sel:DWORD dst_unused:UNUSED_PAD src0_sel:WORD_1
	s_waitcnt lgkmcnt(0)
	v_perm_b32 v201, v214, v213, s84
	v_perm_b32 v200, v212, v194, s84
	ds_read_u16 v194, v104 offset:96
	ds_read_u16 v212, v216 offset:368
	ds_read_u16 v213, v175 offset:544
	ds_read_u16 v214, v217 offset:96
	v_mfma_f32_16x16x16f16 v[190:193], v[200:201], v[18:19], v[190:193]
	s_nop 7
	s_nop 2
	v_cvt_f16_f32_e32 v190, v190
	v_cvt_f16_f32_e32 v191, v191
	v_cvt_f16_f32_e32 v192, v192
	v_cvt_f16_f32_e32 v193, v193
	v_pack_b32_f16 v201, v190, v191
	v_cvt_f32_f16_e32 v190, v203
	v_pack_b32_f16 v200, v192, v193
	v_cvt_f32_f16_sdwa v191, v203 dst_sel:DWORD dst_unused:UNUSED_PAD src0_sel:WORD_1
	v_cvt_f32_f16_e32 v192, v202
	v_cvt_f32_f16_sdwa v193, v202 dst_sel:DWORD dst_unused:UNUSED_PAD src0_sel:WORD_1
	s_waitcnt lgkmcnt(0)
	v_perm_b32 v203, v214, v213, s84
	v_perm_b32 v202, v212, v194, s84
	ds_read_u16 v194, v104 offset:128
	ds_read_u16 v212, v216 offset:400
	ds_read_u16 v213, v176 offset:544
	ds_read_u16 v214, v217 offset:128
	v_mfma_f32_16x16x16f16 v[190:193], v[202:203], v[18:19], v[190:193]
	s_nop 7
	s_nop 2
	v_cvt_f16_f32_e32 v190, v190
	v_cvt_f16_f32_e32 v191, v191
	v_cvt_f16_f32_e32 v192, v192
	v_cvt_f16_f32_e32 v193, v193
	v_pack_b32_f16 v203, v190, v191
	v_cvt_f32_f16_e32 v190, v205
	v_pack_b32_f16 v202, v192, v193
	v_cvt_f32_f16_sdwa v191, v205 dst_sel:DWORD dst_unused:UNUSED_PAD src0_sel:WORD_1
	v_cvt_f32_f16_e32 v192, v204
	v_cvt_f32_f16_sdwa v193, v204 dst_sel:DWORD dst_unused:UNUSED_PAD src0_sel:WORD_1
	s_waitcnt lgkmcnt(0)
	v_perm_b32 v205, v214, v213, s84
	v_perm_b32 v204, v212, v194, s84
	ds_read_u16 v194, v104 offset:160
	ds_read_u16 v212, v216 offset:432
	ds_read_u16 v213, v177 offset:544
	ds_read_u16 v214, v217 offset:160
	v_mfma_f32_16x16x16f16 v[190:193], v[204:205], v[18:19], v[190:193]
	s_waitcnt lgkmcnt(2)
	v_perm_b32 v194, v212, v194, s84
	v_cvt_f32_f16_e32 v212, v25
	s_nop 7
	v_cvt_f16_f32_e32 v190, v190
	v_cvt_f16_f32_e32 v191, v191
	;; [unrolled: 1-line block ×4, first 2 shown]
	v_pack_b32_f16 v205, v190, v191
	v_cvt_f32_f16_e32 v190, v195
	v_cvt_f32_f16_sdwa v191, v195 dst_sel:DWORD dst_unused:UNUSED_PAD src0_sel:WORD_1
	s_waitcnt lgkmcnt(0)
	v_perm_b32 v195, v214, v213, s84
	v_pack_b32_f16 v204, v192, v193
	v_cvt_f32_f16_e32 v192, v53
	v_cvt_f32_f16_sdwa v193, v53 dst_sel:DWORD dst_unused:UNUSED_PAD src0_sel:WORD_1
	v_cvt_f32_f16_sdwa v213, v25 dst_sel:DWORD dst_unused:UNUSED_PAD src0_sel:WORD_1
	v_cvt_f32_f16_e32 v214, v24
	v_mfma_f32_16x16x16f16 v[190:193], v[194:195], v[18:19], v[190:193]
	s_nop 7
	s_nop 2
	v_cvt_f16_f32_e32 v53, v190
	v_cvt_f16_f32_e32 v190, v191
	;; [unrolled: 1-line block ×4, first 2 shown]
	v_pack_b32_f16 v195, v53, v190
	v_pack_b32_f16 v193, v191, v192
	ds_read_u16 v53, v104 offset:192
	ds_read_u16 v190, v216 offset:464
	;; [unrolled: 1-line block ×4, first 2 shown]
	s_waitcnt lgkmcnt(2)
	v_perm_b32 v24, v190, v53, s84
	s_waitcnt lgkmcnt(0)
	v_perm_b32 v25, v192, v191, s84
	s_nop 1
	v_mfma_f32_16x16x16f16 v[212:215], v[24:25], v[18:19], v[212:215]
	s_nop 7
	s_nop 2
	v_cvt_f16_f32_e32 v24, v212
	v_cvt_f16_f32_e32 v25, v213
	;; [unrolled: 1-line block ×4, first 2 shown]
	v_cvt_f32_f16_e32 v212, v23
	v_pack_b32_f16 v194, v24, v25
	v_cvt_f32_f16_sdwa v213, v23 dst_sel:DWORD dst_unused:UNUSED_PAD src0_sel:WORD_1
	v_pack_b32_f16 v192, v53, v190
	ds_read_u16 v24, v104 offset:224
	ds_read_u16 v53, v216 offset:496
	;; [unrolled: 1-line block ×4, first 2 shown]
	v_cvt_f32_f16_e32 v214, v21
	v_cvt_f32_f16_sdwa v215, v21 dst_sel:DWORD dst_unused:UNUSED_PAD src0_sel:WORD_1
	s_waitcnt lgkmcnt(2)
	v_perm_b32 v24, v53, v24, s84
	s_waitcnt lgkmcnt(0)
	v_perm_b32 v25, v190, v25, s84
	s_barrier
	s_nop 0
	v_mfma_f32_16x16x16f16 v[212:215], v[24:25], v[18:19], v[212:215]
	s_nop 7
	s_nop 2
	v_cvt_f16_f32_e32 v18, v212
	v_cvt_f16_f32_e32 v19, v213
	;; [unrolled: 1-line block ×4, first 2 shown]
	v_pack_b32_f16 v190, v18, v19
	v_mov_b32_e32 v18, s71
	v_addc_co_u32_e32 v1, vcc, v1, v18, vcc
	v_add_co_u32_e32 v66, vcc, s70, v66
	v_addc_co_u32_e32 v27, vcc, v27, v18, vcc
	v_add_co_u32_e32 v68, vcc, s70, v68
	v_addc_co_u32_e32 v29, vcc, v29, v18, vcc
	v_add_co_u32_e32 v70, vcc, s70, v70
	v_addc_co_u32_e32 v31, vcc, v31, v18, vcc
	v_add_co_u32_e32 v72, vcc, s74, v72
	v_mov_b32_e32 v18, s75
	v_addc_co_u32_e32 v51, vcc, v51, v18, vcc
	v_add_co_u32_e32 v74, vcc, s74, v74
	v_addc_co_u32_e32 v65, vcc, v65, v18, vcc
	v_add_co_u32_e32 v76, vcc, s74, v76
	;; [unrolled: 2-line block ×3, first 2 shown]
	v_pack_b32_f16 v191, v21, v23
	v_addc_co_u32_e32 v69, vcc, v69, v18, vcc
	s_cbranch_scc0 .LBB25_226
; %bb.223:                              ;   in Loop: Header=BB25_203 Depth=2
	v_mov_b32_e32 v212, v20
	v_mov_b32_e32 v213, v22
	s_andn2_b64 vcc, exec, s[28:29]
	s_cbranch_vccz .LBB25_200
	s_branch .LBB25_203
.LBB25_224:                             ;   in Loop: Header=BB25_203 Depth=2
                                        ; implicit-def: $vgpr18_vgpr19_vgpr20_vgpr21
	s_branch .LBB25_221
.LBB25_225:                             ;   in Loop: Header=BB25_16 Depth=1
	v_mov_b32_e32 v20, 0
	v_mov_b32_e32 v22, 0xfeffffff
	;; [unrolled: 1-line block ×17, first 2 shown]
.LBB25_226:                             ;   in Loop: Header=BB25_16 Depth=1
	s_lshl_b32 s94, s33, 6
	v_readlane_b32 s22, v219, 4
	s_sub_i32 s22, s22, s94
	s_cmp_lg_u64 s[96:97], 0
	s_cselect_b64 s[40:41], -1, 0
	s_cmp_eq_u64 s[96:97], 0
	v_readlane_b32 s23, v219, 5
	s_cbranch_scc1 .LBB25_232
; %bb.227:                              ;   in Loop: Header=BB25_16 Depth=1
	v_cmp_le_i32_e32 vcc, s22, v26
                                        ; implicit-def: $sgpr23
	s_and_saveexec_b64 s[28:29], vcc
	s_xor_b64 s[28:29], exec, s[28:29]
	s_cbranch_execz .LBB25_229
; %bb.228:                              ;   in Loop: Header=BB25_16 Depth=1
	ds_write_b16 v84, v163 offset:17408
	ds_write_b16 v164, v163 offset:17408
	s_mov_b32 s23, 0
                                        ; implicit-def: $vgpr206
                                        ; implicit-def: $vgpr207
                                        ; implicit-def: $vgpr209
                                        ; implicit-def: $vgpr208
.LBB25_229:                             ;   in Loop: Header=BB25_16 Depth=1
	s_or_saveexec_b64 s[28:29], s[28:29]
	v_mov_b32_e32 v1, s23
	v_mov_b32_e32 v18, s23
	s_xor_b64 exec, exec, s[28:29]
	s_cbranch_execz .LBB25_231
; %bb.230:                              ;   in Loop: Header=BB25_16 Depth=1
	s_lshl_b64 s[30:31], s[94:95], 1
	s_add_u32 s23, s96, s30
	s_addc_u32 s30, s97, s31
	v_lshlrev_b32_e32 v1, 1, v26
	v_add_co_u32_e32 v21, vcc, s23, v1
	v_mov_b32_e32 v1, s30
	v_readlane_b32 s34, v219, 10
	v_addc_co_u32_e32 v23, vcc, 0, v1, vcc
	v_mul_hi_u32 v1, s34, v206
	v_readlane_b32 s35, v219, 11
	v_add_u32_e32 v1, v206, v1
	v_lshrrev_b32_e32 v1, s35, v1
	v_mul_lo_u32 v1, v1, s60
	v_readlane_b32 s30, v219, 59
	v_sub_u32_e32 v1, v206, v1
	v_readlane_b32 s31, v219, 60
	s_mov_b32 s36, s30
	v_mad_i64_i32 v[18:19], s[30:31], v1, s36, 0
	v_lshlrev_b64 v[18:19], 1, v[18:19]
	v_add_co_u32_e32 v18, vcc, v21, v18
	v_addc_co_u32_e32 v19, vcc, v23, v19, vcc
	flat_load_ushort v1, v[18:19]
	v_mul_hi_u32 v18, s34, v207
	v_add_u32_e32 v18, v207, v18
	v_lshrrev_b32_e32 v18, s35, v18
	v_mul_lo_u32 v18, v18, s60
	v_sub_u32_e32 v18, v207, v18
	v_mad_i64_i32 v[18:19], s[30:31], v18, s36, 0
	v_lshlrev_b64 v[18:19], 1, v[18:19]
	v_add_co_u32_e32 v18, vcc, v21, v18
	v_addc_co_u32_e32 v19, vcc, v23, v19, vcc
	flat_load_ushort v18, v[18:19]
	s_waitcnt vmcnt(0) lgkmcnt(0)
	ds_write_b16 v84, v1 offset:17408
	ds_write_b16 v164, v18 offset:17408
	v_mul_hi_u32 v1, s34, v209
	v_add_u32_e32 v1, v209, v1
	v_lshrrev_b32_e32 v1, s35, v1
	v_mul_lo_u32 v1, v1, s60
	v_sub_u32_e32 v1, v209, v1
	v_mad_i64_i32 v[18:19], s[30:31], v1, s36, 0
	v_lshlrev_b64 v[18:19], 1, v[18:19]
	v_add_co_u32_e32 v18, vcc, v21, v18
	v_addc_co_u32_e32 v19, vcc, v23, v19, vcc
	flat_load_ushort v1, v[18:19]
	v_mul_hi_u32 v18, s34, v208
	v_add_u32_e32 v18, v208, v18
	v_lshrrev_b32_e32 v18, s35, v18
	v_mul_lo_u32 v18, v18, s60
	v_sub_u32_e32 v18, v208, v18
	v_mad_i64_i32 v[18:19], s[30:31], v18, s36, 0
	v_lshlrev_b64 v[18:19], 1, v[18:19]
	v_add_co_u32_e32 v18, vcc, v21, v18
	v_addc_co_u32_e32 v19, vcc, v23, v19, vcc
	flat_load_ushort v18, v[18:19]
.LBB25_231:                             ;   in Loop: Header=BB25_16 Depth=1
	s_or_b64 exec, exec, s[28:29]
	s_waitcnt vmcnt(0) lgkmcnt(0)
	ds_write_b16 v165, v1 offset:17408
	ds_write_b16 v166, v18 offset:17408
.LBB25_232:                             ;   in Loop: Header=BB25_16 Depth=1
	s_mul_i32 s23, s94, s63
	s_mul_hi_u32 s28, s94, s62
	s_add_i32 s29, s28, s23
	s_mul_i32 s28, s94, s62
	s_lshl_b64 s[28:29], s[28:29], 2
	s_add_u32 s23, s83, s28
	s_addc_u32 s28, s92, s29
	v_mov_b32_e32 v1, s28
	v_add_co_u32_e32 v18, vcc, s23, v42
	v_addc_co_u32_e32 v19, vcc, v1, v43, vcc
	v_lshlrev_b32_e32 v1, 2, v30
	v_add_co_u32_e32 v18, vcc, v18, v1
	v_addc_co_u32_e32 v19, vcc, 0, v19, vcc
	v_mov_b32_e32 v21, s9
	v_cmp_gt_i32_e64 s[30:31], s22, v85
	v_mov_b32_e32 v23, s8
	buffer_store_dword v163, off, s[0:3], 0
	buffer_store_dword v163, off, s[0:3], 0 offset:4
	buffer_store_dword v163, off, s[0:3], 0 offset:8
	;; [unrolled: 1-line block ×3, first 2 shown]
	v_cndmask_b32_e64 v19, v21, v19, s[30:31]
	v_cndmask_b32_e64 v18, v23, v18, s[30:31]
	flat_load_dwordx4 v[54:57], v[18:19]
	v_mov_b32_e32 v18, s28
	v_add_co_u32_e32 v19, vcc, s23, v44
	v_addc_co_u32_e32 v18, vcc, v18, v45, vcc
	v_add_co_u32_e32 v24, vcc, v19, v1
	v_addc_co_u32_e32 v18, vcc, 0, v18, vcc
	v_cmp_gt_i32_e64 s[34:35], s22, v167
	v_cndmask_b32_e64 v19, v21, v18, s[34:35]
	v_cndmask_b32_e64 v18, v23, v24, s[34:35]
	v_cmp_gt_i32_e64 s[36:37], s22, v169
	s_waitcnt vmcnt(0) lgkmcnt(0)
	ds_write_b128 v86, v[54:57]
	flat_load_dwordx4 v[54:57], v[18:19]
	v_mov_b32_e32 v18, s28
	v_add_co_u32_e32 v19, vcc, s23, v46
	v_addc_co_u32_e32 v18, vcc, v18, v47, vcc
	v_add_co_u32_e32 v24, vcc, v19, v1
	v_addc_co_u32_e32 v18, vcc, 0, v18, vcc
	v_cndmask_b32_e64 v19, v21, v18, s[36:37]
	v_cndmask_b32_e64 v18, v23, v24, s[36:37]
	s_waitcnt vmcnt(0) lgkmcnt(0)
	ds_write_b128 v168, v[54:57]
	flat_load_dwordx4 v[54:57], v[18:19]
	v_mov_b32_e32 v18, s28
	v_add_co_u32_e32 v19, vcc, s23, v48
	v_addc_co_u32_e32 v18, vcc, v18, v49, vcc
	v_add_co_u32_e32 v24, vcc, v19, v1
	v_addc_co_u32_e32 v18, vcc, 0, v18, vcc
	v_cmp_gt_i32_e64 s[28:29], s22, v171
	v_cndmask_b32_e64 v19, v21, v18, s[28:29]
	v_cndmask_b32_e64 v18, v23, v24, s[28:29]
	s_waitcnt vmcnt(0) lgkmcnt(0)
	ds_write_b128 v170, v[54:57]
	flat_load_dwordx4 v[54:57], v[18:19]
	s_waitcnt vmcnt(0) lgkmcnt(0)
	ds_write_b128 v172, v[54:57]
	s_waitcnt lgkmcnt(0)
	s_barrier
	ds_read2_b64 v[54:57], v105 offset1:4
	s_waitcnt lgkmcnt(0)
	v_mfma_f32_16x16x16f16 v[58:61], v[54:55], v[14:15], 0
	v_mfma_f32_16x16x16f16 v[14:17], v[56:57], v[16:17], v[58:61]
	ds_read2_b64 v[54:57], v105 offset0:8 offset1:12
	s_waitcnt lgkmcnt(0)
	v_mfma_f32_16x16x16f16 v[14:17], v[54:55], v[10:11], v[14:17]
	v_mfma_f32_16x16x16f16 v[10:13], v[56:57], v[12:13], v[14:17]
	s_nop 7
	s_nop 1
	ds_read2_b64 v[14:17], v105 offset0:16 offset1:20
	s_waitcnt lgkmcnt(0)
	v_mfma_f32_16x16x16f16 v[10:13], v[14:15], v[6:7], v[10:13]
	v_mfma_f32_16x16x16f16 v[6:9], v[16:17], v[8:9], v[10:13]
	s_nop 7
	s_nop 1
	ds_read2_b64 v[10:13], v105 offset0:24 offset1:28
	s_waitcnt lgkmcnt(0)
	v_mfma_f32_16x16x16f16 v[6:9], v[10:11], v[2:3], v[6:9]
	s_barrier
	v_mfma_f32_16x16x16f16 v[2:5], v[12:13], v[4:5], v[6:9]
                                        ; implicit-def: $vgpr6
	s_nop 7
	s_nop 2
	v_cmp_nlt_f32_e64 s[64:65], |v2|, s26
	s_and_saveexec_b64 s[76:77], s[64:65]
	s_xor_b64 s[96:97], exec, s[76:77]
	s_cbranch_execz .LBB25_234
; %bb.233:                              ;   in Loop: Header=BB25_16 Depth=1
	v_add_f32_e64 v6, |v2|, |v2|
	v_mul_f32_e32 v7, 0x3fb8aa3b, v6
	v_rndne_f32_e32 v8, v7
	v_sub_f32_e32 v9, v7, v8
	v_fma_f32 v7, v6, s25, -v7
	v_fmac_f32_e32 v7, 0x32a5705f, v6
	v_add_f32_e32 v7, v9, v7
	v_cvt_i32_f32_e32 v8, v8
	v_exp_f32_e32 v7, v7
	v_cmp_ngt_f32_e32 vcc, s88, v6
	v_ldexp_f32 v7, v7, v8
	v_cndmask_b32_e32 v7, 0, v7, vcc
	v_cmp_nlt_f32_e32 vcc, s61, v6
	v_cndmask_b32_e32 v6, v188, v7, vcc
	v_add_f32_e32 v6, 1.0, v6
	v_rcp_f32_e32 v6, v6
	v_fma_f32 v6, v6, -2.0, 1.0
.LBB25_234:                             ;   in Loop: Header=BB25_16 Depth=1
	s_andn2_saveexec_b64 s[90:91], s[96:97]
; %bb.235:                              ;   in Loop: Header=BB25_16 Depth=1
	v_mul_f32_e32 v6, v2, v2
	v_mov_b32_e32 v7, 0x3ca908c9
	v_fmac_f32_e32 v7, 0xbbbac73d, v6
	v_fma_f32 v7, v6, v7, v184
	v_fma_f32 v7, v6, v7, v185
	;; [unrolled: 1-line block ×3, first 2 shown]
	v_mul_f32_e64 v7, |v2|, v7
	v_fma_f32 v6, v6, v7, |v2|
; %bb.236:                              ;   in Loop: Header=BB25_16 Depth=1
	s_or_b64 exec, exec, s[90:91]
	v_cmp_nlt_f32_e64 s[64:65], |v3|, s26
                                        ; implicit-def: $vgpr7
	s_and_saveexec_b64 s[76:77], s[64:65]
	s_xor_b64 s[90:91], exec, s[76:77]
	s_cbranch_execz .LBB25_238
; %bb.237:                              ;   in Loop: Header=BB25_16 Depth=1
	v_add_f32_e64 v7, |v3|, |v3|
	v_mul_f32_e32 v8, 0x3fb8aa3b, v7
	v_rndne_f32_e32 v9, v8
	v_sub_f32_e32 v10, v8, v9
	v_fma_f32 v8, v7, s25, -v8
	v_fmac_f32_e32 v8, 0x32a5705f, v7
	v_add_f32_e32 v8, v10, v8
	v_cvt_i32_f32_e32 v9, v9
	v_exp_f32_e32 v8, v8
	v_cmp_ngt_f32_e32 vcc, s88, v7
	v_ldexp_f32 v8, v8, v9
	v_cndmask_b32_e32 v8, 0, v8, vcc
	v_cmp_nlt_f32_e32 vcc, s61, v7
	v_cndmask_b32_e32 v7, v188, v8, vcc
	v_add_f32_e32 v7, 1.0, v7
	v_rcp_f32_e32 v7, v7
	v_fma_f32 v7, v7, -2.0, 1.0
.LBB25_238:                             ;   in Loop: Header=BB25_16 Depth=1
	s_andn2_saveexec_b64 s[90:91], s[90:91]
; %bb.239:                              ;   in Loop: Header=BB25_16 Depth=1
	v_mul_f32_e32 v7, v3, v3
	v_mov_b32_e32 v8, 0x3ca908c9
	v_fmac_f32_e32 v8, 0xbbbac73d, v7
	v_fma_f32 v8, v7, v8, v184
	v_fma_f32 v8, v7, v8, v185
	;; [unrolled: 1-line block ×3, first 2 shown]
	v_mul_f32_e64 v8, |v3|, v8
	v_fma_f32 v7, v7, v8, |v3|
; %bb.240:                              ;   in Loop: Header=BB25_16 Depth=1
	s_or_b64 exec, exec, s[90:91]
	v_cmp_nlt_f32_e64 s[64:65], |v4|, s26
                                        ; implicit-def: $vgpr8
	s_and_saveexec_b64 s[76:77], s[64:65]
	s_xor_b64 s[90:91], exec, s[76:77]
	s_cbranch_execz .LBB25_242
; %bb.241:                              ;   in Loop: Header=BB25_16 Depth=1
	v_add_f32_e64 v8, |v4|, |v4|
	v_mul_f32_e32 v9, 0x3fb8aa3b, v8
	v_rndne_f32_e32 v10, v9
	v_sub_f32_e32 v11, v9, v10
	v_fma_f32 v9, v8, s25, -v9
	v_fmac_f32_e32 v9, 0x32a5705f, v8
	v_add_f32_e32 v9, v11, v9
	v_cvt_i32_f32_e32 v10, v10
	v_exp_f32_e32 v9, v9
	v_cmp_ngt_f32_e32 vcc, s88, v8
	v_ldexp_f32 v9, v9, v10
	v_cndmask_b32_e32 v9, 0, v9, vcc
	v_cmp_nlt_f32_e32 vcc, s61, v8
	v_cndmask_b32_e32 v8, v188, v9, vcc
	v_add_f32_e32 v8, 1.0, v8
	v_rcp_f32_e32 v8, v8
	v_fma_f32 v8, v8, -2.0, 1.0
.LBB25_242:                             ;   in Loop: Header=BB25_16 Depth=1
	s_andn2_saveexec_b64 s[90:91], s[90:91]
; %bb.243:                              ;   in Loop: Header=BB25_16 Depth=1
	v_mul_f32_e32 v8, v4, v4
	v_mov_b32_e32 v9, 0x3ca908c9
	v_fmac_f32_e32 v9, 0xbbbac73d, v8
	v_fma_f32 v9, v8, v9, v184
	v_fma_f32 v9, v8, v9, v185
	;; [unrolled: 1-line block ×3, first 2 shown]
	v_mul_f32_e64 v9, |v4|, v9
	v_fma_f32 v8, v8, v9, |v4|
; %bb.244:                              ;   in Loop: Header=BB25_16 Depth=1
	s_or_b64 exec, exec, s[90:91]
	v_cmp_nlt_f32_e64 s[64:65], |v5|, s26
                                        ; implicit-def: $vgpr9
	s_and_saveexec_b64 s[76:77], s[64:65]
	s_xor_b64 s[90:91], exec, s[76:77]
	s_cbranch_execz .LBB25_246
; %bb.245:                              ;   in Loop: Header=BB25_16 Depth=1
	v_add_f32_e64 v9, |v5|, |v5|
	v_mul_f32_e32 v10, 0x3fb8aa3b, v9
	v_rndne_f32_e32 v11, v10
	v_sub_f32_e32 v12, v10, v11
	v_fma_f32 v10, v9, s25, -v10
	v_fmac_f32_e32 v10, 0x32a5705f, v9
	v_add_f32_e32 v10, v12, v10
	v_cvt_i32_f32_e32 v11, v11
	v_exp_f32_e32 v10, v10
	v_cmp_ngt_f32_e32 vcc, s88, v9
	v_ldexp_f32 v10, v10, v11
	v_cndmask_b32_e32 v10, 0, v10, vcc
	v_cmp_nlt_f32_e32 vcc, s61, v9
	v_cndmask_b32_e32 v9, v188, v10, vcc
	v_add_f32_e32 v9, 1.0, v9
	v_rcp_f32_e32 v9, v9
	v_fma_f32 v9, v9, -2.0, 1.0
.LBB25_246:                             ;   in Loop: Header=BB25_16 Depth=1
	s_andn2_saveexec_b64 s[90:91], s[90:91]
; %bb.247:                              ;   in Loop: Header=BB25_16 Depth=1
	v_mul_f32_e32 v9, v5, v5
	v_mov_b32_e32 v10, 0x3ca908c9
	v_fmac_f32_e32 v10, 0xbbbac73d, v9
	v_fma_f32 v10, v9, v10, v184
	v_fma_f32 v10, v9, v10, v185
	;; [unrolled: 1-line block ×3, first 2 shown]
	v_mul_f32_e64 v10, |v5|, v10
	v_fma_f32 v9, v9, v10, |v5|
; %bb.248:                              ;   in Loop: Header=BB25_16 Depth=1
	s_or_b64 exec, exec, s[90:91]
	v_bfi_b32 v2, s89, v6, v2
	v_mul_f32_e32 v6, s73, v2
	v_bfi_b32 v2, s89, v7, v3
	v_mul_f32_e32 v7, s73, v2
	;; [unrolled: 2-line block ×4, first 2 shown]
	s_and_b64 vcc, exec, s[40:41]
	s_cbranch_vccz .LBB25_338
; %bb.249:                              ;   in Loop: Header=BB25_16 Depth=1
	v_add_u32_e32 v2, 0x4400, v87
	ds_read2_b32 v[2:3], v2 offset1:1
	s_waitcnt lgkmcnt(0)
	v_cvt_f32_f16_e32 v10, v2
	v_cvt_f32_f16_e32 v4, v3
	v_cvt_f32_f16_sdwa v5, v3 dst_sel:DWORD dst_unused:UNUSED_PAD src0_sel:WORD_1
	v_cvt_f32_f16_sdwa v11, v2 dst_sel:DWORD dst_unused:UNUSED_PAD src0_sel:WORD_1
	v_pk_fma_f32 v[4:5], v[52:53], v[4:5], v[8:9] op_sel_hi:[0,1,1]
	v_pk_fma_f32 v[2:3], v[52:53], v[10:11], v[6:7] op_sel_hi:[0,1,1]
	s_cbranch_execnz .LBB25_251
.LBB25_250:                             ;   in Loop: Header=BB25_16 Depth=1
	v_pk_mov_b32 v[2:3], v[6:7], v[6:7] op_sel:[0,1]
	v_pk_mov_b32 v[4:5], v[8:9], v[8:9] op_sel:[0,1]
.LBB25_251:                             ;   in Loop: Header=BB25_16 Depth=1
	s_mul_i32 s23, s94, s43
	s_mul_hi_u32 s33, s94, s42
	s_add_i32 s41, s33, s23
	s_mul_i32 s40, s94, s42
	s_lshl_b64 s[40:41], s[40:41], 2
	s_add_u32 s23, s79, s40
	s_addc_u32 s33, s85, s41
	v_mov_b32_e32 v6, s33
	v_add_co_u32_e32 v7, vcc, s23, v34
	v_addc_co_u32_e32 v6, vcc, v6, v35, vcc
	v_add_co_u32_e32 v8, vcc, v7, v1
	v_addc_co_u32_e32 v6, vcc, 0, v6, vcc
	v_mov_b32_e32 v12, s9
	v_mov_b32_e32 v14, s8
	buffer_store_dword v163, off, s[0:3], 0
	buffer_store_dword v163, off, s[0:3], 0 offset:4
	buffer_store_dword v163, off, s[0:3], 0 offset:8
	;; [unrolled: 1-line block ×3, first 2 shown]
	v_cndmask_b32_e64 v7, v12, v6, s[30:31]
	v_cndmask_b32_e64 v6, v14, v8, s[30:31]
	flat_load_dwordx4 v[6:9], v[6:7]
	v_mov_b32_e32 v10, s33
	v_add_co_u32_e32 v11, vcc, s23, v36
	v_addc_co_u32_e32 v10, vcc, v10, v37, vcc
	v_add_co_u32_e32 v11, vcc, v11, v1
	v_addc_co_u32_e32 v13, vcc, 0, v10, vcc
	v_cndmask_b32_e64 v10, v14, v11, s[34:35]
	v_cndmask_b32_e64 v11, v12, v13, s[34:35]
	v_add_f32_e32 v15, 0x40051340, v2
	v_max_f32_e32 v16, v22, v22
	v_and_b32_e32 v19, 64, v162
	v_xor_b32_e32 v23, 32, v162
	v_max_f32_e32 v15, v16, v15
	v_add_u32_e32 v16, 64, v19
	v_xor_b32_e32 v24, 16, v162
	v_add_f32_e32 v17, 0x40051340, v3
	v_cmp_gt_u32_e64 s[30:31], s22, v180
	v_add_f32_e32 v18, 0x40051340, v4
	v_cmp_gt_u32_e64 s[34:35], s22, v181
	v_add_f32_e32 v21, 0x40051340, v5
	v_cndmask_b32_e64 v5, v5, v5, s[30:31]
	v_add_u32_e32 v25, v107, v108
	v_add_u32_e32 v27, v107, v109
	s_cmp_eq_u64 s[80:81], 0
	s_waitcnt vmcnt(0) lgkmcnt(0)
	ds_write_b128 v86, v[6:9]
	flat_load_dwordx4 v[6:9], v[10:11]
	v_mov_b32_e32 v10, s33
	v_add_co_u32_e32 v11, vcc, s23, v38
	v_addc_co_u32_e32 v10, vcc, v10, v39, vcc
	v_add_co_u32_e32 v11, vcc, v11, v1
	v_addc_co_u32_e32 v13, vcc, 0, v10, vcc
	v_cndmask_b32_e64 v10, v14, v11, s[36:37]
	v_cndmask_b32_e64 v11, v12, v13, s[36:37]
	v_cmp_gt_u32_e64 s[36:37], s22, v106
	v_cmp_lt_i32_e32 vcc, v23, v16
	v_cndmask_b32_e64 v15, v22, v15, s[36:37]
	v_cndmask_b32_e32 v19, v162, v23, vcc
	v_cmp_lt_i32_e32 vcc, v24, v16
	v_cndmask_b32_e32 v16, v162, v24, vcc
	v_max_f32_e32 v24, v15, v15
	v_lshlrev_b32_e32 v23, 2, v19
	v_lshlrev_b32_e32 v19, 2, v16
	v_max_f32_e32 v16, v24, v17
	v_cndmask_b32_e64 v15, v15, v16, s[30:31]
	v_max_f32_e32 v17, v15, v15
	v_max_f32_e32 v17, v17, v18
	v_cndmask_b32_e64 v15, v15, v17, s[34:35]
	v_max_f32_e32 v17, v15, v15
	v_max_f32_e32 v17, v17, v21
	v_cmp_gt_u32_e32 vcc, s22, v182
	v_cndmask_b32_e32 v15, v15, v17, vcc
	ds_bpermute_b32 v17, v23, v15
	v_cndmask_b32_e64 v16, v4, v4, s[30:31]
	v_mov_b32_e32 v4, s33
	v_add_co_u32_e64 v18, s[40:41], s23, v40
	v_addc_co_u32_e64 v4, s[40:41], v4, v41, s[40:41]
	v_add_co_u32_e64 v1, s[40:41], v18, v1
	v_max_f32_e32 v15, v15, v15
	s_waitcnt lgkmcnt(0)
	v_max_f32_e32 v17, v17, v17
	v_addc_co_u32_e64 v4, s[40:41], 0, v4, s[40:41]
	v_max_f32_e32 v17, v15, v17
	v_cndmask_b32_e64 v14, v14, v1, s[28:29]
	v_cndmask_b32_e64 v15, v12, v4, s[28:29]
	ds_bpermute_b32 v21, v19, v17
	v_mov_b32_e32 v13, s95
	s_cselect_b64 s[22:23], -1, 0
	s_waitcnt lgkmcnt(0)
	v_max_f32_e32 v1, v21, v21
	v_max_f32_e32 v4, v17, v1
	v_sub_f32_e32 v1, v2, v4
	v_sub_f32_e32 v2, v3, v4
	;; [unrolled: 1-line block ×3, first 2 shown]
	v_mul_f32_e32 v16, 0x3fb8aa3b, v1
	v_mul_f32_e32 v17, 0x3fb8aa3b, v2
	v_fma_f32 v24, v1, s25, -v16
	v_rndne_f32_e32 v29, v16
	v_sub_f32_e32 v5, v5, v4
	v_mul_f32_e32 v18, 0x3fb8aa3b, v3
	v_fma_f32 v31, v2, s25, -v17
	v_rndne_f32_e32 v51, v17
	v_fmac_f32_e32 v24, 0x32a5705f, v1
	v_sub_f32_e32 v12, v22, v4
	v_mul_f32_e32 v21, 0x3fb8aa3b, v5
	v_fma_f32 v52, v3, s25, -v18
	v_rndne_f32_e32 v53, v18
	v_fmac_f32_e32 v31, 0x32a5705f, v2
	v_mul_f32_e32 v22, 0x3fb8aa3b, v12
	v_fma_f32 v54, v5, s25, -v21
	v_rndne_f32_e32 v55, v21
	v_fmac_f32_e32 v52, 0x32a5705f, v3
	v_sub_f32_e32 v18, v18, v53
	v_fma_f32 v56, v12, s25, -v22
	v_rndne_f32_e32 v57, v22
	v_fmac_f32_e32 v54, 0x32a5705f, v5
	v_sub_f32_e32 v21, v21, v55
	v_add_f32_e32 v18, v18, v52
	s_waitcnt vmcnt(0)
	ds_write_b128 v168, v[6:9]
	flat_load_dwordx4 v[6:9], v[10:11]
	v_fmac_f32_e32 v56, 0x32a5705f, v12
	v_sub_f32_e32 v22, v22, v57
	v_add_f32_e32 v21, v21, v54
	v_exp_f32_e32 v18, v18
	v_add_f32_e32 v22, v22, v56
	v_exp_f32_e32 v21, v21
	v_exp_f32_e32 v22, v22
	v_cmp_ngt_f32_e64 s[28:29], s88, v1
	v_mov_b32_e32 v11, s95
	v_mov_b32_e32 v10, s95
	s_waitcnt vmcnt(0) lgkmcnt(0)
	ds_write_b128 v170, v[6:9]
	flat_load_dwordx4 v[6:9], v[14:15]
	v_sub_f32_e32 v14, v16, v29
	v_sub_f32_e32 v16, v17, v51
	v_add_f32_e32 v14, v14, v24
	v_cvt_i32_f32_e32 v15, v29
	v_add_f32_e32 v16, v16, v31
	v_exp_f32_e32 v14, v14
	v_cvt_i32_f32_e32 v17, v51
	v_exp_f32_e32 v16, v16
	v_cvt_i32_f32_e32 v29, v53
	v_cvt_i32_f32_e32 v51, v55
	;; [unrolled: 1-line block ×3, first 2 shown]
	v_ldexp_f32 v14, v14, v15
	v_ldexp_f32 v15, v16, v17
	v_cndmask_b32_e64 v14, 0, v14, s[28:29]
	v_cmp_ngt_f32_e64 s[28:29], s88, v2
	v_ldexp_f32 v16, v18, v29
	v_cndmask_b32_e64 v15, 0, v15, s[28:29]
	v_cmp_ngt_f32_e64 s[28:29], s88, v3
	;; [unrolled: 3-line block ×4, first 2 shown]
	v_cndmask_b32_e64 v18, 0, v18, s[28:29]
	v_cmp_nlt_f32_e64 s[28:29], s61, v1
	v_cndmask_b32_e64 v1, v188, v14, s[28:29]
	v_cmp_nlt_f32_e64 s[28:29], s61, v2
	;; [unrolled: 2-line block ×5, first 2 shown]
	v_cndmask_b32_e64 v15, v188, v18, s[28:29]
	v_cmp_le_f32_e64 s[28:29], s27, v12
	v_cndmask_b32_e64 v18, 0, v15, s[28:29]
	v_cndmask_b32_e64 v2, 0, v1, s[36:37]
	;; [unrolled: 1-line block ×3, first 2 shown]
	v_cvt_f16_f32_e32 v21, v18
	v_cndmask_b32_e32 v11, v13, v5, vcc
	v_add_f32_e32 v12, v14, v2
	v_cvt_f16_f32_e32 v13, v2
	v_cvt_f16_f32_e32 v1, v1
	v_cndmask_b32_e64 v2, v2, v12, s[30:31]
	v_cndmask_b32_e64 v10, v10, v3, s[34:35]
	v_add_f32_e32 v3, v2, v3
	v_cndmask_b32_e64 v22, v2, v3, s[34:35]
	v_pk_mul_f16 v3, v21, v197 op_sel_hi:[0,1]
	v_cvt_f16_f32_e32 v14, v10
	v_cvt_f16_f32_e32 v15, v11
	v_pk_mul_f16 v16, v21, v196 op_sel_hi:[0,1]
	v_pk_mul_f16 v17, v21, v199 op_sel_hi:[0,1]
	;; [unrolled: 1-line block ×5, first 2 shown]
	v_pack_b32_f16 v2, v13, v1
	v_cvt_f32_f16_e32 v10, v3
	v_cvt_f32_f16_sdwa v11, v3 dst_sel:DWORD dst_unused:UNUSED_PAD src0_sel:WORD_1
	v_cvt_f32_f16_e32 v12, v16
	v_cvt_f32_f16_sdwa v13, v16 dst_sel:DWORD dst_unused:UNUSED_PAD src0_sel:WORD_1
	v_pk_mul_f16 v51, v21, v203 op_sel_hi:[0,1]
	v_pk_mul_f16 v55, v21, v202 op_sel_hi:[0,1]
	;; [unrolled: 1-line block ×4, first 2 shown]
	v_add_f32_e32 v5, v22, v5
	v_cndmask_b32_e32 v5, v22, v5, vcc
	v_fmac_f32_e32 v5, v20, v18
	ds_bpermute_b32 v20, v23, v5
	v_readlane_b32 s28, v219, 53
	v_readlane_b32 s29, v219, 54
	s_xor_b64 s[28:29], s[28:29], -1
	s_or_b64 s[22:23], s[28:29], s[22:23]
	s_waitcnt lgkmcnt(0)
	v_add_f32_e32 v5, v5, v20
	ds_bpermute_b32 v20, v19, v5
	s_waitcnt vmcnt(0)
	ds_write_b128 v172, v[6:9]
	s_waitcnt lgkmcnt(0)
	s_barrier
	ds_read_u16 v1, v104
	ds_read_u16 v52, v104 offset:32
	ds_read_u16 v53, v104 offset:64
	;; [unrolled: 1-line block ×23, first 2 shown]
	ds_read_u16 v7, v27
	ds_read_u16 v196, v27 offset:32
	ds_read_u16 v197, v27 offset:64
	;; [unrolled: 1-line block ×7, first 2 shown]
	s_waitcnt lgkmcnt(7)
	v_perm_b32 v9, v7, v6, s84
	v_perm_b32 v8, v3, v1, s84
	v_pack_b32_f16 v3, v14, v15
	v_cvt_f32_f16_e32 v6, v17
	v_cvt_f32_f16_sdwa v7, v17 dst_sel:DWORD dst_unused:UNUSED_PAD src0_sel:WORD_1
	s_waitcnt lgkmcnt(6)
	v_perm_b32 v17, v196, v25, s84
	v_perm_b32 v16, v54, v52, s84
	v_mfma_f32_16x16x16f16 v[10:13], v[8:9], v[2:3], v[10:13]
	v_cvt_f32_f16_e32 v8, v24
	v_cvt_f32_f16_sdwa v9, v24 dst_sel:DWORD dst_unused:UNUSED_PAD src0_sel:WORD_1
	s_waitcnt lgkmcnt(5)
	v_perm_b32 v25, v197, v65, s84
	v_perm_b32 v24, v58, v53, s84
	v_cvt_f32_f16_e32 v14, v29
	v_cvt_f32_f16_sdwa v15, v29 dst_sel:DWORD dst_unused:UNUSED_PAD src0_sel:WORD_1
	v_cvt_f32_f16_e32 v52, v51
	v_mfma_f32_16x16x16f16 v[6:9], v[16:17], v[2:3], v[6:9]
	v_cvt_f32_f16_e32 v16, v31
	v_cvt_f32_f16_sdwa v17, v31 dst_sel:DWORD dst_unused:UNUSED_PAD src0_sel:WORD_1
	v_cvt_f32_f16_sdwa v53, v51 dst_sel:DWORD dst_unused:UNUSED_PAD src0_sel:WORD_1
	v_cvt_f32_f16_e32 v54, v55
	v_cvt_f32_f16_sdwa v55, v55 dst_sel:DWORD dst_unused:UNUSED_PAD src0_sel:WORD_1
	v_cvt_f32_f16_e32 v58, v59
	v_cvt_f32_f16_sdwa v59, v59 dst_sel:DWORD dst_unused:UNUSED_PAD src0_sel:WORD_1
	v_mfma_f32_16x16x16f16 v[14:17], v[24:25], v[2:3], v[14:17]
	s_waitcnt lgkmcnt(4)
	v_perm_b32 v25, v198, v66, s84
	v_perm_b32 v24, v61, v56, s84
	v_cvt_f32_f16_e32 v56, v57
	v_cvt_f32_f16_sdwa v57, v57 dst_sel:DWORD dst_unused:UNUSED_PAD src0_sel:WORD_1
	v_pk_mul_f16 v1, v21, v195 op_sel_hi:[0,1]
	v_pk_mul_f16 v29, v21, v193 op_sel_hi:[0,1]
	v_cvt_f32_f16_sdwa v61, v1 dst_sel:DWORD dst_unused:UNUSED_PAD src0_sel:WORD_1
	v_mfma_f32_16x16x16f16 v[52:55], v[24:25], v[2:3], v[52:55]
	s_waitcnt lgkmcnt(3)
	v_perm_b32 v25, v199, v72, s84
	v_perm_b32 v24, v62, v60, s84
	v_cvt_f32_f16_e32 v60, v1
	v_cvt_f32_f16_e32 v62, v29
	v_pk_mul_f16 v31, v21, v194 op_sel_hi:[0,1]
	v_pk_mul_f16 v51, v21, v192 op_sel_hi:[0,1]
	v_cvt_f32_f16_sdwa v65, v31 dst_sel:DWORD dst_unused:UNUSED_PAD src0_sel:WORD_1
	v_mfma_f32_16x16x16f16 v[56:59], v[24:25], v[2:3], v[56:59]
	s_waitcnt lgkmcnt(2)
	v_perm_b32 v25, v200, v74, s84
	v_perm_b32 v24, v64, v63, s84
	v_cvt_f32_f16_sdwa v63, v29 dst_sel:DWORD dst_unused:UNUSED_PAD src0_sel:WORD_1
	v_cvt_f32_f16_e32 v64, v31
	v_cvt_f32_f16_e32 v66, v51
	v_pk_mul_f16 v1, v21, v190 op_sel_hi:[0,1]
	v_pk_mul_f16 v21, v21, v191 op_sel_hi:[0,1]
	v_mfma_f32_16x16x16f16 v[60:63], v[24:25], v[2:3], v[60:63]
	s_waitcnt lgkmcnt(1)
	v_perm_b32 v25, v201, v76, s84
	v_perm_b32 v24, v69, v67, s84
	v_cvt_f32_f16_sdwa v67, v51 dst_sel:DWORD dst_unused:UNUSED_PAD src0_sel:WORD_1
	v_cvt_f32_f16_e32 v190, v1
	v_cvt_f32_f16_sdwa v191, v1 dst_sel:DWORD dst_unused:UNUSED_PAD src0_sel:WORD_1
	v_cvt_f32_f16_e32 v192, v21
	v_cvt_f32_f16_sdwa v193, v21 dst_sel:DWORD dst_unused:UNUSED_PAD src0_sel:WORD_1
	v_mfma_f32_16x16x16f16 v[64:67], v[24:25], v[2:3], v[64:67]
	s_waitcnt lgkmcnt(0)
	v_perm_b32 v25, v27, v78, s84
	v_perm_b32 v24, v70, v68, s84
	v_cvt_f16_f32_e32 v1, v10
	v_cvt_f16_f32_e32 v10, v13
	;; [unrolled: 1-line block ×5, first 2 shown]
	v_mfma_f32_16x16x16f16 v[190:193], v[24:25], v[2:3], v[190:193]
	v_cvt_f16_f32_e32 v2, v11
	v_cvt_f16_f32_e32 v3, v12
	;; [unrolled: 1-line block ×27, first 2 shown]
	v_pack_b32_f16 v2, v1, v2
	v_pack_b32_f16 v1, v3, v10
	;; [unrolled: 1-line block ×16, first 2 shown]
	v_add_f32_e32 v5, v5, v20
	s_barrier
	s_and_saveexec_b64 s[28:29], s[22:23]
	s_xor_b64 s[28:29], exec, s[28:29]
	s_andn2_saveexec_b64 s[28:29], s[28:29]
	s_cbranch_execz .LBB25_253
; %bb.252:                              ;   in Loop: Header=BB25_16 Depth=1
	global_load_dword v21, v163, s[80:81]
	v_max_f32_e32 v22, v4, v4
	s_waitcnt vmcnt(0)
	v_max_f32_e32 v20, v21, v21
	v_max_f32_e32 v20, v22, v20
	v_sub_f32_e32 v4, v4, v20
	v_mul_f32_e32 v22, 0x3fb8aa3b, v4
	v_fma_f32 v24, v4, s25, -v22
	v_rndne_f32_e32 v25, v22
	v_fmac_f32_e32 v24, 0x32a5705f, v4
	v_sub_f32_e32 v22, v22, v25
	v_add_f32_e32 v22, v22, v24
	v_exp_f32_e32 v22, v22
	v_cvt_i32_f32_e32 v24, v25
	v_cmp_ngt_f32_e32 vcc, s88, v4
	v_sub_f32_e32 v21, v21, v20
	v_ldexp_f32 v22, v22, v24
	v_cndmask_b32_e32 v22, 0, v22, vcc
	v_cmp_nlt_f32_e32 vcc, s61, v4
	v_cndmask_b32_e32 v22, v188, v22, vcc
	v_cmp_le_f32_e32 vcc, s27, v4
	v_cndmask_b32_e32 v4, 0, v22, vcc
	v_cvt_f16_f32_e32 v22, v4
	v_cmp_ngt_f32_e32 vcc, s88, v21
	v_pk_mul_f16 v2, v22, v2 op_sel_hi:[0,1]
	v_pk_mul_f16 v1, v22, v1 op_sel_hi:[0,1]
	;; [unrolled: 1-line block ×16, first 2 shown]
	v_mul_f32_e32 v22, 0x3fb8aa3b, v21
	v_fma_f32 v24, v21, s25, -v22
	v_rndne_f32_e32 v25, v22
	v_fmac_f32_e32 v24, 0x32a5705f, v21
	v_sub_f32_e32 v22, v22, v25
	v_add_f32_e32 v22, v22, v24
	v_exp_f32_e32 v22, v22
	v_cvt_i32_f32_e32 v24, v25
	v_ldexp_f32 v22, v22, v24
	v_cndmask_b32_e32 v22, 0, v22, vcc
	v_cmp_nlt_f32_e32 vcc, s61, v21
	v_cndmask_b32_e32 v21, v188, v22, vcc
	v_fmac_f32_e32 v21, v5, v4
	v_pk_mov_b32 v[4:5], v[20:21], v[20:21] op_sel:[0,1]
.LBB25_253:                             ;   in Loop: Header=BB25_16 Depth=1
	s_or_b64 exec, exec, s[28:29]
	s_mov_b64 s[28:29], exec
	v_readlane_b32 s22, v219, 57
	v_readlane_b32 s23, v219, 58
	s_and_b64 s[22:23], s[28:29], s[22:23]
	s_mov_b64 exec, s[22:23]
	s_cbranch_execz .LBB25_255
; %bb.254:                              ;   in Loop: Header=BB25_16 Depth=1
	v_add_u32_e32 v20, 0, v111
	ds_write2_b32 v20, v4, v5 offset0:64 offset1:65
.LBB25_255:                             ;   in Loop: Header=BB25_16 Depth=1
	s_or_b64 exec, exec, s[28:29]
	v_readlane_b32 s28, v219, 55
	v_readlane_b32 s29, v219, 56
	s_waitcnt lgkmcnt(0)
	s_barrier
	s_and_saveexec_b64 s[22:23], s[28:29]
	s_xor_b64 s[28:29], exec, s[22:23]
	s_cbranch_execz .LBB25_257
; %bb.256:                              ;   in Loop: Header=BB25_16 Depth=1
	s_barrier
	s_waitcnt lgkmcnt(0)
                                        ; implicit-def: $vgpr23
                                        ; implicit-def: $vgpr19
.LBB25_257:                             ;   in Loop: Header=BB25_16 Depth=1
	s_andn2_saveexec_b64 s[28:29], s[28:29]
	s_cbranch_execz .LBB25_259
; %bb.258:                              ;   in Loop: Header=BB25_16 Depth=1
	v_add_u32_e32 v20, 0, v111
	ds_read_b64 v[4:5], v20 offset:256
	s_waitcnt lgkmcnt(0)
	s_barrier
	ds_bpermute_b32 v21, v23, v4
	v_max_f32_e32 v22, v4, v4
	s_waitcnt lgkmcnt(0)
	v_max_f32_e32 v21, v21, v21
	v_max_f32_e32 v21, v22, v21
	ds_bpermute_b32 v22, v19, v21
	s_waitcnt lgkmcnt(0)
	v_max_f32_e32 v22, v22, v22
	v_max_f32_e32 v21, v21, v22
	v_sub_f32_e32 v4, v4, v21
	v_mul_f32_e32 v21, 0x3fb8aa3b, v4
	v_fma_f32 v22, v4, s25, -v21
	v_rndne_f32_e32 v24, v21
	v_fmac_f32_e32 v22, 0x32a5705f, v4
	v_sub_f32_e32 v21, v21, v24
	v_add_f32_e32 v21, v21, v22
	v_cvt_i32_f32_e32 v24, v24
	v_exp_f32_e32 v21, v21
	v_cmp_ngt_f32_e32 vcc, s88, v4
	v_ldexp_f32 v21, v21, v24
	v_cndmask_b32_e32 v21, 0, v21, vcc
	v_cmp_nlt_f32_e32 vcc, s61, v4
	v_cndmask_b32_e32 v4, v188, v21, vcc
	v_mul_f32_e32 v21, v5, v4
	ds_bpermute_b32 v21, v23, v21
	s_waitcnt lgkmcnt(0)
	v_fmac_f32_e32 v21, v5, v4
	ds_bpermute_b32 v5, v19, v21
	s_waitcnt lgkmcnt(0)
	v_add_f32_e32 v5, v21, v5
	ds_write_b64 v20, v[4:5] offset:256
.LBB25_259:                             ;   in Loop: Header=BB25_16 Depth=1
	s_or_b64 exec, exec, s[28:29]
	ds_write2_b32 v112, v2, v1 offset1:1
	ds_write2_b32 v112, v6, v3 offset0:8 offset1:9
	ds_write2_b32 v112, v8, v7 offset0:16 offset1:17
	ds_write2_b32 v112, v10, v9 offset0:24 offset1:25
	ds_write2_b32 v112, v12, v11 offset0:32 offset1:33
	ds_write2_b32 v112, v14, v13 offset0:40 offset1:41
	ds_write2_b32 v112, v16, v15 offset0:48 offset1:49
	ds_write2_b32 v112, v18, v17 offset0:56 offset1:57
	s_waitcnt lgkmcnt(0)
	s_barrier
	s_mov_b64 s[28:29], exec
	v_readlane_b32 s22, v219, 53
	v_readlane_b32 s23, v219, 54
	s_and_b64 s[22:23], s[28:29], s[22:23]
	s_mov_b64 exec, s[22:23]
	s_cbranch_execz .LBB25_14
; %bb.260:                              ;   in Loop: Header=BB25_16 Depth=1
	v_add_u32_e32 v1, s98, v88
	v_cmp_gt_i32_e32 vcc, s60, v1
	v_mov_b32_e32 v2, 0x47
	s_and_saveexec_b64 s[30:31], vcc
	s_cbranch_execz .LBB25_262
; %bb.261:                              ;   in Loop: Header=BB25_16 Depth=1
	v_add_u32_e32 v10, 0, v114
	ds_read2_b32 v[2:3], v10 offset0:64 offset1:65
	ds_read2st64_b32 v[4:5], v115 offset1:17
	ds_read2st64_b32 v[6:7], v10 offset0:18 offset1:35
	ds_read2st64_b32 v[8:9], v115 offset0:34 offset1:51
	ds_read_b32 v10, v10 offset:13312
	v_readlane_b32 s22, v219, 43
	s_waitcnt lgkmcnt(3)
	v_cvt_f32_f16_sdwa v15, v4 dst_sel:DWORD dst_unused:UNUSED_PAD src0_sel:WORD_1
	v_cvt_f32_f16_e32 v14, v4
	v_cvt_f32_f16_sdwa v17, v5 dst_sel:DWORD dst_unused:UNUSED_PAD src0_sel:WORD_1
	v_cvt_f32_f16_e32 v16, v5
	v_mad_u64_u32 v[12:13], s[22:23], s22, v1, v[26:27]
	v_pk_fma_f32 v[14:15], v[2:3], v[14:15], 0 op_sel_hi:[0,1,0]
	s_waitcnt lgkmcnt(2)
	v_pk_fma_f32 v[4:5], v[6:7], v[16:17], v[14:15] op_sel_hi:[0,1,1]
	s_waitcnt lgkmcnt(1)
	v_cvt_f32_f16_sdwa v15, v8 dst_sel:DWORD dst_unused:UNUSED_PAD src0_sel:WORD_1
	v_cvt_f32_f16_e32 v14, v8
	v_mov_b32_e32 v2, v7
	v_cvt_f32_f16_sdwa v7, v9 dst_sel:DWORD dst_unused:UNUSED_PAD src0_sel:WORD_1
	v_cvt_f32_f16_e32 v6, v9
	v_ashrrev_i32_e32 v13, 31, v12
	v_lshlrev_b64 v[12:13], 3, v[12:13]
	v_readlane_b32 s22, v218, 0
	v_add_co_u32_e32 v12, vcc, s22, v12
	v_readlane_b32 s22, v218, 1
	v_pk_fma_f32 v[4:5], v[2:3], v[14:15], v[4:5] op_sel_hi:[0,1,1]
	v_mov_b32_e32 v1, s22
	s_waitcnt lgkmcnt(0)
	v_pk_fma_f32 v[4:5], v[10:11], v[6:7], v[4:5] op_sel_hi:[0,1,1]
	v_addc_co_u32_e32 v13, vcc, v1, v13, vcc
	v_div_scale_f32 v1, s[22:23], v3, v3, v5
	v_rcp_f32_e32 v2, v1
	v_fma_f32 v6, -v1, v2, 1.0
	v_fmac_f32_e32 v2, v6, v2
	v_div_scale_f32 v6, vcc, v5, v3, v5
	v_mul_f32_e32 v7, v6, v2
	v_fma_f32 v8, -v1, v7, v6
	v_fmac_f32_e32 v7, v8, v2
	v_fma_f32 v1, -v1, v7, v6
	v_div_fmas_f32 v1, v1, v2, v7
	v_div_fixup_f32 v5, v1, v3, v5
	v_div_scale_f32 v1, s[22:23], v3, v3, v4
	v_rcp_f32_e32 v2, v1
	v_fma_f32 v6, -v1, v2, 1.0
	v_fmac_f32_e32 v2, v6, v2
	v_div_scale_f32 v6, vcc, v4, v3, v4
	v_mul_f32_e32 v7, v6, v2
	v_fma_f32 v8, -v1, v7, v6
	v_fmac_f32_e32 v7, v8, v2
	v_fma_f32 v1, -v1, v7, v6
	v_div_fmas_f32 v1, v1, v2, v7
	v_div_fixup_f32 v4, v1, v3, v4
	v_mov_b32_e32 v2, 0
	global_store_dwordx2 v[12:13], v[4:5], off
.LBB25_262:                             ;   in Loop: Header=BB25_16 Depth=1
	s_or_b64 exec, exec, s[30:31]
	s_movk_i32 s22, 0x47
	v_cmp_gt_i32_e32 vcc, s22, v2
	s_mov_b64 s[30:31], -1
	s_and_saveexec_b64 s[34:35], vcc
; %bb.263:                              ;   in Loop: Header=BB25_16 Depth=1
	v_cmp_eq_u32_e32 vcc, 0, v2
	s_orn2_b64 s[30:31], vcc, exec
; %bb.264:                              ;   in Loop: Header=BB25_16 Depth=1
	s_or_b64 exec, exec, s[34:35]
	s_and_b64 exec, exec, s[30:31]
	s_cbranch_execz .LBB25_14
; %bb.265:                              ;   in Loop: Header=BB25_16 Depth=1
	v_add_u32_e32 v1, s98, v89
	v_cmp_gt_i32_e32 vcc, s60, v1
	v_mov_b32_e32 v2, 0x47
	s_and_saveexec_b64 s[30:31], vcc
	s_cbranch_execz .LBB25_267
; %bb.266:                              ;   in Loop: Header=BB25_16 Depth=1
	v_add_u32_e32 v10, 0, v116
	ds_read2_b32 v[2:3], v10 offset0:64 offset1:65
	ds_read2st64_b32 v[4:5], v117 offset1:17
	ds_read2st64_b32 v[6:7], v10 offset0:18 offset1:35
	ds_read2st64_b32 v[8:9], v117 offset0:34 offset1:51
	ds_read_b32 v10, v10 offset:13312
	v_readlane_b32 s22, v219, 43
	s_waitcnt lgkmcnt(3)
	v_cvt_f32_f16_sdwa v15, v4 dst_sel:DWORD dst_unused:UNUSED_PAD src0_sel:WORD_1
	v_cvt_f32_f16_e32 v14, v4
	v_cvt_f32_f16_sdwa v17, v5 dst_sel:DWORD dst_unused:UNUSED_PAD src0_sel:WORD_1
	v_cvt_f32_f16_e32 v16, v5
	v_mad_u64_u32 v[12:13], s[22:23], s22, v1, v[26:27]
	v_pk_fma_f32 v[14:15], v[2:3], v[14:15], 0 op_sel_hi:[0,1,0]
	s_waitcnt lgkmcnt(2)
	v_pk_fma_f32 v[4:5], v[6:7], v[16:17], v[14:15] op_sel_hi:[0,1,1]
	s_waitcnt lgkmcnt(1)
	v_cvt_f32_f16_sdwa v15, v8 dst_sel:DWORD dst_unused:UNUSED_PAD src0_sel:WORD_1
	v_cvt_f32_f16_e32 v14, v8
	v_mov_b32_e32 v2, v7
	v_cvt_f32_f16_sdwa v7, v9 dst_sel:DWORD dst_unused:UNUSED_PAD src0_sel:WORD_1
	v_cvt_f32_f16_e32 v6, v9
	v_ashrrev_i32_e32 v13, 31, v12
	v_lshlrev_b64 v[12:13], 3, v[12:13]
	v_readlane_b32 s22, v218, 0
	v_add_co_u32_e32 v12, vcc, s22, v12
	v_readlane_b32 s22, v218, 1
	v_pk_fma_f32 v[4:5], v[2:3], v[14:15], v[4:5] op_sel_hi:[0,1,1]
	v_mov_b32_e32 v1, s22
	s_waitcnt lgkmcnt(0)
	v_pk_fma_f32 v[4:5], v[10:11], v[6:7], v[4:5] op_sel_hi:[0,1,1]
	v_addc_co_u32_e32 v13, vcc, v1, v13, vcc
	v_div_scale_f32 v1, s[22:23], v3, v3, v5
	v_rcp_f32_e32 v2, v1
	v_fma_f32 v6, -v1, v2, 1.0
	v_fmac_f32_e32 v2, v6, v2
	v_div_scale_f32 v6, vcc, v5, v3, v5
	v_mul_f32_e32 v7, v6, v2
	v_fma_f32 v8, -v1, v7, v6
	v_fmac_f32_e32 v7, v8, v2
	v_fma_f32 v1, -v1, v7, v6
	v_div_fmas_f32 v1, v1, v2, v7
	v_div_fixup_f32 v5, v1, v3, v5
	v_div_scale_f32 v1, s[22:23], v3, v3, v4
	v_rcp_f32_e32 v2, v1
	v_fma_f32 v6, -v1, v2, 1.0
	v_fmac_f32_e32 v2, v6, v2
	v_div_scale_f32 v6, vcc, v4, v3, v4
	v_mul_f32_e32 v7, v6, v2
	v_fma_f32 v8, -v1, v7, v6
	v_fmac_f32_e32 v7, v8, v2
	v_fma_f32 v1, -v1, v7, v6
	v_div_fmas_f32 v1, v1, v2, v7
	v_div_fixup_f32 v4, v1, v3, v4
	v_mov_b32_e32 v2, 0
	global_store_dwordx2 v[12:13], v[4:5], off
.LBB25_267:                             ;   in Loop: Header=BB25_16 Depth=1
	s_or_b64 exec, exec, s[30:31]
	s_movk_i32 s22, 0x47
	v_cmp_gt_i32_e32 vcc, s22, v2
	s_mov_b64 s[30:31], -1
	s_and_saveexec_b64 s[34:35], vcc
; %bb.268:                              ;   in Loop: Header=BB25_16 Depth=1
	v_cmp_eq_u32_e32 vcc, 0, v2
	s_orn2_b64 s[30:31], vcc, exec
; %bb.269:                              ;   in Loop: Header=BB25_16 Depth=1
	s_or_b64 exec, exec, s[34:35]
	s_and_b64 exec, exec, s[30:31]
	s_cbranch_execz .LBB25_14
; %bb.270:                              ;   in Loop: Header=BB25_16 Depth=1
	v_add_u32_e32 v1, s98, v90
	v_cmp_gt_i32_e32 vcc, s60, v1
	v_mov_b32_e32 v2, 0x47
	s_and_saveexec_b64 s[30:31], vcc
	s_cbranch_execz .LBB25_272
; %bb.271:                              ;   in Loop: Header=BB25_16 Depth=1
	v_add_u32_e32 v10, 0, v118
	ds_read2_b32 v[2:3], v10 offset0:64 offset1:65
	ds_read2st64_b32 v[4:5], v119 offset1:17
	ds_read2st64_b32 v[6:7], v10 offset0:18 offset1:35
	ds_read2st64_b32 v[8:9], v119 offset0:34 offset1:51
	ds_read_b32 v10, v10 offset:13312
	v_readlane_b32 s22, v219, 43
	s_waitcnt lgkmcnt(3)
	v_cvt_f32_f16_sdwa v15, v4 dst_sel:DWORD dst_unused:UNUSED_PAD src0_sel:WORD_1
	v_cvt_f32_f16_e32 v14, v4
	v_cvt_f32_f16_sdwa v17, v5 dst_sel:DWORD dst_unused:UNUSED_PAD src0_sel:WORD_1
	v_cvt_f32_f16_e32 v16, v5
	v_mad_u64_u32 v[12:13], s[22:23], s22, v1, v[26:27]
	v_pk_fma_f32 v[14:15], v[2:3], v[14:15], 0 op_sel_hi:[0,1,0]
	s_waitcnt lgkmcnt(2)
	v_pk_fma_f32 v[4:5], v[6:7], v[16:17], v[14:15] op_sel_hi:[0,1,1]
	s_waitcnt lgkmcnt(1)
	v_cvt_f32_f16_sdwa v15, v8 dst_sel:DWORD dst_unused:UNUSED_PAD src0_sel:WORD_1
	v_cvt_f32_f16_e32 v14, v8
	v_mov_b32_e32 v2, v7
	v_cvt_f32_f16_sdwa v7, v9 dst_sel:DWORD dst_unused:UNUSED_PAD src0_sel:WORD_1
	v_cvt_f32_f16_e32 v6, v9
	v_ashrrev_i32_e32 v13, 31, v12
	v_lshlrev_b64 v[12:13], 3, v[12:13]
	v_readlane_b32 s22, v218, 0
	v_add_co_u32_e32 v12, vcc, s22, v12
	v_readlane_b32 s22, v218, 1
	v_pk_fma_f32 v[4:5], v[2:3], v[14:15], v[4:5] op_sel_hi:[0,1,1]
	v_mov_b32_e32 v1, s22
	s_waitcnt lgkmcnt(0)
	v_pk_fma_f32 v[4:5], v[10:11], v[6:7], v[4:5] op_sel_hi:[0,1,1]
	v_addc_co_u32_e32 v13, vcc, v1, v13, vcc
	v_div_scale_f32 v1, s[22:23], v3, v3, v5
	v_rcp_f32_e32 v2, v1
	v_fma_f32 v6, -v1, v2, 1.0
	v_fmac_f32_e32 v2, v6, v2
	v_div_scale_f32 v6, vcc, v5, v3, v5
	v_mul_f32_e32 v7, v6, v2
	v_fma_f32 v8, -v1, v7, v6
	v_fmac_f32_e32 v7, v8, v2
	v_fma_f32 v1, -v1, v7, v6
	v_div_fmas_f32 v1, v1, v2, v7
	v_div_fixup_f32 v5, v1, v3, v5
	v_div_scale_f32 v1, s[22:23], v3, v3, v4
	v_rcp_f32_e32 v2, v1
	v_fma_f32 v6, -v1, v2, 1.0
	v_fmac_f32_e32 v2, v6, v2
	v_div_scale_f32 v6, vcc, v4, v3, v4
	v_mul_f32_e32 v7, v6, v2
	v_fma_f32 v8, -v1, v7, v6
	v_fmac_f32_e32 v7, v8, v2
	v_fma_f32 v1, -v1, v7, v6
	v_div_fmas_f32 v1, v1, v2, v7
	v_div_fixup_f32 v4, v1, v3, v4
	v_mov_b32_e32 v2, 0
	global_store_dwordx2 v[12:13], v[4:5], off
.LBB25_272:                             ;   in Loop: Header=BB25_16 Depth=1
	s_or_b64 exec, exec, s[30:31]
	s_movk_i32 s22, 0x47
	v_cmp_gt_i32_e32 vcc, s22, v2
	s_mov_b64 s[30:31], -1
	s_and_saveexec_b64 s[34:35], vcc
; %bb.273:                              ;   in Loop: Header=BB25_16 Depth=1
	v_cmp_eq_u32_e32 vcc, 0, v2
	s_orn2_b64 s[30:31], vcc, exec
; %bb.274:                              ;   in Loop: Header=BB25_16 Depth=1
	s_or_b64 exec, exec, s[34:35]
	s_and_b64 exec, exec, s[30:31]
	s_cbranch_execz .LBB25_14
; %bb.275:                              ;   in Loop: Header=BB25_16 Depth=1
	v_add_u32_e32 v1, s98, v91
	v_cmp_gt_i32_e32 vcc, s60, v1
	v_mov_b32_e32 v2, 0x47
	s_and_saveexec_b64 s[30:31], vcc
	s_cbranch_execz .LBB25_277
; %bb.276:                              ;   in Loop: Header=BB25_16 Depth=1
	v_add_u32_e32 v10, 0, v120
	ds_read2_b32 v[2:3], v10 offset0:64 offset1:65
	ds_read2st64_b32 v[4:5], v121 offset1:17
	ds_read2st64_b32 v[6:7], v10 offset0:18 offset1:35
	ds_read2st64_b32 v[8:9], v121 offset0:34 offset1:51
	ds_read_b32 v10, v10 offset:13312
	v_readlane_b32 s22, v219, 43
	s_waitcnt lgkmcnt(3)
	v_cvt_f32_f16_sdwa v15, v4 dst_sel:DWORD dst_unused:UNUSED_PAD src0_sel:WORD_1
	v_cvt_f32_f16_e32 v14, v4
	v_cvt_f32_f16_sdwa v17, v5 dst_sel:DWORD dst_unused:UNUSED_PAD src0_sel:WORD_1
	v_cvt_f32_f16_e32 v16, v5
	v_mad_u64_u32 v[12:13], s[22:23], s22, v1, v[26:27]
	v_pk_fma_f32 v[14:15], v[2:3], v[14:15], 0 op_sel_hi:[0,1,0]
	s_waitcnt lgkmcnt(2)
	v_pk_fma_f32 v[4:5], v[6:7], v[16:17], v[14:15] op_sel_hi:[0,1,1]
	s_waitcnt lgkmcnt(1)
	v_cvt_f32_f16_sdwa v15, v8 dst_sel:DWORD dst_unused:UNUSED_PAD src0_sel:WORD_1
	v_cvt_f32_f16_e32 v14, v8
	v_mov_b32_e32 v2, v7
	v_cvt_f32_f16_sdwa v7, v9 dst_sel:DWORD dst_unused:UNUSED_PAD src0_sel:WORD_1
	v_cvt_f32_f16_e32 v6, v9
	v_ashrrev_i32_e32 v13, 31, v12
	v_lshlrev_b64 v[12:13], 3, v[12:13]
	v_readlane_b32 s22, v218, 0
	v_add_co_u32_e32 v12, vcc, s22, v12
	v_readlane_b32 s22, v218, 1
	v_pk_fma_f32 v[4:5], v[2:3], v[14:15], v[4:5] op_sel_hi:[0,1,1]
	v_mov_b32_e32 v1, s22
	s_waitcnt lgkmcnt(0)
	v_pk_fma_f32 v[4:5], v[10:11], v[6:7], v[4:5] op_sel_hi:[0,1,1]
	v_addc_co_u32_e32 v13, vcc, v1, v13, vcc
	v_div_scale_f32 v1, s[22:23], v3, v3, v5
	v_rcp_f32_e32 v2, v1
	v_fma_f32 v6, -v1, v2, 1.0
	v_fmac_f32_e32 v2, v6, v2
	v_div_scale_f32 v6, vcc, v5, v3, v5
	v_mul_f32_e32 v7, v6, v2
	v_fma_f32 v8, -v1, v7, v6
	v_fmac_f32_e32 v7, v8, v2
	v_fma_f32 v1, -v1, v7, v6
	v_div_fmas_f32 v1, v1, v2, v7
	v_div_fixup_f32 v5, v1, v3, v5
	v_div_scale_f32 v1, s[22:23], v3, v3, v4
	v_rcp_f32_e32 v2, v1
	v_fma_f32 v6, -v1, v2, 1.0
	v_fmac_f32_e32 v2, v6, v2
	v_div_scale_f32 v6, vcc, v4, v3, v4
	v_mul_f32_e32 v7, v6, v2
	v_fma_f32 v8, -v1, v7, v6
	v_fmac_f32_e32 v7, v8, v2
	v_fma_f32 v1, -v1, v7, v6
	v_div_fmas_f32 v1, v1, v2, v7
	v_div_fixup_f32 v4, v1, v3, v4
	v_mov_b32_e32 v2, 0
	global_store_dwordx2 v[12:13], v[4:5], off
.LBB25_277:                             ;   in Loop: Header=BB25_16 Depth=1
	s_or_b64 exec, exec, s[30:31]
	s_movk_i32 s22, 0x47
	v_cmp_gt_i32_e32 vcc, s22, v2
	s_mov_b64 s[30:31], -1
	s_and_saveexec_b64 s[34:35], vcc
; %bb.278:                              ;   in Loop: Header=BB25_16 Depth=1
	v_cmp_eq_u32_e32 vcc, 0, v2
	s_orn2_b64 s[30:31], vcc, exec
; %bb.279:                              ;   in Loop: Header=BB25_16 Depth=1
	s_or_b64 exec, exec, s[34:35]
	s_and_b64 exec, exec, s[30:31]
	s_cbranch_execz .LBB25_14
; %bb.280:                              ;   in Loop: Header=BB25_16 Depth=1
	v_add_u32_e32 v1, s98, v92
	v_cmp_gt_i32_e32 vcc, s60, v1
	v_mov_b32_e32 v2, 0x47
	s_and_saveexec_b64 s[30:31], vcc
	s_cbranch_execz .LBB25_282
; %bb.281:                              ;   in Loop: Header=BB25_16 Depth=1
	v_add_u32_e32 v10, 0, v122
	ds_read2_b32 v[2:3], v10 offset0:64 offset1:65
	ds_read2st64_b32 v[4:5], v123 offset1:17
	ds_read2st64_b32 v[6:7], v10 offset0:18 offset1:35
	ds_read2st64_b32 v[8:9], v123 offset0:34 offset1:51
	ds_read_b32 v10, v10 offset:13312
	v_readlane_b32 s22, v219, 43
	s_waitcnt lgkmcnt(3)
	v_cvt_f32_f16_sdwa v15, v4 dst_sel:DWORD dst_unused:UNUSED_PAD src0_sel:WORD_1
	v_cvt_f32_f16_e32 v14, v4
	v_cvt_f32_f16_sdwa v17, v5 dst_sel:DWORD dst_unused:UNUSED_PAD src0_sel:WORD_1
	v_cvt_f32_f16_e32 v16, v5
	v_mad_u64_u32 v[12:13], s[22:23], s22, v1, v[26:27]
	v_pk_fma_f32 v[14:15], v[2:3], v[14:15], 0 op_sel_hi:[0,1,0]
	s_waitcnt lgkmcnt(2)
	v_pk_fma_f32 v[4:5], v[6:7], v[16:17], v[14:15] op_sel_hi:[0,1,1]
	s_waitcnt lgkmcnt(1)
	v_cvt_f32_f16_sdwa v15, v8 dst_sel:DWORD dst_unused:UNUSED_PAD src0_sel:WORD_1
	v_cvt_f32_f16_e32 v14, v8
	v_mov_b32_e32 v2, v7
	v_cvt_f32_f16_sdwa v7, v9 dst_sel:DWORD dst_unused:UNUSED_PAD src0_sel:WORD_1
	v_cvt_f32_f16_e32 v6, v9
	v_ashrrev_i32_e32 v13, 31, v12
	v_lshlrev_b64 v[12:13], 3, v[12:13]
	v_readlane_b32 s22, v218, 0
	v_add_co_u32_e32 v12, vcc, s22, v12
	v_readlane_b32 s22, v218, 1
	v_pk_fma_f32 v[4:5], v[2:3], v[14:15], v[4:5] op_sel_hi:[0,1,1]
	v_mov_b32_e32 v1, s22
	s_waitcnt lgkmcnt(0)
	v_pk_fma_f32 v[4:5], v[10:11], v[6:7], v[4:5] op_sel_hi:[0,1,1]
	v_addc_co_u32_e32 v13, vcc, v1, v13, vcc
	v_div_scale_f32 v1, s[22:23], v3, v3, v5
	v_rcp_f32_e32 v2, v1
	v_fma_f32 v6, -v1, v2, 1.0
	v_fmac_f32_e32 v2, v6, v2
	v_div_scale_f32 v6, vcc, v5, v3, v5
	v_mul_f32_e32 v7, v6, v2
	v_fma_f32 v8, -v1, v7, v6
	v_fmac_f32_e32 v7, v8, v2
	v_fma_f32 v1, -v1, v7, v6
	v_div_fmas_f32 v1, v1, v2, v7
	v_div_fixup_f32 v5, v1, v3, v5
	v_div_scale_f32 v1, s[22:23], v3, v3, v4
	v_rcp_f32_e32 v2, v1
	v_fma_f32 v6, -v1, v2, 1.0
	v_fmac_f32_e32 v2, v6, v2
	v_div_scale_f32 v6, vcc, v4, v3, v4
	v_mul_f32_e32 v7, v6, v2
	v_fma_f32 v8, -v1, v7, v6
	v_fmac_f32_e32 v7, v8, v2
	v_fma_f32 v1, -v1, v7, v6
	v_div_fmas_f32 v1, v1, v2, v7
	v_div_fixup_f32 v4, v1, v3, v4
	v_mov_b32_e32 v2, 0
	global_store_dwordx2 v[12:13], v[4:5], off
.LBB25_282:                             ;   in Loop: Header=BB25_16 Depth=1
	s_or_b64 exec, exec, s[30:31]
	s_movk_i32 s22, 0x47
	v_cmp_gt_i32_e32 vcc, s22, v2
	s_mov_b64 s[30:31], -1
	s_and_saveexec_b64 s[34:35], vcc
; %bb.283:                              ;   in Loop: Header=BB25_16 Depth=1
	v_cmp_eq_u32_e32 vcc, 0, v2
	s_orn2_b64 s[30:31], vcc, exec
; %bb.284:                              ;   in Loop: Header=BB25_16 Depth=1
	s_or_b64 exec, exec, s[34:35]
	s_and_b64 exec, exec, s[30:31]
	s_cbranch_execz .LBB25_14
; %bb.285:                              ;   in Loop: Header=BB25_16 Depth=1
	v_add_u32_e32 v1, s98, v93
	v_cmp_gt_i32_e32 vcc, s60, v1
	v_mov_b32_e32 v2, 0x47
	s_and_saveexec_b64 s[30:31], vcc
	s_cbranch_execz .LBB25_287
; %bb.286:                              ;   in Loop: Header=BB25_16 Depth=1
	v_add_u32_e32 v10, 0, v124
	ds_read2_b32 v[2:3], v10 offset0:64 offset1:65
	ds_read2st64_b32 v[4:5], v125 offset1:17
	ds_read2st64_b32 v[6:7], v10 offset0:18 offset1:35
	ds_read2st64_b32 v[8:9], v125 offset0:34 offset1:51
	ds_read_b32 v10, v10 offset:13312
	v_readlane_b32 s22, v219, 43
	s_waitcnt lgkmcnt(3)
	v_cvt_f32_f16_sdwa v15, v4 dst_sel:DWORD dst_unused:UNUSED_PAD src0_sel:WORD_1
	v_cvt_f32_f16_e32 v14, v4
	v_cvt_f32_f16_sdwa v17, v5 dst_sel:DWORD dst_unused:UNUSED_PAD src0_sel:WORD_1
	v_cvt_f32_f16_e32 v16, v5
	v_mad_u64_u32 v[12:13], s[22:23], s22, v1, v[26:27]
	v_pk_fma_f32 v[14:15], v[2:3], v[14:15], 0 op_sel_hi:[0,1,0]
	s_waitcnt lgkmcnt(2)
	v_pk_fma_f32 v[4:5], v[6:7], v[16:17], v[14:15] op_sel_hi:[0,1,1]
	s_waitcnt lgkmcnt(1)
	v_cvt_f32_f16_sdwa v15, v8 dst_sel:DWORD dst_unused:UNUSED_PAD src0_sel:WORD_1
	v_cvt_f32_f16_e32 v14, v8
	v_mov_b32_e32 v2, v7
	v_cvt_f32_f16_sdwa v7, v9 dst_sel:DWORD dst_unused:UNUSED_PAD src0_sel:WORD_1
	v_cvt_f32_f16_e32 v6, v9
	v_ashrrev_i32_e32 v13, 31, v12
	v_lshlrev_b64 v[12:13], 3, v[12:13]
	v_readlane_b32 s22, v218, 0
	v_add_co_u32_e32 v12, vcc, s22, v12
	v_readlane_b32 s22, v218, 1
	v_pk_fma_f32 v[4:5], v[2:3], v[14:15], v[4:5] op_sel_hi:[0,1,1]
	v_mov_b32_e32 v1, s22
	s_waitcnt lgkmcnt(0)
	v_pk_fma_f32 v[4:5], v[10:11], v[6:7], v[4:5] op_sel_hi:[0,1,1]
	v_addc_co_u32_e32 v13, vcc, v1, v13, vcc
	v_div_scale_f32 v1, s[22:23], v3, v3, v5
	v_rcp_f32_e32 v2, v1
	v_fma_f32 v6, -v1, v2, 1.0
	v_fmac_f32_e32 v2, v6, v2
	v_div_scale_f32 v6, vcc, v5, v3, v5
	v_mul_f32_e32 v7, v6, v2
	v_fma_f32 v8, -v1, v7, v6
	v_fmac_f32_e32 v7, v8, v2
	v_fma_f32 v1, -v1, v7, v6
	v_div_fmas_f32 v1, v1, v2, v7
	v_div_fixup_f32 v5, v1, v3, v5
	v_div_scale_f32 v1, s[22:23], v3, v3, v4
	v_rcp_f32_e32 v2, v1
	v_fma_f32 v6, -v1, v2, 1.0
	v_fmac_f32_e32 v2, v6, v2
	v_div_scale_f32 v6, vcc, v4, v3, v4
	v_mul_f32_e32 v7, v6, v2
	v_fma_f32 v8, -v1, v7, v6
	v_fmac_f32_e32 v7, v8, v2
	v_fma_f32 v1, -v1, v7, v6
	v_div_fmas_f32 v1, v1, v2, v7
	v_div_fixup_f32 v4, v1, v3, v4
	v_mov_b32_e32 v2, 0
	global_store_dwordx2 v[12:13], v[4:5], off
.LBB25_287:                             ;   in Loop: Header=BB25_16 Depth=1
	s_or_b64 exec, exec, s[30:31]
	s_movk_i32 s22, 0x47
	v_cmp_gt_i32_e32 vcc, s22, v2
	s_mov_b64 s[30:31], -1
	s_and_saveexec_b64 s[34:35], vcc
; %bb.288:                              ;   in Loop: Header=BB25_16 Depth=1
	v_cmp_eq_u32_e32 vcc, 0, v2
	s_orn2_b64 s[30:31], vcc, exec
; %bb.289:                              ;   in Loop: Header=BB25_16 Depth=1
	s_or_b64 exec, exec, s[34:35]
	s_and_b64 exec, exec, s[30:31]
	s_cbranch_execz .LBB25_14
; %bb.290:                              ;   in Loop: Header=BB25_16 Depth=1
	v_add_u32_e32 v1, s98, v94
	v_cmp_gt_i32_e32 vcc, s60, v1
	v_mov_b32_e32 v2, 0x47
	s_and_saveexec_b64 s[30:31], vcc
	s_cbranch_execz .LBB25_292
; %bb.291:                              ;   in Loop: Header=BB25_16 Depth=1
	v_add_u32_e32 v10, 0, v126
	ds_read2_b32 v[2:3], v10 offset0:64 offset1:65
	ds_read2st64_b32 v[4:5], v127 offset1:17
	ds_read2st64_b32 v[6:7], v10 offset0:18 offset1:35
	ds_read2st64_b32 v[8:9], v127 offset0:34 offset1:51
	ds_read_b32 v10, v10 offset:13312
	v_readlane_b32 s22, v219, 43
	s_waitcnt lgkmcnt(3)
	v_cvt_f32_f16_sdwa v15, v4 dst_sel:DWORD dst_unused:UNUSED_PAD src0_sel:WORD_1
	v_cvt_f32_f16_e32 v14, v4
	v_cvt_f32_f16_sdwa v17, v5 dst_sel:DWORD dst_unused:UNUSED_PAD src0_sel:WORD_1
	v_cvt_f32_f16_e32 v16, v5
	v_mad_u64_u32 v[12:13], s[22:23], s22, v1, v[26:27]
	v_pk_fma_f32 v[14:15], v[2:3], v[14:15], 0 op_sel_hi:[0,1,0]
	s_waitcnt lgkmcnt(2)
	v_pk_fma_f32 v[4:5], v[6:7], v[16:17], v[14:15] op_sel_hi:[0,1,1]
	s_waitcnt lgkmcnt(1)
	v_cvt_f32_f16_sdwa v15, v8 dst_sel:DWORD dst_unused:UNUSED_PAD src0_sel:WORD_1
	v_cvt_f32_f16_e32 v14, v8
	v_mov_b32_e32 v2, v7
	v_cvt_f32_f16_sdwa v7, v9 dst_sel:DWORD dst_unused:UNUSED_PAD src0_sel:WORD_1
	v_cvt_f32_f16_e32 v6, v9
	v_ashrrev_i32_e32 v13, 31, v12
	v_lshlrev_b64 v[12:13], 3, v[12:13]
	v_readlane_b32 s22, v218, 0
	v_add_co_u32_e32 v12, vcc, s22, v12
	v_readlane_b32 s22, v218, 1
	v_pk_fma_f32 v[4:5], v[2:3], v[14:15], v[4:5] op_sel_hi:[0,1,1]
	v_mov_b32_e32 v1, s22
	s_waitcnt lgkmcnt(0)
	v_pk_fma_f32 v[4:5], v[10:11], v[6:7], v[4:5] op_sel_hi:[0,1,1]
	v_addc_co_u32_e32 v13, vcc, v1, v13, vcc
	v_div_scale_f32 v1, s[22:23], v3, v3, v5
	v_rcp_f32_e32 v2, v1
	v_fma_f32 v6, -v1, v2, 1.0
	v_fmac_f32_e32 v2, v6, v2
	v_div_scale_f32 v6, vcc, v5, v3, v5
	v_mul_f32_e32 v7, v6, v2
	v_fma_f32 v8, -v1, v7, v6
	v_fmac_f32_e32 v7, v8, v2
	v_fma_f32 v1, -v1, v7, v6
	v_div_fmas_f32 v1, v1, v2, v7
	v_div_fixup_f32 v5, v1, v3, v5
	v_div_scale_f32 v1, s[22:23], v3, v3, v4
	v_rcp_f32_e32 v2, v1
	v_fma_f32 v6, -v1, v2, 1.0
	v_fmac_f32_e32 v2, v6, v2
	v_div_scale_f32 v6, vcc, v4, v3, v4
	v_mul_f32_e32 v7, v6, v2
	v_fma_f32 v8, -v1, v7, v6
	v_fmac_f32_e32 v7, v8, v2
	v_fma_f32 v1, -v1, v7, v6
	v_div_fmas_f32 v1, v1, v2, v7
	v_div_fixup_f32 v4, v1, v3, v4
	v_mov_b32_e32 v2, 0
	global_store_dwordx2 v[12:13], v[4:5], off
.LBB25_292:                             ;   in Loop: Header=BB25_16 Depth=1
	s_or_b64 exec, exec, s[30:31]
	s_movk_i32 s22, 0x47
	v_cmp_gt_i32_e32 vcc, s22, v2
	s_mov_b64 s[30:31], -1
	s_and_saveexec_b64 s[34:35], vcc
; %bb.293:                              ;   in Loop: Header=BB25_16 Depth=1
	v_cmp_eq_u32_e32 vcc, 0, v2
	s_orn2_b64 s[30:31], vcc, exec
; %bb.294:                              ;   in Loop: Header=BB25_16 Depth=1
	s_or_b64 exec, exec, s[34:35]
	s_and_b64 exec, exec, s[30:31]
	s_cbranch_execz .LBB25_14
; %bb.295:                              ;   in Loop: Header=BB25_16 Depth=1
	v_add_u32_e32 v1, s98, v95
	v_cmp_gt_i32_e32 vcc, s60, v1
	v_mov_b32_e32 v2, 0x47
	s_and_saveexec_b64 s[30:31], vcc
	s_cbranch_execz .LBB25_297
; %bb.296:                              ;   in Loop: Header=BB25_16 Depth=1
	v_add_u32_e32 v10, 0, v128
	ds_read2_b32 v[2:3], v10 offset0:64 offset1:65
	ds_read2st64_b32 v[4:5], v129 offset1:17
	ds_read2st64_b32 v[6:7], v10 offset0:18 offset1:35
	ds_read2st64_b32 v[8:9], v129 offset0:34 offset1:51
	ds_read_b32 v10, v10 offset:13312
	v_readlane_b32 s22, v219, 43
	s_waitcnt lgkmcnt(3)
	v_cvt_f32_f16_sdwa v15, v4 dst_sel:DWORD dst_unused:UNUSED_PAD src0_sel:WORD_1
	v_cvt_f32_f16_e32 v14, v4
	v_cvt_f32_f16_sdwa v17, v5 dst_sel:DWORD dst_unused:UNUSED_PAD src0_sel:WORD_1
	v_cvt_f32_f16_e32 v16, v5
	v_mad_u64_u32 v[12:13], s[22:23], s22, v1, v[26:27]
	v_pk_fma_f32 v[14:15], v[2:3], v[14:15], 0 op_sel_hi:[0,1,0]
	s_waitcnt lgkmcnt(2)
	v_pk_fma_f32 v[4:5], v[6:7], v[16:17], v[14:15] op_sel_hi:[0,1,1]
	s_waitcnt lgkmcnt(1)
	v_cvt_f32_f16_sdwa v15, v8 dst_sel:DWORD dst_unused:UNUSED_PAD src0_sel:WORD_1
	v_cvt_f32_f16_e32 v14, v8
	v_mov_b32_e32 v2, v7
	v_cvt_f32_f16_sdwa v7, v9 dst_sel:DWORD dst_unused:UNUSED_PAD src0_sel:WORD_1
	v_cvt_f32_f16_e32 v6, v9
	v_ashrrev_i32_e32 v13, 31, v12
	v_lshlrev_b64 v[12:13], 3, v[12:13]
	v_readlane_b32 s22, v218, 0
	v_add_co_u32_e32 v12, vcc, s22, v12
	v_readlane_b32 s22, v218, 1
	v_pk_fma_f32 v[4:5], v[2:3], v[14:15], v[4:5] op_sel_hi:[0,1,1]
	v_mov_b32_e32 v1, s22
	s_waitcnt lgkmcnt(0)
	v_pk_fma_f32 v[4:5], v[10:11], v[6:7], v[4:5] op_sel_hi:[0,1,1]
	v_addc_co_u32_e32 v13, vcc, v1, v13, vcc
	v_div_scale_f32 v1, s[22:23], v3, v3, v5
	v_rcp_f32_e32 v2, v1
	v_fma_f32 v6, -v1, v2, 1.0
	v_fmac_f32_e32 v2, v6, v2
	v_div_scale_f32 v6, vcc, v5, v3, v5
	v_mul_f32_e32 v7, v6, v2
	v_fma_f32 v8, -v1, v7, v6
	v_fmac_f32_e32 v7, v8, v2
	v_fma_f32 v1, -v1, v7, v6
	v_div_fmas_f32 v1, v1, v2, v7
	v_div_fixup_f32 v5, v1, v3, v5
	v_div_scale_f32 v1, s[22:23], v3, v3, v4
	v_rcp_f32_e32 v2, v1
	v_fma_f32 v6, -v1, v2, 1.0
	v_fmac_f32_e32 v2, v6, v2
	v_div_scale_f32 v6, vcc, v4, v3, v4
	v_mul_f32_e32 v7, v6, v2
	v_fma_f32 v8, -v1, v7, v6
	v_fmac_f32_e32 v7, v8, v2
	v_fma_f32 v1, -v1, v7, v6
	v_div_fmas_f32 v1, v1, v2, v7
	v_div_fixup_f32 v4, v1, v3, v4
	v_mov_b32_e32 v2, 0
	global_store_dwordx2 v[12:13], v[4:5], off
.LBB25_297:                             ;   in Loop: Header=BB25_16 Depth=1
	s_or_b64 exec, exec, s[30:31]
	s_movk_i32 s22, 0x47
	v_cmp_gt_i32_e32 vcc, s22, v2
	s_mov_b64 s[30:31], -1
	s_and_saveexec_b64 s[34:35], vcc
; %bb.298:                              ;   in Loop: Header=BB25_16 Depth=1
	v_cmp_eq_u32_e32 vcc, 0, v2
	s_orn2_b64 s[30:31], vcc, exec
; %bb.299:                              ;   in Loop: Header=BB25_16 Depth=1
	s_or_b64 exec, exec, s[34:35]
	s_and_b64 exec, exec, s[30:31]
	s_cbranch_execz .LBB25_14
; %bb.300:                              ;   in Loop: Header=BB25_16 Depth=1
	v_add_u32_e32 v1, s98, v96
	v_cmp_gt_i32_e32 vcc, s60, v1
	v_mov_b32_e32 v2, 0x47
	s_and_saveexec_b64 s[30:31], vcc
	s_cbranch_execz .LBB25_302
; %bb.301:                              ;   in Loop: Header=BB25_16 Depth=1
	v_add_u32_e32 v10, 0, v130
	ds_read2_b32 v[2:3], v10 offset0:64 offset1:65
	ds_read2st64_b32 v[4:5], v131 offset1:17
	ds_read2st64_b32 v[6:7], v10 offset0:18 offset1:35
	ds_read2st64_b32 v[8:9], v131 offset0:34 offset1:51
	ds_read_b32 v10, v10 offset:13312
	v_readlane_b32 s22, v219, 43
	s_waitcnt lgkmcnt(3)
	v_cvt_f32_f16_sdwa v15, v4 dst_sel:DWORD dst_unused:UNUSED_PAD src0_sel:WORD_1
	v_cvt_f32_f16_e32 v14, v4
	v_cvt_f32_f16_sdwa v17, v5 dst_sel:DWORD dst_unused:UNUSED_PAD src0_sel:WORD_1
	v_cvt_f32_f16_e32 v16, v5
	v_mad_u64_u32 v[12:13], s[22:23], s22, v1, v[26:27]
	v_pk_fma_f32 v[14:15], v[2:3], v[14:15], 0 op_sel_hi:[0,1,0]
	s_waitcnt lgkmcnt(2)
	v_pk_fma_f32 v[4:5], v[6:7], v[16:17], v[14:15] op_sel_hi:[0,1,1]
	s_waitcnt lgkmcnt(1)
	v_cvt_f32_f16_sdwa v15, v8 dst_sel:DWORD dst_unused:UNUSED_PAD src0_sel:WORD_1
	v_cvt_f32_f16_e32 v14, v8
	v_mov_b32_e32 v2, v7
	v_cvt_f32_f16_sdwa v7, v9 dst_sel:DWORD dst_unused:UNUSED_PAD src0_sel:WORD_1
	v_cvt_f32_f16_e32 v6, v9
	v_ashrrev_i32_e32 v13, 31, v12
	v_lshlrev_b64 v[12:13], 3, v[12:13]
	v_readlane_b32 s22, v218, 0
	v_add_co_u32_e32 v12, vcc, s22, v12
	v_readlane_b32 s22, v218, 1
	v_pk_fma_f32 v[4:5], v[2:3], v[14:15], v[4:5] op_sel_hi:[0,1,1]
	v_mov_b32_e32 v1, s22
	s_waitcnt lgkmcnt(0)
	v_pk_fma_f32 v[4:5], v[10:11], v[6:7], v[4:5] op_sel_hi:[0,1,1]
	v_addc_co_u32_e32 v13, vcc, v1, v13, vcc
	v_div_scale_f32 v1, s[22:23], v3, v3, v5
	v_rcp_f32_e32 v2, v1
	v_fma_f32 v6, -v1, v2, 1.0
	v_fmac_f32_e32 v2, v6, v2
	v_div_scale_f32 v6, vcc, v5, v3, v5
	v_mul_f32_e32 v7, v6, v2
	v_fma_f32 v8, -v1, v7, v6
	v_fmac_f32_e32 v7, v8, v2
	v_fma_f32 v1, -v1, v7, v6
	v_div_fmas_f32 v1, v1, v2, v7
	v_div_fixup_f32 v5, v1, v3, v5
	v_div_scale_f32 v1, s[22:23], v3, v3, v4
	v_rcp_f32_e32 v2, v1
	v_fma_f32 v6, -v1, v2, 1.0
	v_fmac_f32_e32 v2, v6, v2
	v_div_scale_f32 v6, vcc, v4, v3, v4
	v_mul_f32_e32 v7, v6, v2
	v_fma_f32 v8, -v1, v7, v6
	v_fmac_f32_e32 v7, v8, v2
	v_fma_f32 v1, -v1, v7, v6
	v_div_fmas_f32 v1, v1, v2, v7
	v_div_fixup_f32 v4, v1, v3, v4
	v_mov_b32_e32 v2, 0
	global_store_dwordx2 v[12:13], v[4:5], off
.LBB25_302:                             ;   in Loop: Header=BB25_16 Depth=1
	s_or_b64 exec, exec, s[30:31]
	s_movk_i32 s22, 0x47
	v_cmp_gt_i32_e32 vcc, s22, v2
	s_mov_b64 s[30:31], -1
	s_and_saveexec_b64 s[34:35], vcc
; %bb.303:                              ;   in Loop: Header=BB25_16 Depth=1
	v_cmp_eq_u32_e32 vcc, 0, v2
	s_orn2_b64 s[30:31], vcc, exec
; %bb.304:                              ;   in Loop: Header=BB25_16 Depth=1
	s_or_b64 exec, exec, s[34:35]
	s_and_b64 exec, exec, s[30:31]
	s_cbranch_execz .LBB25_14
; %bb.305:                              ;   in Loop: Header=BB25_16 Depth=1
	v_add_u32_e32 v1, s98, v97
	v_cmp_gt_i32_e32 vcc, s60, v1
	v_mov_b32_e32 v2, 0x47
	s_and_saveexec_b64 s[30:31], vcc
	s_cbranch_execz .LBB25_307
; %bb.306:                              ;   in Loop: Header=BB25_16 Depth=1
	v_add_u32_e32 v10, 0, v132
	ds_read2_b32 v[2:3], v10 offset0:64 offset1:65
	ds_read2st64_b32 v[4:5], v133 offset1:17
	ds_read2st64_b32 v[6:7], v10 offset0:18 offset1:35
	ds_read2st64_b32 v[8:9], v133 offset0:34 offset1:51
	ds_read_b32 v10, v10 offset:13312
	v_readlane_b32 s22, v219, 43
	s_waitcnt lgkmcnt(3)
	v_cvt_f32_f16_sdwa v15, v4 dst_sel:DWORD dst_unused:UNUSED_PAD src0_sel:WORD_1
	v_cvt_f32_f16_e32 v14, v4
	v_cvt_f32_f16_sdwa v17, v5 dst_sel:DWORD dst_unused:UNUSED_PAD src0_sel:WORD_1
	v_cvt_f32_f16_e32 v16, v5
	v_mad_u64_u32 v[12:13], s[22:23], s22, v1, v[26:27]
	v_pk_fma_f32 v[14:15], v[2:3], v[14:15], 0 op_sel_hi:[0,1,0]
	s_waitcnt lgkmcnt(2)
	v_pk_fma_f32 v[4:5], v[6:7], v[16:17], v[14:15] op_sel_hi:[0,1,1]
	s_waitcnt lgkmcnt(1)
	v_cvt_f32_f16_sdwa v15, v8 dst_sel:DWORD dst_unused:UNUSED_PAD src0_sel:WORD_1
	v_cvt_f32_f16_e32 v14, v8
	v_mov_b32_e32 v2, v7
	v_cvt_f32_f16_sdwa v7, v9 dst_sel:DWORD dst_unused:UNUSED_PAD src0_sel:WORD_1
	v_cvt_f32_f16_e32 v6, v9
	v_ashrrev_i32_e32 v13, 31, v12
	v_lshlrev_b64 v[12:13], 3, v[12:13]
	v_readlane_b32 s22, v218, 0
	v_add_co_u32_e32 v12, vcc, s22, v12
	v_readlane_b32 s22, v218, 1
	v_pk_fma_f32 v[4:5], v[2:3], v[14:15], v[4:5] op_sel_hi:[0,1,1]
	v_mov_b32_e32 v1, s22
	s_waitcnt lgkmcnt(0)
	v_pk_fma_f32 v[4:5], v[10:11], v[6:7], v[4:5] op_sel_hi:[0,1,1]
	v_addc_co_u32_e32 v13, vcc, v1, v13, vcc
	v_div_scale_f32 v1, s[22:23], v3, v3, v5
	v_rcp_f32_e32 v2, v1
	v_fma_f32 v6, -v1, v2, 1.0
	v_fmac_f32_e32 v2, v6, v2
	v_div_scale_f32 v6, vcc, v5, v3, v5
	v_mul_f32_e32 v7, v6, v2
	v_fma_f32 v8, -v1, v7, v6
	v_fmac_f32_e32 v7, v8, v2
	v_fma_f32 v1, -v1, v7, v6
	v_div_fmas_f32 v1, v1, v2, v7
	v_div_fixup_f32 v5, v1, v3, v5
	v_div_scale_f32 v1, s[22:23], v3, v3, v4
	v_rcp_f32_e32 v2, v1
	v_fma_f32 v6, -v1, v2, 1.0
	v_fmac_f32_e32 v2, v6, v2
	v_div_scale_f32 v6, vcc, v4, v3, v4
	v_mul_f32_e32 v7, v6, v2
	v_fma_f32 v8, -v1, v7, v6
	v_fmac_f32_e32 v7, v8, v2
	v_fma_f32 v1, -v1, v7, v6
	v_div_fmas_f32 v1, v1, v2, v7
	v_div_fixup_f32 v4, v1, v3, v4
	v_mov_b32_e32 v2, 0
	global_store_dwordx2 v[12:13], v[4:5], off
.LBB25_307:                             ;   in Loop: Header=BB25_16 Depth=1
	s_or_b64 exec, exec, s[30:31]
	s_movk_i32 s22, 0x47
	v_cmp_gt_i32_e32 vcc, s22, v2
	s_mov_b64 s[30:31], -1
	s_and_saveexec_b64 s[34:35], vcc
; %bb.308:                              ;   in Loop: Header=BB25_16 Depth=1
	v_cmp_eq_u32_e32 vcc, 0, v2
	s_orn2_b64 s[30:31], vcc, exec
; %bb.309:                              ;   in Loop: Header=BB25_16 Depth=1
	s_or_b64 exec, exec, s[34:35]
	s_and_b64 exec, exec, s[30:31]
	s_cbranch_execz .LBB25_14
; %bb.310:                              ;   in Loop: Header=BB25_16 Depth=1
	v_add_u32_e32 v1, s98, v98
	v_cmp_gt_i32_e32 vcc, s60, v1
	v_mov_b32_e32 v2, 0x47
	s_and_saveexec_b64 s[30:31], vcc
	s_cbranch_execz .LBB25_312
; %bb.311:                              ;   in Loop: Header=BB25_16 Depth=1
	v_add_u32_e32 v10, 0, v134
	ds_read2_b32 v[2:3], v10 offset0:64 offset1:65
	ds_read2st64_b32 v[4:5], v135 offset1:17
	ds_read2st64_b32 v[6:7], v10 offset0:18 offset1:35
	ds_read2st64_b32 v[8:9], v135 offset0:34 offset1:51
	ds_read_b32 v10, v10 offset:13312
	v_readlane_b32 s22, v219, 43
	s_waitcnt lgkmcnt(3)
	v_cvt_f32_f16_sdwa v15, v4 dst_sel:DWORD dst_unused:UNUSED_PAD src0_sel:WORD_1
	v_cvt_f32_f16_e32 v14, v4
	v_cvt_f32_f16_sdwa v17, v5 dst_sel:DWORD dst_unused:UNUSED_PAD src0_sel:WORD_1
	v_cvt_f32_f16_e32 v16, v5
	v_mad_u64_u32 v[12:13], s[22:23], s22, v1, v[26:27]
	v_pk_fma_f32 v[14:15], v[2:3], v[14:15], 0 op_sel_hi:[0,1,0]
	s_waitcnt lgkmcnt(2)
	v_pk_fma_f32 v[4:5], v[6:7], v[16:17], v[14:15] op_sel_hi:[0,1,1]
	s_waitcnt lgkmcnt(1)
	v_cvt_f32_f16_sdwa v15, v8 dst_sel:DWORD dst_unused:UNUSED_PAD src0_sel:WORD_1
	v_cvt_f32_f16_e32 v14, v8
	v_mov_b32_e32 v2, v7
	v_cvt_f32_f16_sdwa v7, v9 dst_sel:DWORD dst_unused:UNUSED_PAD src0_sel:WORD_1
	v_cvt_f32_f16_e32 v6, v9
	v_ashrrev_i32_e32 v13, 31, v12
	v_lshlrev_b64 v[12:13], 3, v[12:13]
	v_readlane_b32 s22, v218, 0
	v_add_co_u32_e32 v12, vcc, s22, v12
	v_readlane_b32 s22, v218, 1
	v_pk_fma_f32 v[4:5], v[2:3], v[14:15], v[4:5] op_sel_hi:[0,1,1]
	v_mov_b32_e32 v1, s22
	s_waitcnt lgkmcnt(0)
	v_pk_fma_f32 v[4:5], v[10:11], v[6:7], v[4:5] op_sel_hi:[0,1,1]
	v_addc_co_u32_e32 v13, vcc, v1, v13, vcc
	v_div_scale_f32 v1, s[22:23], v3, v3, v5
	v_rcp_f32_e32 v2, v1
	v_fma_f32 v6, -v1, v2, 1.0
	v_fmac_f32_e32 v2, v6, v2
	v_div_scale_f32 v6, vcc, v5, v3, v5
	v_mul_f32_e32 v7, v6, v2
	v_fma_f32 v8, -v1, v7, v6
	v_fmac_f32_e32 v7, v8, v2
	v_fma_f32 v1, -v1, v7, v6
	v_div_fmas_f32 v1, v1, v2, v7
	v_div_fixup_f32 v5, v1, v3, v5
	v_div_scale_f32 v1, s[22:23], v3, v3, v4
	v_rcp_f32_e32 v2, v1
	v_fma_f32 v6, -v1, v2, 1.0
	v_fmac_f32_e32 v2, v6, v2
	v_div_scale_f32 v6, vcc, v4, v3, v4
	v_mul_f32_e32 v7, v6, v2
	v_fma_f32 v8, -v1, v7, v6
	v_fmac_f32_e32 v7, v8, v2
	v_fma_f32 v1, -v1, v7, v6
	v_div_fmas_f32 v1, v1, v2, v7
	v_div_fixup_f32 v4, v1, v3, v4
	v_mov_b32_e32 v2, 0
	global_store_dwordx2 v[12:13], v[4:5], off
.LBB25_312:                             ;   in Loop: Header=BB25_16 Depth=1
	s_or_b64 exec, exec, s[30:31]
	s_movk_i32 s22, 0x47
	v_cmp_gt_i32_e32 vcc, s22, v2
	s_mov_b64 s[30:31], -1
	s_and_saveexec_b64 s[34:35], vcc
; %bb.313:                              ;   in Loop: Header=BB25_16 Depth=1
	v_cmp_eq_u32_e32 vcc, 0, v2
	s_orn2_b64 s[30:31], vcc, exec
; %bb.314:                              ;   in Loop: Header=BB25_16 Depth=1
	s_or_b64 exec, exec, s[34:35]
	s_and_b64 exec, exec, s[30:31]
	s_cbranch_execz .LBB25_14
; %bb.315:                              ;   in Loop: Header=BB25_16 Depth=1
	v_add_u32_e32 v1, s98, v99
	v_cmp_gt_i32_e32 vcc, s60, v1
	v_mov_b32_e32 v2, 0x47
	s_and_saveexec_b64 s[30:31], vcc
	s_cbranch_execz .LBB25_317
; %bb.316:                              ;   in Loop: Header=BB25_16 Depth=1
	v_add_u32_e32 v10, 0, v136
	ds_read2_b32 v[2:3], v10 offset0:64 offset1:65
	ds_read2st64_b32 v[4:5], v137 offset1:17
	ds_read2st64_b32 v[6:7], v10 offset0:18 offset1:35
	ds_read2st64_b32 v[8:9], v137 offset0:34 offset1:51
	ds_read_b32 v10, v10 offset:13312
	v_readlane_b32 s22, v219, 43
	s_waitcnt lgkmcnt(3)
	v_cvt_f32_f16_sdwa v15, v4 dst_sel:DWORD dst_unused:UNUSED_PAD src0_sel:WORD_1
	v_cvt_f32_f16_e32 v14, v4
	v_cvt_f32_f16_sdwa v17, v5 dst_sel:DWORD dst_unused:UNUSED_PAD src0_sel:WORD_1
	v_cvt_f32_f16_e32 v16, v5
	v_mad_u64_u32 v[12:13], s[22:23], s22, v1, v[26:27]
	v_pk_fma_f32 v[14:15], v[2:3], v[14:15], 0 op_sel_hi:[0,1,0]
	s_waitcnt lgkmcnt(2)
	v_pk_fma_f32 v[4:5], v[6:7], v[16:17], v[14:15] op_sel_hi:[0,1,1]
	s_waitcnt lgkmcnt(1)
	v_cvt_f32_f16_sdwa v15, v8 dst_sel:DWORD dst_unused:UNUSED_PAD src0_sel:WORD_1
	v_cvt_f32_f16_e32 v14, v8
	v_mov_b32_e32 v2, v7
	v_cvt_f32_f16_sdwa v7, v9 dst_sel:DWORD dst_unused:UNUSED_PAD src0_sel:WORD_1
	v_cvt_f32_f16_e32 v6, v9
	v_ashrrev_i32_e32 v13, 31, v12
	v_lshlrev_b64 v[12:13], 3, v[12:13]
	v_readlane_b32 s22, v218, 0
	v_add_co_u32_e32 v12, vcc, s22, v12
	v_readlane_b32 s22, v218, 1
	v_pk_fma_f32 v[4:5], v[2:3], v[14:15], v[4:5] op_sel_hi:[0,1,1]
	v_mov_b32_e32 v1, s22
	s_waitcnt lgkmcnt(0)
	v_pk_fma_f32 v[4:5], v[10:11], v[6:7], v[4:5] op_sel_hi:[0,1,1]
	v_addc_co_u32_e32 v13, vcc, v1, v13, vcc
	v_div_scale_f32 v1, s[22:23], v3, v3, v5
	v_rcp_f32_e32 v2, v1
	v_fma_f32 v6, -v1, v2, 1.0
	v_fmac_f32_e32 v2, v6, v2
	v_div_scale_f32 v6, vcc, v5, v3, v5
	v_mul_f32_e32 v7, v6, v2
	v_fma_f32 v8, -v1, v7, v6
	v_fmac_f32_e32 v7, v8, v2
	v_fma_f32 v1, -v1, v7, v6
	v_div_fmas_f32 v1, v1, v2, v7
	v_div_fixup_f32 v5, v1, v3, v5
	v_div_scale_f32 v1, s[22:23], v3, v3, v4
	v_rcp_f32_e32 v2, v1
	v_fma_f32 v6, -v1, v2, 1.0
	v_fmac_f32_e32 v2, v6, v2
	v_div_scale_f32 v6, vcc, v4, v3, v4
	v_mul_f32_e32 v7, v6, v2
	v_fma_f32 v8, -v1, v7, v6
	v_fmac_f32_e32 v7, v8, v2
	v_fma_f32 v1, -v1, v7, v6
	v_div_fmas_f32 v1, v1, v2, v7
	v_div_fixup_f32 v4, v1, v3, v4
	v_mov_b32_e32 v2, 0
	global_store_dwordx2 v[12:13], v[4:5], off
.LBB25_317:                             ;   in Loop: Header=BB25_16 Depth=1
	s_or_b64 exec, exec, s[30:31]
	s_movk_i32 s22, 0x47
	v_cmp_gt_i32_e32 vcc, s22, v2
	s_mov_b64 s[30:31], -1
	s_and_saveexec_b64 s[34:35], vcc
; %bb.318:                              ;   in Loop: Header=BB25_16 Depth=1
	v_cmp_eq_u32_e32 vcc, 0, v2
	s_orn2_b64 s[30:31], vcc, exec
; %bb.319:                              ;   in Loop: Header=BB25_16 Depth=1
	s_or_b64 exec, exec, s[34:35]
	s_and_b64 exec, exec, s[30:31]
	s_cbranch_execz .LBB25_14
; %bb.320:                              ;   in Loop: Header=BB25_16 Depth=1
	v_add_u32_e32 v1, s98, v100
	v_cmp_gt_i32_e32 vcc, s60, v1
	v_mov_b32_e32 v2, 0x47
	s_and_saveexec_b64 s[30:31], vcc
	s_cbranch_execz .LBB25_322
; %bb.321:                              ;   in Loop: Header=BB25_16 Depth=1
	v_add_u32_e32 v10, 0, v138
	ds_read2_b32 v[2:3], v10 offset0:64 offset1:65
	ds_read2st64_b32 v[4:5], v139 offset1:17
	ds_read2st64_b32 v[6:7], v10 offset0:18 offset1:35
	ds_read2st64_b32 v[8:9], v139 offset0:34 offset1:51
	ds_read_b32 v10, v10 offset:13312
	v_readlane_b32 s22, v219, 43
	s_waitcnt lgkmcnt(3)
	v_cvt_f32_f16_sdwa v15, v4 dst_sel:DWORD dst_unused:UNUSED_PAD src0_sel:WORD_1
	v_cvt_f32_f16_e32 v14, v4
	v_cvt_f32_f16_sdwa v17, v5 dst_sel:DWORD dst_unused:UNUSED_PAD src0_sel:WORD_1
	v_cvt_f32_f16_e32 v16, v5
	v_mad_u64_u32 v[12:13], s[22:23], s22, v1, v[26:27]
	v_pk_fma_f32 v[14:15], v[2:3], v[14:15], 0 op_sel_hi:[0,1,0]
	s_waitcnt lgkmcnt(2)
	v_pk_fma_f32 v[4:5], v[6:7], v[16:17], v[14:15] op_sel_hi:[0,1,1]
	s_waitcnt lgkmcnt(1)
	v_cvt_f32_f16_sdwa v15, v8 dst_sel:DWORD dst_unused:UNUSED_PAD src0_sel:WORD_1
	v_cvt_f32_f16_e32 v14, v8
	v_mov_b32_e32 v2, v7
	v_cvt_f32_f16_sdwa v7, v9 dst_sel:DWORD dst_unused:UNUSED_PAD src0_sel:WORD_1
	v_cvt_f32_f16_e32 v6, v9
	v_ashrrev_i32_e32 v13, 31, v12
	v_lshlrev_b64 v[12:13], 3, v[12:13]
	v_readlane_b32 s22, v218, 0
	v_add_co_u32_e32 v12, vcc, s22, v12
	v_readlane_b32 s22, v218, 1
	v_pk_fma_f32 v[4:5], v[2:3], v[14:15], v[4:5] op_sel_hi:[0,1,1]
	v_mov_b32_e32 v1, s22
	s_waitcnt lgkmcnt(0)
	v_pk_fma_f32 v[4:5], v[10:11], v[6:7], v[4:5] op_sel_hi:[0,1,1]
	v_addc_co_u32_e32 v13, vcc, v1, v13, vcc
	v_div_scale_f32 v1, s[22:23], v3, v3, v5
	v_rcp_f32_e32 v2, v1
	v_fma_f32 v6, -v1, v2, 1.0
	v_fmac_f32_e32 v2, v6, v2
	v_div_scale_f32 v6, vcc, v5, v3, v5
	v_mul_f32_e32 v7, v6, v2
	v_fma_f32 v8, -v1, v7, v6
	v_fmac_f32_e32 v7, v8, v2
	v_fma_f32 v1, -v1, v7, v6
	v_div_fmas_f32 v1, v1, v2, v7
	v_div_fixup_f32 v5, v1, v3, v5
	v_div_scale_f32 v1, s[22:23], v3, v3, v4
	v_rcp_f32_e32 v2, v1
	v_fma_f32 v6, -v1, v2, 1.0
	v_fmac_f32_e32 v2, v6, v2
	v_div_scale_f32 v6, vcc, v4, v3, v4
	v_mul_f32_e32 v7, v6, v2
	v_fma_f32 v8, -v1, v7, v6
	v_fmac_f32_e32 v7, v8, v2
	v_fma_f32 v1, -v1, v7, v6
	v_div_fmas_f32 v1, v1, v2, v7
	v_div_fixup_f32 v4, v1, v3, v4
	v_mov_b32_e32 v2, 0
	global_store_dwordx2 v[12:13], v[4:5], off
.LBB25_322:                             ;   in Loop: Header=BB25_16 Depth=1
	s_or_b64 exec, exec, s[30:31]
	s_movk_i32 s22, 0x47
	v_cmp_gt_i32_e32 vcc, s22, v2
	s_mov_b64 s[30:31], -1
	s_and_saveexec_b64 s[34:35], vcc
; %bb.323:                              ;   in Loop: Header=BB25_16 Depth=1
	v_cmp_eq_u32_e32 vcc, 0, v2
	s_orn2_b64 s[30:31], vcc, exec
; %bb.324:                              ;   in Loop: Header=BB25_16 Depth=1
	s_or_b64 exec, exec, s[34:35]
	s_and_b64 exec, exec, s[30:31]
	s_cbranch_execz .LBB25_14
; %bb.325:                              ;   in Loop: Header=BB25_16 Depth=1
	v_add_u32_e32 v1, s98, v101
	v_cmp_gt_i32_e32 vcc, s60, v1
	v_mov_b32_e32 v2, 0x47
	s_and_saveexec_b64 s[30:31], vcc
	s_cbranch_execz .LBB25_327
; %bb.326:                              ;   in Loop: Header=BB25_16 Depth=1
	v_add_u32_e32 v10, 0, v140
	ds_read2_b32 v[2:3], v10 offset0:64 offset1:65
	ds_read2st64_b32 v[4:5], v141 offset1:17
	ds_read2st64_b32 v[6:7], v10 offset0:18 offset1:35
	ds_read2st64_b32 v[8:9], v141 offset0:34 offset1:51
	ds_read_b32 v10, v10 offset:13312
	v_readlane_b32 s22, v219, 43
	s_waitcnt lgkmcnt(3)
	v_cvt_f32_f16_sdwa v15, v4 dst_sel:DWORD dst_unused:UNUSED_PAD src0_sel:WORD_1
	v_cvt_f32_f16_e32 v14, v4
	v_cvt_f32_f16_sdwa v17, v5 dst_sel:DWORD dst_unused:UNUSED_PAD src0_sel:WORD_1
	v_cvt_f32_f16_e32 v16, v5
	v_mad_u64_u32 v[12:13], s[22:23], s22, v1, v[26:27]
	v_pk_fma_f32 v[14:15], v[2:3], v[14:15], 0 op_sel_hi:[0,1,0]
	s_waitcnt lgkmcnt(2)
	v_pk_fma_f32 v[4:5], v[6:7], v[16:17], v[14:15] op_sel_hi:[0,1,1]
	s_waitcnt lgkmcnt(1)
	v_cvt_f32_f16_sdwa v15, v8 dst_sel:DWORD dst_unused:UNUSED_PAD src0_sel:WORD_1
	v_cvt_f32_f16_e32 v14, v8
	v_mov_b32_e32 v2, v7
	v_cvt_f32_f16_sdwa v7, v9 dst_sel:DWORD dst_unused:UNUSED_PAD src0_sel:WORD_1
	v_cvt_f32_f16_e32 v6, v9
	v_ashrrev_i32_e32 v13, 31, v12
	v_lshlrev_b64 v[12:13], 3, v[12:13]
	v_readlane_b32 s22, v218, 0
	v_add_co_u32_e32 v12, vcc, s22, v12
	v_readlane_b32 s22, v218, 1
	v_pk_fma_f32 v[4:5], v[2:3], v[14:15], v[4:5] op_sel_hi:[0,1,1]
	v_mov_b32_e32 v1, s22
	s_waitcnt lgkmcnt(0)
	v_pk_fma_f32 v[4:5], v[10:11], v[6:7], v[4:5] op_sel_hi:[0,1,1]
	v_addc_co_u32_e32 v13, vcc, v1, v13, vcc
	v_div_scale_f32 v1, s[22:23], v3, v3, v5
	v_rcp_f32_e32 v2, v1
	v_fma_f32 v6, -v1, v2, 1.0
	v_fmac_f32_e32 v2, v6, v2
	v_div_scale_f32 v6, vcc, v5, v3, v5
	v_mul_f32_e32 v7, v6, v2
	v_fma_f32 v8, -v1, v7, v6
	v_fmac_f32_e32 v7, v8, v2
	v_fma_f32 v1, -v1, v7, v6
	v_div_fmas_f32 v1, v1, v2, v7
	v_div_fixup_f32 v5, v1, v3, v5
	v_div_scale_f32 v1, s[22:23], v3, v3, v4
	v_rcp_f32_e32 v2, v1
	v_fma_f32 v6, -v1, v2, 1.0
	v_fmac_f32_e32 v2, v6, v2
	v_div_scale_f32 v6, vcc, v4, v3, v4
	v_mul_f32_e32 v7, v6, v2
	v_fma_f32 v8, -v1, v7, v6
	v_fmac_f32_e32 v7, v8, v2
	v_fma_f32 v1, -v1, v7, v6
	v_div_fmas_f32 v1, v1, v2, v7
	v_div_fixup_f32 v4, v1, v3, v4
	v_mov_b32_e32 v2, 0
	global_store_dwordx2 v[12:13], v[4:5], off
.LBB25_327:                             ;   in Loop: Header=BB25_16 Depth=1
	s_or_b64 exec, exec, s[30:31]
	s_movk_i32 s22, 0x47
	v_cmp_gt_i32_e32 vcc, s22, v2
	s_mov_b64 s[30:31], -1
	s_and_saveexec_b64 s[34:35], vcc
; %bb.328:                              ;   in Loop: Header=BB25_16 Depth=1
	v_cmp_eq_u32_e32 vcc, 0, v2
	s_orn2_b64 s[30:31], vcc, exec
; %bb.329:                              ;   in Loop: Header=BB25_16 Depth=1
	s_or_b64 exec, exec, s[34:35]
	s_and_b64 exec, exec, s[30:31]
	s_cbranch_execz .LBB25_14
; %bb.330:                              ;   in Loop: Header=BB25_16 Depth=1
	v_add_u32_e32 v1, s98, v102
	v_cmp_gt_i32_e32 vcc, s60, v1
	v_mov_b32_e32 v2, 0x47
	s_and_saveexec_b64 s[30:31], vcc
	s_cbranch_execz .LBB25_332
; %bb.331:                              ;   in Loop: Header=BB25_16 Depth=1
	v_add_u32_e32 v10, 0, v142
	ds_read2_b32 v[2:3], v10 offset0:64 offset1:65
	ds_read2st64_b32 v[4:5], v143 offset1:17
	ds_read2st64_b32 v[6:7], v10 offset0:18 offset1:35
	ds_read2st64_b32 v[8:9], v143 offset0:34 offset1:51
	ds_read_b32 v10, v10 offset:13312
	v_readlane_b32 s22, v219, 43
	s_waitcnt lgkmcnt(3)
	v_cvt_f32_f16_sdwa v15, v4 dst_sel:DWORD dst_unused:UNUSED_PAD src0_sel:WORD_1
	v_cvt_f32_f16_e32 v14, v4
	v_cvt_f32_f16_sdwa v17, v5 dst_sel:DWORD dst_unused:UNUSED_PAD src0_sel:WORD_1
	v_cvt_f32_f16_e32 v16, v5
	v_mad_u64_u32 v[12:13], s[22:23], s22, v1, v[26:27]
	v_pk_fma_f32 v[14:15], v[2:3], v[14:15], 0 op_sel_hi:[0,1,0]
	s_waitcnt lgkmcnt(2)
	v_pk_fma_f32 v[4:5], v[6:7], v[16:17], v[14:15] op_sel_hi:[0,1,1]
	s_waitcnt lgkmcnt(1)
	v_cvt_f32_f16_sdwa v15, v8 dst_sel:DWORD dst_unused:UNUSED_PAD src0_sel:WORD_1
	v_cvt_f32_f16_e32 v14, v8
	v_mov_b32_e32 v2, v7
	v_cvt_f32_f16_sdwa v7, v9 dst_sel:DWORD dst_unused:UNUSED_PAD src0_sel:WORD_1
	v_cvt_f32_f16_e32 v6, v9
	v_ashrrev_i32_e32 v13, 31, v12
	v_lshlrev_b64 v[12:13], 3, v[12:13]
	v_readlane_b32 s22, v218, 0
	v_add_co_u32_e32 v12, vcc, s22, v12
	v_readlane_b32 s22, v218, 1
	v_pk_fma_f32 v[4:5], v[2:3], v[14:15], v[4:5] op_sel_hi:[0,1,1]
	v_mov_b32_e32 v1, s22
	s_waitcnt lgkmcnt(0)
	v_pk_fma_f32 v[4:5], v[10:11], v[6:7], v[4:5] op_sel_hi:[0,1,1]
	v_addc_co_u32_e32 v13, vcc, v1, v13, vcc
	v_div_scale_f32 v1, s[22:23], v3, v3, v5
	v_rcp_f32_e32 v2, v1
	v_fma_f32 v6, -v1, v2, 1.0
	v_fmac_f32_e32 v2, v6, v2
	v_div_scale_f32 v6, vcc, v5, v3, v5
	v_mul_f32_e32 v7, v6, v2
	v_fma_f32 v8, -v1, v7, v6
	v_fmac_f32_e32 v7, v8, v2
	v_fma_f32 v1, -v1, v7, v6
	v_div_fmas_f32 v1, v1, v2, v7
	v_div_fixup_f32 v5, v1, v3, v5
	v_div_scale_f32 v1, s[22:23], v3, v3, v4
	v_rcp_f32_e32 v2, v1
	v_fma_f32 v6, -v1, v2, 1.0
	v_fmac_f32_e32 v2, v6, v2
	v_div_scale_f32 v6, vcc, v4, v3, v4
	v_mul_f32_e32 v7, v6, v2
	v_fma_f32 v8, -v1, v7, v6
	v_fmac_f32_e32 v7, v8, v2
	v_fma_f32 v1, -v1, v7, v6
	v_div_fmas_f32 v1, v1, v2, v7
	v_div_fixup_f32 v4, v1, v3, v4
	v_mov_b32_e32 v2, 0
	global_store_dwordx2 v[12:13], v[4:5], off
.LBB25_332:                             ;   in Loop: Header=BB25_16 Depth=1
	s_or_b64 exec, exec, s[30:31]
	s_movk_i32 s22, 0x47
	v_cmp_gt_i32_e32 vcc, s22, v2
	s_mov_b64 s[30:31], -1
	s_and_saveexec_b64 s[34:35], vcc
; %bb.333:                              ;   in Loop: Header=BB25_16 Depth=1
	v_cmp_eq_u32_e32 vcc, 0, v2
	s_orn2_b64 s[30:31], vcc, exec
; %bb.334:                              ;   in Loop: Header=BB25_16 Depth=1
	s_or_b64 exec, exec, s[34:35]
	s_and_b64 exec, exec, s[30:31]
	s_cbranch_execz .LBB25_14
; %bb.335:                              ;   in Loop: Header=BB25_16 Depth=1
	v_add_u32_e32 v1, s98, v103
	v_cmp_gt_i32_e32 vcc, s60, v1
	s_and_b64 exec, exec, vcc
	s_cbranch_execz .LBB25_14
; %bb.336:                              ;   in Loop: Header=BB25_16 Depth=1
	v_add_u32_e32 v10, 0, v144
	ds_read2_b32 v[2:3], v10 offset0:64 offset1:65
	ds_read2st64_b32 v[4:5], v145 offset1:17
	ds_read2st64_b32 v[6:7], v10 offset0:18 offset1:35
	ds_read2st64_b32 v[8:9], v145 offset0:34 offset1:51
	ds_read_b32 v10, v10 offset:13312
	v_readlane_b32 s22, v219, 43
	s_waitcnt lgkmcnt(3)
	v_cvt_f32_f16_sdwa v15, v4 dst_sel:DWORD dst_unused:UNUSED_PAD src0_sel:WORD_1
	v_cvt_f32_f16_e32 v14, v4
	v_cvt_f32_f16_sdwa v17, v5 dst_sel:DWORD dst_unused:UNUSED_PAD src0_sel:WORD_1
	v_cvt_f32_f16_e32 v16, v5
	v_mad_u64_u32 v[12:13], s[22:23], s22, v1, v[26:27]
	v_pk_fma_f32 v[14:15], v[2:3], v[14:15], 0 op_sel_hi:[0,1,0]
	s_waitcnt lgkmcnt(2)
	v_pk_fma_f32 v[4:5], v[6:7], v[16:17], v[14:15] op_sel_hi:[0,1,1]
	s_waitcnt lgkmcnt(1)
	v_cvt_f32_f16_sdwa v15, v8 dst_sel:DWORD dst_unused:UNUSED_PAD src0_sel:WORD_1
	v_cvt_f32_f16_e32 v14, v8
	v_mov_b32_e32 v2, v7
	v_cvt_f32_f16_sdwa v7, v9 dst_sel:DWORD dst_unused:UNUSED_PAD src0_sel:WORD_1
	v_cvt_f32_f16_e32 v6, v9
	v_ashrrev_i32_e32 v13, 31, v12
	v_lshlrev_b64 v[12:13], 3, v[12:13]
	v_readlane_b32 s22, v218, 0
	v_add_co_u32_e32 v12, vcc, s22, v12
	v_readlane_b32 s22, v218, 1
	v_pk_fma_f32 v[4:5], v[2:3], v[14:15], v[4:5] op_sel_hi:[0,1,1]
	v_mov_b32_e32 v1, s22
	s_waitcnt lgkmcnt(0)
	v_pk_fma_f32 v[4:5], v[10:11], v[6:7], v[4:5] op_sel_hi:[0,1,1]
	v_addc_co_u32_e32 v13, vcc, v1, v13, vcc
	v_div_scale_f32 v1, s[22:23], v3, v3, v5
	v_rcp_f32_e32 v2, v1
	v_fma_f32 v6, -v1, v2, 1.0
	v_fmac_f32_e32 v2, v6, v2
	v_div_scale_f32 v6, vcc, v5, v3, v5
	v_mul_f32_e32 v7, v6, v2
	v_fma_f32 v8, -v1, v7, v6
	v_fmac_f32_e32 v7, v8, v2
	v_fma_f32 v1, -v1, v7, v6
	v_div_fmas_f32 v1, v1, v2, v7
	v_div_fixup_f32 v5, v1, v3, v5
	v_div_scale_f32 v1, s[22:23], v3, v3, v4
	v_rcp_f32_e32 v2, v1
	v_fma_f32 v6, -v1, v2, 1.0
	v_fmac_f32_e32 v2, v6, v2
	v_div_scale_f32 v6, vcc, v4, v3, v4
	v_mul_f32_e32 v7, v6, v2
	v_fma_f32 v8, -v1, v7, v6
	v_fmac_f32_e32 v7, v8, v2
	v_fma_f32 v1, -v1, v7, v6
	v_div_fmas_f32 v1, v1, v2, v7
	v_div_fixup_f32 v4, v1, v3, v4
	global_store_dwordx2 v[12:13], v[4:5], off
	s_branch .LBB25_14
.LBB25_337:                             ;   in Loop: Header=BB25_16 Depth=1
                                        ; implicit-def: $vgpr2_vgpr3_vgpr4_vgpr5
	s_branch .LBB25_92
.LBB25_338:                             ;   in Loop: Header=BB25_16 Depth=1
                                        ; implicit-def: $vgpr2_vgpr3_vgpr4_vgpr5
	s_branch .LBB25_250
.LBB25_339:
	v_readlane_b32 s20, v219, 32
	v_readlane_b32 s64, v219, 40
	;; [unrolled: 1-line block ×10, first 2 shown]
	s_andn2_b64 vcc, exec, s[28:29]
	s_cbranch_vccnz .LBB25_12
.LBB25_340:
	v_readlane_b32 s10, v219, 7
	s_abs_i32 s4, s10
	v_cvt_f32_u32_e32 v1, s4
	s_sub_i32 s7, 0, s4
	s_abs_i32 s6, s86
	s_xor_b32 s5, s86, s10
	v_rcp_iflag_f32_e32 v1, v1
	s_ashr_i32 s5, s5, 31
	v_readlane_b32 s14, v219, 6
	v_readlane_b32 s11, v219, 3
	v_mul_f32_e32 v1, 0x4f7ffffe, v1
	v_cvt_u32_f32_e32 v1, v1
	v_readfirstlane_b32 s8, v1
	s_mul_i32 s7, s7, s8
	s_mul_hi_u32 s7, s8, s7
	s_add_i32 s8, s8, s7
	s_mul_hi_u32 s7, s6, s8
	s_mul_i32 s8, s7, s4
	s_sub_i32 s6, s6, s8
	s_add_i32 s9, s7, 1
	s_sub_i32 s8, s6, s4
	s_cmp_ge_u32 s6, s4
	s_cselect_b32 s7, s9, s7
	s_cselect_b32 s6, s8, s6
	s_add_i32 s8, s7, 1
	s_cmp_ge_u32 s6, s4
	s_cselect_b32 s4, s8, s7
	s_abs_i32 s6, s14
	v_cvt_f32_u32_e32 v1, s6
	s_xor_b32 s4, s4, s5
	s_sub_i32 s7, 0, s6
	s_sub_i32 s12, s4, s5
	v_rcp_iflag_f32_e32 v1, v1
	s_mul_i32 s4, s12, s10
	s_sub_i32 s4, s86, s4
	s_abs_i32 s8, s4
	v_mul_f32_e32 v1, 0x4f7ffffe, v1
	v_cvt_u32_f32_e32 v1, v1
	s_xor_b32 s5, s4, s14
	s_ashr_i32 s5, s5, 31
	v_readfirstlane_b32 s9, v1
	s_mul_i32 s7, s7, s9
	s_mul_hi_u32 s7, s9, s7
	s_add_i32 s9, s9, s7
	s_mul_hi_u32 s7, s8, s9
	s_mul_i32 s9, s7, s6
	s_sub_i32 s8, s8, s9
	s_add_i32 s10, s7, 1
	s_sub_i32 s9, s8, s6
	s_cmp_ge_u32 s8, s6
	s_cselect_b32 s7, s10, s7
	s_cselect_b32 s8, s9, s8
	s_add_i32 s9, s7, 1
	s_cmp_ge_u32 s8, s6
	s_cselect_b32 s6, s9, s7
	s_abs_i32 s7, s11
	v_cvt_f32_u32_e32 v1, s7
	s_xor_b32 s6, s6, s5
	s_sub_i32 s8, 0, s7
	s_sub_i32 s13, s6, s5
	v_rcp_iflag_f32_e32 v1, v1
	s_mul_i32 s5, s13, s14
	s_sub_i32 s5, s4, s5
	s_abs_i32 s6, s5
	v_mul_f32_e32 v1, 0x4f7ffffe, v1
	v_cvt_u32_f32_e32 v1, v1
	s_xor_b32 s4, s5, s11
	s_ashr_i32 s4, s4, 31
	v_readfirstlane_b32 s9, v1
	s_mul_i32 s8, s8, s9
	s_mul_hi_u32 s8, s9, s8
	s_add_i32 s9, s9, s8
	s_mul_hi_u32 s8, s6, s9
	s_mul_i32 s9, s8, s7
	s_sub_i32 s6, s6, s9
	s_add_i32 s10, s8, 1
	s_sub_i32 s9, s6, s7
	s_cmp_ge_u32 s6, s7
	s_cselect_b32 s8, s10, s8
	s_cselect_b32 s6, s9, s6
	s_add_i32 s9, s8, 1
	s_cmp_ge_u32 s6, s7
	s_cselect_b32 s6, s9, s8
	s_xor_b32 s6, s6, s4
	s_sub_i32 s4, s6, s4
	s_mul_i32 s6, s4, s11
	s_sub_i32 s5, s5, s6
	s_abs_i32 s16, s5
	s_ashr_i32 s14, s12, 31
	s_mul_hi_u32 s15, s16, s33
	s_cmp_eq_u64 s[50:51], 0
	s_mov_b64 s[8:9], 0
	s_cbranch_scc1 .LBB25_342
; %bb.341:
	s_abs_i32 s6, s24
	v_cvt_f32_u32_e32 v1, s6
	s_sub_i32 s8, 0, s6
	s_abs_i32 s7, s12
	v_readlane_b32 s10, v219, 16
	v_rcp_iflag_f32_e32 v1, v1
	v_readlane_b32 s11, v219, 17
	v_mul_f32_e32 v1, 0x4f7ffffe, v1
	v_cvt_u32_f32_e32 v1, v1
	v_readfirstlane_b32 s9, v1
	s_mul_i32 s8, s8, s9
	s_mul_hi_u32 s8, s9, s8
	s_add_i32 s9, s9, s8
	s_mul_hi_u32 s8, s7, s9
	s_mul_i32 s8, s8, s6
	s_sub_i32 s7, s7, s8
	s_sub_i32 s8, s7, s6
	s_cmp_ge_u32 s7, s6
	s_cselect_b32 s7, s8, s7
	s_sub_i32 s8, s7, s6
	s_cmp_ge_u32 s7, s6
	s_cselect_b32 s6, s8, s7
	s_xor_b32 s6, s6, s14
	s_sub_i32 s6, s6, s14
	s_ashr_i32 s7, s6, 31
	s_mul_i32 s8, s6, s11
	s_mul_hi_u32 s9, s6, s10
	s_add_i32 s8, s9, s8
	s_mul_i32 s7, s7, s10
	s_add_i32 s7, s8, s7
	s_mul_i32 s6, s6, s10
	s_add_u32 s8, s50, s6
	s_addc_u32 s9, s51, s7
.LBB25_342:
	s_ashr_i32 s18, s5, 31
	v_readlane_b32 s5, v219, 2
	s_mul_i32 s17, s13, s5
	s_add_i32 s17, s17, s4
	v_cmp_le_f32_e64 s[4:5], s21, 0
	s_and_b64 vcc, exec, s[4:5]
	v_mov_b32_e32 v26, 1.0
	s_cbranch_vccnz .LBB25_344
; %bb.343:
	s_sub_i32 s4, s17, s72
	s_lshl_b32 s4, s4, 1
	s_add_i32 s6, s17, 1
	s_or_b32 s7, s4, 1
	s_cmp_lt_u32 s17, s72
	s_cselect_b64 vcc, -1, 0
	s_and_b64 s[4:5], vcc, exec
	v_mov_b32_e32 v1, s23
	v_mov_b32_e32 v2, s22
	s_cselect_b32 s4, s6, s7
	v_cndmask_b32_e32 v18, v1, v2, vcc
	v_cvt_f32_i32_e32 v1, s4
	v_cmp_neq_f32_e32 vcc, 1.0, v18
	s_mov_b32 s4, 0x3f2aaaab
	s_movk_i32 s6, 0x204
	v_cndmask_b32_e32 v19, 1.0, v1, vcc
	v_cmp_eq_f32_e32 vcc, 0, v19
	v_cndmask_b32_e64 v20, |v18|, 1.0, vcc
	v_frexp_mant_f32_e32 v1, v20
	v_cmp_gt_f32_e64 s[4:5], s4, v1
	v_cndmask_b32_e64 v2, 1.0, 2.0, s[4:5]
	v_mul_f32_e32 v1, v1, v2
	v_add_f32_e32 v2, 1.0, v1
	v_rcp_f32_e32 v10, v2
	v_add_f32_e32 v3, -1.0, v2
	v_sub_f32_e32 v5, v1, v3
	v_add_f32_e32 v3, -1.0, v1
	v_mul_f32_e32 v1, v3, v10
	v_mul_f32_e32 v4, v2, v1
	v_fma_f32 v6, v1, v2, -v4
	v_fmac_f32_e32 v6, v1, v5
	v_add_f32_e32 v2, v4, v6
	v_sub_f32_e32 v5, v3, v2
	v_pk_add_f32 v[8:9], v[2:3], v[4:5] neg_lo:[0,1] neg_hi:[0,1]
	v_mov_b32_e32 v7, v2
	v_pk_add_f32 v[2:3], v[8:9], v[6:7] neg_lo:[0,1] neg_hi:[0,1]
	v_add_f32_e32 v2, v2, v3
	v_add_f32_e32 v2, v5, v2
	v_mul_f32_e32 v3, v10, v2
	v_add_f32_e32 v2, v1, v3
	v_sub_f32_e32 v1, v2, v1
	v_sub_f32_e32 v1, v3, v1
	v_mul_f32_e32 v3, v2, v2
	v_fma_f32 v5, v2, v2, -v3
	v_add_f32_e32 v4, v1, v1
	v_fmac_f32_e32 v5, v2, v4
	v_add_f32_e32 v4, v3, v5
	v_mov_b32_e32 v6, 0x3e91f4c4
	v_fmac_f32_e32 v6, 0x3e76c4e1, v4
	v_mov_b32_e32 v7, 0x3ecccdef
	v_fmac_f32_e32 v7, v4, v6
	v_sub_f32_e32 v3, v4, v3
	v_sub_f32_e32 v12, v5, v3
	v_mul_f32_e32 v3, v4, v7
	v_fma_f32 v5, v4, v7, -v3
	v_fmac_f32_e32 v5, v12, v7
	v_add_f32_e32 v6, v3, v5
	v_add_f32_e32 v7, 0x3f2aaaaa, v6
	v_sub_f32_e32 v3, v6, v3
	v_sub_f32_e32 v3, v5, v3
	v_add_f32_e32 v5, 0xbf2aaaaa, v7
	v_add_f32_e32 v3, 0x31739010, v3
	v_sub_f32_e32 v5, v6, v5
	v_pk_mul_f32 v[8:9], v[2:3], v[4:5]
	v_fma_f32 v6, v4, v2, -v8
	v_pk_add_f32 v[10:11], v[2:3], v[4:5]
	v_fmac_f32_e32 v6, v4, v1
	v_mov_b32_e32 v9, v11
	v_fmac_f32_e32 v6, v12, v2
	v_pk_add_f32 v[4:5], v[8:9], v[6:7]
	v_sub_f32_e32 v3, v4, v8
	v_sub_f32_e32 v3, v6, v3
	;; [unrolled: 1-line block ×3, first 2 shown]
	v_add_f32_e32 v9, v11, v6
	v_mov_b32_e32 v6, v5
	v_pk_mul_f32 v[6:7], v[4:5], v[6:7]
	v_cvt_f64_f32_e32 v[10:11], v20
	v_frexp_exp_i32_f64_e32 v7, v[10:11]
	v_subbrev_co_u32_e64 v7, s[4:5], 0, v7, s[4:5]
	v_cvt_f32_i32_e32 v7, v7
	v_fma_f32 v8, v4, v5, -v6
	v_fmac_f32_e32 v8, v4, v9
	s_mov_b32 s4, 0x3f317218
	v_mul_f32_e32 v4, 0x3f317218, v7
	v_fmac_f32_e32 v8, v3, v5
	v_fma_f32 v10, v7, s4, -v4
	v_fmac_f32_e32 v10, 0xb102e308, v7
	v_ldexp_f32 v11, v2, 1
	v_add_f32_e32 v5, v6, v8
	v_pk_add_f32 v[2:3], v[4:5], v[10:11]
	v_mov_b32_e32 v12, v5
	v_mov_b32_e32 v13, v3
	;; [unrolled: 1-line block ×3, first 2 shown]
	v_pk_add_f32 v[6:7], v[12:13], v[6:7] neg_lo:[0,1] neg_hi:[0,1]
	v_mov_b32_e32 v9, v5
	v_ldexp_f32 v1, v1, 1
	v_pk_add_f32 v[6:7], v[8:9], v[6:7] neg_lo:[0,1] neg_hi:[0,1]
	v_add_f32_e32 v1, v1, v6
	v_add_f32_e32 v5, v1, v7
	v_pk_add_f32 v[6:7], v[2:3], v[4:5] neg_lo:[0,1] neg_hi:[0,1]
	v_pk_add_f32 v[8:9], v[2:3], v[4:5]
	v_mov_b32_e32 v12, v6
	v_mov_b32_e32 v13, v9
	;; [unrolled: 1-line block ×3, first 2 shown]
	v_pk_add_f32 v[12:13], v[10:11], v[12:13]
	v_mov_b32_e32 v4, v13
	v_pk_add_f32 v[14:15], v[4:5], v[2:3] neg_lo:[0,1] neg_hi:[0,1]
	v_mov_b32_e32 v1, v14
	v_mov_b32_e32 v12, v9
	;; [unrolled: 1-line block ×4, first 2 shown]
	v_pk_add_f32 v[6:7], v[10:11], v[6:7] neg_lo:[0,1] neg_hi:[0,1]
	v_pk_add_f32 v[16:17], v[8:9], v[0:1] neg_lo:[0,1] neg_hi:[0,1]
	;; [unrolled: 1-line block ×3, first 2 shown]
	v_mov_b32_e32 v10, v5
	v_pk_add_f32 v[2:3], v[10:11], v[2:3] neg_lo:[0,1] neg_hi:[0,1]
	v_mov_b32_e32 v16, v6
	v_pk_add_f32 v[8:9], v[16:17], v[2:3]
	v_mov_b32_e32 v10, v9
	v_pk_add_f32 v[10:11], v[8:9], v[10:11]
	v_pk_add_f32 v[4:5], v[4:5], v[10:11]
	v_mov_b32_e32 v7, v13
	v_mov_b32_e32 v9, v4
	v_pk_add_f32 v[12:13], v[8:9], v[6:7] neg_lo:[0,1] neg_hi:[0,1]
	v_mov_b32_e32 v3, v10
	v_sub_f32_e32 v1, v8, v12
	v_pk_add_f32 v[2:3], v[2:3], v[12:13] neg_lo:[0,1] neg_hi:[0,1]
	v_sub_f32_e32 v1, v6, v1
	v_add_f32_e32 v1, v2, v1
	v_add_f32_e32 v1, v1, v3
	;; [unrolled: 1-line block ×3, first 2 shown]
	v_sub_f32_e32 v3, v2, v4
	v_sub_f32_e32 v1, v1, v3
	v_mul_f32_e32 v3, v19, v2
	v_fma_f32 v2, v19, v2, -v3
	v_fmac_f32_e32 v2, v19, v1
	v_add_f32_e32 v1, v3, v2
	v_cmp_class_f32_e64 s[4:5], v3, s6
	v_sub_f32_e32 v4, v1, v3
	v_cndmask_b32_e64 v1, v1, v3, s[4:5]
	s_mov_b32 s10, 0x42b17218
	v_mov_b32_e32 v3, 0x37000000
	v_cmp_eq_f32_e64 s[4:5], s10, v1
	v_cndmask_b32_e64 v3, 0, v3, s[4:5]
	v_sub_f32_e32 v2, v2, v4
	v_sub_f32_e32 v4, v1, v3
	s_mov_b32 s4, 0x3fb8aa3b
	v_mul_f32_e32 v5, 0x3fb8aa3b, v4
	v_fma_f32 v6, v4, s4, -v5
	v_rndne_f32_e32 v7, v5
	v_fmac_f32_e32 v6, 0x32a5705f, v4
	v_sub_f32_e32 v5, v5, v7
	v_add_f32_e32 v5, v5, v6
	v_exp_f32_e32 v5, v5
	v_cvt_i32_f32_e32 v6, v7
	s_mov_b32 s7, 0x7f800000
	v_cmp_neq_f32_e64 s[4:5], |v1|, s7
	v_cndmask_b32_e64 v1, 0, v2, s[4:5]
	s_mov_b32 s4, 0xc2ce8ed0
	v_ldexp_f32 v2, v5, v6
	v_cmp_ngt_f32_e64 s[4:5], s4, v4
	v_add_f32_e32 v1, v3, v1
	v_cndmask_b32_e64 v2, 0, v2, s[4:5]
	v_mov_b32_e32 v3, 0x7f800000
	v_cmp_nlt_f32_e64 s[4:5], s10, v4
	v_cndmask_b32_e64 v2, v3, v2, s[4:5]
	v_fma_f32 v1, v2, v1, v2
	v_cmp_class_f32_e64 s[4:5], v2, s6
	v_trunc_f32_e32 v4, v19
	v_cndmask_b32_e64 v1, v1, v2, s[4:5]
	v_cndmask_b32_e64 v2, v18, 1.0, vcc
	v_cmp_eq_f32_e32 vcc, v4, v19
	v_mul_f32_e32 v4, 0.5, v19
	v_trunc_f32_e32 v6, v4
	v_cmp_neq_f32_e64 s[4:5], v6, v4
	s_and_b64 s[4:5], vcc, s[4:5]
	v_cndmask_b32_e64 v4, 1.0, v2, s[4:5]
	s_brev_b32 s19, -2
	v_mov_b32_e32 v5, 0x7fc00000
	v_bfi_b32 v1, s19, v1, v4
	v_cndmask_b32_e32 v4, v5, v1, vcc
	v_cmp_gt_f32_e32 vcc, 0, v2
	v_cndmask_b32_e32 v1, v1, v4, vcc
	v_cmp_eq_f32_e32 vcc, s7, v20
	v_cmp_eq_f32_e64 s[6:7], 0, v2
	v_cmp_gt_f32_e64 s[10:11], 0, v19
	s_xor_b64 s[10:11], s[10:11], s[6:7]
	v_cndmask_b32_e64 v3, v3, 0, s[10:11]
	v_cndmask_b32_e64 v4, 0, v2, s[4:5]
	v_bfi_b32 v3, s19, v3, v4
	s_or_b64 vcc, vcc, s[6:7]
	v_cndmask_b32_e32 v1, v1, v3, vcc
	v_cmp_o_f32_e32 vcc, v2, v2
	v_cndmask_b32_e32 v26, v5, v1, vcc
.LBB25_344:
	s_mul_i32 s5, s15, s93
	v_readlane_b32 s4, v219, 25
	s_sub_i32 s5, s16, s5
	s_xor_b32 s4, s18, s4
	s_add_i32 s6, s15, 1
	s_sub_i32 s7, s5, s93
	s_cmp_ge_u32 s5, s93
	s_cselect_b32 s6, s6, s15
	s_cselect_b32 s5, s7, s5
	s_add_i32 s7, s6, 1
	s_cmp_ge_u32 s5, s93
	s_cselect_b32 s5, s7, s6
	s_xor_b32 s5, s5, s4
	s_sub_i32 s4, s5, s4
	s_cmp_eq_u64 s[54:55], 0
	v_mov_b32_e32 v16, s87
	s_cbranch_scc1 .LBB25_346
; %bb.345:
	v_readlane_b32 s5, v219, 0
	s_mul_i32 s5, s12, s5
	s_add_i32 s6, s4, s5
	s_ashr_i32 s7, s6, 31
	s_lshl_b64 s[6:7], s[6:7], 2
	s_add_u32 s6, s54, s6
	s_addc_u32 s7, s55, s7
	v_mov_b32_e32 v1, 0
	global_load_dword v1, v1, s[6:7]
	s_waitcnt vmcnt(0)
	v_ashrrev_i32_e32 v2, 31, v1
	v_lshrrev_b32_e32 v2, 26, v2
	v_add_u32_e32 v1, v1, v2
	v_ashrrev_i32_e32 v1, 6, v1
	v_min_i32_e32 v16, s87, v1
.LBB25_346:
	v_readlane_b32 s10, v219, 8
	v_readlane_b32 s11, v219, 9
	s_mul_i32 s5, s12, s11
	s_ashr_i32 s6, s5, 31
	s_add_u32 s5, s44, s5
	s_mul_i32 s17, s17, s10
	s_addc_u32 s7, s45, s6
	s_ashr_i32 s10, s17, 31
	s_add_u32 s6, s5, s17
	s_addc_u32 s7, s7, s10
	s_lshl_b32 s10, s4, 4
	v_add_u32_e32 v83, s10, v73
	v_and_b32_e32 v32, 0x3ff, v0
	v_cmp_le_i32_e32 vcc, s60, v83
	s_and_saveexec_b64 s[4:5], vcc
	s_xor_b64 s[4:5], exec, s[4:5]
	s_cbranch_execz .LBB25_348
; %bb.347:
	s_movk_i32 s11, 0x44
	v_mad_u32_u24 v0, v73, s11, v32
	v_lshl_add_u32 v0, v0, 2, 0
	v_mov_b32_e32 v1, 0
	ds_write_b32 v0, v1
.LBB25_348:
	s_andn2_saveexec_b64 s[4:5], s[4:5]
	s_cbranch_execz .LBB25_350
; %bb.349:
	v_readlane_b32 s11, v219, 18
	v_mad_u64_u32 v[0:1], s[16:17], v83, s11, v[32:33]
	v_ashrrev_i32_e32 v1, 31, v0
	v_lshlrev_b64 v[0:1], 3, v[0:1]
	v_mov_b32_e32 v2, s7
	v_add_co_u32_e32 v0, vcc, s6, v0
	v_addc_co_u32_e32 v1, vcc, v2, v1, vcc
	global_load_dwordx2 v[0:1], v[0:1], off
	s_movk_i32 s11, 0x44
	v_mad_u32_u24 v2, v73, s11, v32
	s_waitcnt vmcnt(0)
	v_cvt_f16_f32_e32 v0, v0
	v_cvt_f16_f32_e32 v1, v1
	v_pack_b32_f16 v0, v0, v1
	v_pk_mul_f16 v0, v79, v0
	v_lshl_add_u32 v1, v2, 2, 0
	ds_write_b32 v1, v0
.LBB25_350:
	s_or_b64 exec, exec, s[4:5]
	v_add_u32_e32 v84, s10, v82
	v_cmp_le_i32_e32 vcc, s60, v84
	s_and_saveexec_b64 s[4:5], vcc
	s_xor_b64 s[4:5], exec, s[4:5]
	s_cbranch_execz .LBB25_352
; %bb.351:
	s_movk_i32 s11, 0x44
	v_mad_u32_u24 v0, v82, s11, v32
	v_lshl_add_u32 v0, v0, 2, 0
	v_mov_b32_e32 v1, 0
	ds_write_b32 v0, v1
                                        ; implicit-def: $vgpr82
.LBB25_352:
	s_andn2_saveexec_b64 s[4:5], s[4:5]
	s_cbranch_execz .LBB25_354
; %bb.353:
	v_readlane_b32 s11, v219, 18
	v_mad_u64_u32 v[0:1], s[16:17], v84, s11, v[32:33]
	v_ashrrev_i32_e32 v1, 31, v0
	v_lshlrev_b64 v[0:1], 3, v[0:1]
	v_mov_b32_e32 v2, s7
	v_add_co_u32_e32 v0, vcc, s6, v0
	v_addc_co_u32_e32 v1, vcc, v2, v1, vcc
	global_load_dwordx2 v[0:1], v[0:1], off
	s_movk_i32 s11, 0x44
	v_mad_u32_u24 v2, v82, s11, v32
	s_waitcnt vmcnt(0)
	v_cvt_f16_f32_e32 v0, v0
	v_cvt_f16_f32_e32 v1, v1
	v_pack_b32_f16 v0, v0, v1
	v_pk_mul_f16 v0, v79, v0
	v_lshl_add_u32 v1, v2, 2, 0
	ds_write_b32 v1, v0
.LBB25_354:
	s_or_b64 exec, exec, s[4:5]
	v_add_u32_e32 v85, s10, v81
	v_cmp_le_i32_e32 vcc, s60, v85
	s_and_saveexec_b64 s[4:5], vcc
	s_xor_b64 s[4:5], exec, s[4:5]
	s_cbranch_execz .LBB25_356
; %bb.355:
	s_movk_i32 s11, 0x44
	v_mad_u32_u24 v0, v81, s11, v32
	v_lshl_add_u32 v0, v0, 2, 0
	v_mov_b32_e32 v1, 0
	ds_write_b32 v0, v1
                                        ; implicit-def: $vgpr81
.LBB25_356:
	s_andn2_saveexec_b64 s[4:5], s[4:5]
	s_cbranch_execz .LBB25_358
; %bb.357:
	v_readlane_b32 s11, v219, 18
	v_mad_u64_u32 v[0:1], s[16:17], v85, s11, v[32:33]
	v_ashrrev_i32_e32 v1, 31, v0
	v_lshlrev_b64 v[0:1], 3, v[0:1]
	v_mov_b32_e32 v2, s7
	v_add_co_u32_e32 v0, vcc, s6, v0
	v_addc_co_u32_e32 v1, vcc, v2, v1, vcc
	global_load_dwordx2 v[0:1], v[0:1], off
	s_movk_i32 s11, 0x44
	v_mad_u32_u24 v2, v81, s11, v32
	s_waitcnt vmcnt(0)
	v_cvt_f16_f32_e32 v0, v0
	v_cvt_f16_f32_e32 v1, v1
	v_pack_b32_f16 v0, v0, v1
	v_pk_mul_f16 v0, v79, v0
	v_lshl_add_u32 v1, v2, 2, 0
	ds_write_b32 v1, v0
.LBB25_358:
	s_or_b64 exec, exec, s[4:5]
	v_add_u32_e32 v86, s10, v80
	v_cmp_le_i32_e32 vcc, s60, v86
	s_and_saveexec_b64 s[4:5], vcc
	s_xor_b64 s[4:5], exec, s[4:5]
	s_cbranch_execz .LBB25_360
; %bb.359:
	s_movk_i32 s10, 0x44
	v_mad_u32_u24 v0, v80, s10, v32
	v_lshl_add_u32 v0, v0, 2, 0
	v_mov_b32_e32 v1, 0
	ds_write_b32 v0, v1
                                        ; implicit-def: $vgpr79
                                        ; implicit-def: $vgpr80
.LBB25_360:
	s_andn2_saveexec_b64 s[4:5], s[4:5]
	s_cbranch_execz .LBB25_362
; %bb.361:
	v_readlane_b32 s10, v219, 18
	v_mad_u64_u32 v[0:1], s[10:11], v86, s10, v[32:33]
	v_ashrrev_i32_e32 v1, 31, v0
	v_lshlrev_b64 v[0:1], 3, v[0:1]
	v_mov_b32_e32 v2, s7
	v_add_co_u32_e32 v0, vcc, s6, v0
	v_addc_co_u32_e32 v1, vcc, v2, v1, vcc
	global_load_dwordx2 v[0:1], v[0:1], off
	s_movk_i32 s6, 0x44
	v_mad_u32_u24 v2, v80, s6, v32
	s_waitcnt vmcnt(0)
	v_cvt_f16_f32_e32 v0, v0
	v_cvt_f16_f32_e32 v1, v1
	v_pack_b32_f16 v0, v0, v1
	v_pk_mul_f16 v0, v79, v0
	v_lshl_add_u32 v1, v2, 2, 0
	ds_write_b32 v1, v0
.LBB25_362:
	s_or_b64 exec, exec, s[4:5]
	v_readlane_b32 s6, v219, 14
	v_readlane_b32 s7, v219, 15
	s_mul_i32 s4, s12, s7
	s_mul_hi_u32 s5, s12, s6
	s_add_i32 s4, s5, s4
	s_mul_i32 s5, s14, s6
	v_readlane_b32 s16, v219, 21
	s_add_i32 s4, s4, s5
	s_mul_i32 s5, s12, s6
	v_readlane_b32 s19, v219, 24
	s_add_u32 s5, s48, s5
	s_mul_i32 s6, s13, s19
	s_addc_u32 s4, s49, s4
	s_ashr_i32 s7, s6, 31
	v_readlane_b32 s17, v219, 22
	s_add_u32 s33, s5, s6
	s_addc_u32 s34, s4, s7
	s_mul_i32 s4, s12, s17
	s_mul_hi_u32 s5, s12, s16
	s_add_i32 s4, s5, s4
	s_mul_i32 s14, s14, s16
	v_lshrrev_b32_e32 v1, 3, v32
	s_add_i32 s4, s4, s14
	v_and_b32_e32 v17, 0xff0, v75
	s_movk_i32 s14, 0x110
	v_and_b32_e32 v56, 15, v32
	v_and_b32_e32 v57, 0x7e, v1
	v_mad_u32_u24 v0, v17, s14, 0
	v_mul_u32_u24_e32 v81, 0x110, v56
	v_lshlrev_b32_e32 v82, 2, v57
	v_add3_u32 v0, v0, v81, v82
	s_waitcnt lgkmcnt(0)
	s_barrier
	ds_read2_b64 v[12:15], v0 offset1:4
	ds_read2_b64 v[8:11], v0 offset0:8 offset1:12
	ds_read2_b64 v[4:7], v0 offset0:16 offset1:20
	;; [unrolled: 1-line block ×3, first 2 shown]
	v_readlane_b32 s6, v219, 19
	s_mul_i32 s12, s12, s16
	v_readlane_b32 s7, v219, 20
	s_add_u32 s5, s46, s12
	s_mul_i32 s13, s13, s7
	s_addc_u32 s4, s47, s4
	s_ashr_i32 s6, s13, 31
	v_add_u32_e32 v90, -1, v16
	s_add_u32 s35, s5, s13
	v_cmp_ge_i32_e32 vcc, s40, v90
	s_addc_u32 s36, s4, s6
	s_mov_b32 s37, 0
	s_and_b64 vcc, exec, vcc
	v_mov_b32_e32 v63, 0
	v_or_b32_e32 v80, v17, v56
	v_lshlrev_b32_e32 v88, 1, v32
	v_mbcnt_lo_u32_b32 v62, -1, 0
	v_lshrrev_b32_e32 v87, 4, v32
	v_lshlrev_b32_e32 v33, 2, v32
	v_lshrrev_b32_e32 v79, 2, v32
	v_readlane_b32 s18, v219, 23
	s_waitcnt lgkmcnt(0)
	s_barrier
	s_cbranch_vccnz .LBB25_389
; %bb.363:
	v_mbcnt_hi_u32_b32 v24, -1, v62
	v_mov_b32_e32 v16, s9
	v_add_co_u32_e32 v92, vcc, s8, v88
	v_and_b32_e32 v25, 64, v24
	v_addc_co_u32_e32 v93, vcc, 0, v16, vcc
	v_add_u32_e32 v25, 64, v25
	v_xor_b32_e32 v27, 32, v24
	v_cmp_lt_i32_e32 vcc, v27, v25
	v_cndmask_b32_e32 v27, v24, v27, vcc
	v_lshlrev_b32_e32 v98, 2, v27
	v_xor_b32_e32 v27, 16, v24
	v_cmp_lt_i32_e32 vcc, v27, v25
	v_cndmask_b32_e32 v24, v24, v27, vcc
	v_readlane_b32 s10, v219, 10
	v_mul_u32_u24_e32 v18, 0x90, v73
	v_lshlrev_b32_e32 v99, 2, v24
	v_add_u32_e32 v25, v75, v87
	v_and_b32_e32 v24, 60, v33
	v_mul_hi_u32 v16, s10, v83
	v_add3_u32 v94, 0, v18, v88
	v_mul_hi_u32 v18, s10, v84
	v_mul_hi_u32 v20, s10, v85
	;; [unrolled: 1-line block ×3, first 2 shown]
	v_mul_u32_u24_e32 v27, 0x110, v25
	v_lshlrev_b32_e32 v28, 2, v24
	s_cmp_lg_u64 s[8:9], 0
	v_readlane_b32 s11, v219, 11
	v_add_u32_e32 v16, v83, v16
	v_add_u32_e32 v18, v84, v18
	;; [unrolled: 1-line block ×4, first 2 shown]
	v_add3_u32 v100, 0, v27, v28
	v_and_b32_e32 v27, 48, v71
	s_cselect_b64 s[26:27], -1, 0
	v_lshrrev_b32_e32 v16, s11, v16
	v_lshrrev_b32_e32 v18, s11, v18
	v_lshrrev_b32_e32 v20, s11, v20
	v_lshrrev_b32_e32 v22, s11, v22
	v_mad_u32_u24 v28, v27, s14, 0
	v_mul_lo_u32 v48, s42, v25
	s_lshl_b32 s14, s42, 4
	v_mul_lo_u32 v16, v16, s60
	v_mul_lo_u32 v18, v18, s60
	;; [unrolled: 1-line block ×4, first 2 shown]
	v_lshrrev_b32_e32 v30, 2, v32
	v_add_u32_e32 v50, s14, v48
	v_sub_u32_e32 v16, v83, v16
	v_sub_u32_e32 v18, v84, v18
	;; [unrolled: 1-line block ×4, first 2 shown]
	v_mul_lo_u32 v40, s62, v25
	s_lshl_b32 s15, s62, 4
	v_and_b32_e32 v31, 0xfc, v30
	v_add_u32_e32 v52, s14, v50
	v_mad_i64_i32 v[16:17], s[6:7], v16, s66, 0
	v_mad_i64_i32 v[18:19], s[6:7], v18, s66, 0
	;; [unrolled: 1-line block ×4, first 2 shown]
	v_add_u32_e32 v42, s15, v40
	v_add_u32_e32 v29, v28, v81
	;; [unrolled: 1-line block ×3, first 2 shown]
	v_add_u16_e32 v27, v27, v31
	v_add_u32_e32 v54, s14, v52
	s_movk_i32 s14, 0xfef2
	v_cmp_gt_u32_e64 s[6:7], 64, v25
	v_cmp_gt_u32_e64 s[22:23], 48, v25
	;; [unrolled: 1-line block ×3, first 2 shown]
	v_add_u32_e32 v44, s15, v42
	v_cmp_gt_u32_e64 s[12:13], 16, v25
	v_lshl_add_u32 v104, v57, 2, v29
	v_lshrrev_b16_e32 v27, 1, v27
	v_mad_i32_i24 v25, v56, s14, v29
	v_mul_u32_u24_e32 v29, 0x88, v31
	v_add_u32_e32 v46, s15, v44
	v_mul_u32_u24_e32 v35, 0x90, v80
	v_lshlrev_b32_e32 v27, 2, v27
	v_cmp_gt_u32_e64 s[14:15], 64, v34
	v_cmp_gt_u32_e64 s[16:17], 63, v34
	;; [unrolled: 1-line block ×4, first 2 shown]
	v_or_b32_e32 v34, v29, v56
	v_or_b32_e32 v30, 3, v30
	s_mov_b64 s[28:29], src_private_base
	v_ashrrev_i32_e32 v41, 31, v40
	v_ashrrev_i32_e32 v43, 31, v42
	;; [unrolled: 1-line block ×4, first 2 shown]
	v_add3_u32 v27, 0, v35, v27
	v_ashrrev_i32_e32 v49, 31, v48
	v_ashrrev_i32_e32 v51, 31, v50
	;; [unrolled: 1-line block ×4, first 2 shown]
	v_mul_u32_u24_e32 v58, 0x110, v31
	v_mul_u32_u24_e32 v59, 0x110, v30
	v_lshl_add_u32 v105, v34, 1, v28
	v_cmp_gt_u32_e64 s[4:5], 64, v32
	v_mov_b32_e32 v91, 0
	v_add_u32_e32 v95, 0x240, v94
	v_add_u32_e32 v96, 0x480, v94
	;; [unrolled: 1-line block ×3, first 2 shown]
	s_mov_b32 s28, 0
	v_add_u32_e32 v101, 0x1100, v100
	v_add_u32_e32 v102, 0x2200, v100
	;; [unrolled: 1-line block ×3, first 2 shown]
	v_lshl_add_u32 v106, v29, 1, v25
	v_add_u32_e32 v107, 32, v105
	v_add_u32_e32 v108, 64, v105
	;; [unrolled: 1-line block ×7, first 2 shown]
	v_mov_b32_e32 v28, v26
	v_mov_b32_e32 v29, v26
	s_lshl_b32 s30, s40, 6
	v_mov_b32_e32 v89, 0xfeffffff
	v_lshlrev_b64 v[30:31], 1, v[16:17]
	v_lshlrev_b64 v[34:35], 1, v[18:19]
	;; [unrolled: 1-line block ×5, first 2 shown]
	v_lshlrev_b32_e32 v114, 2, v24
	v_lshlrev_b64 v[42:43], 2, v[42:43]
	v_lshlrev_b64 v[44:45], 2, v[44:45]
	;; [unrolled: 1-line block ×3, first 2 shown]
	s_mov_b32 s38, 0x3f200000
	s_mov_b32 s39, 0x3fb8aa3b
	;; [unrolled: 1-line block ×4, first 2 shown]
	v_mov_b32_e32 v115, 0xbd5c1c4e
	v_mov_b32_e32 v116, 0x3e088382
	v_mov_b32_e32 v117, 0xbeaaaa99
	s_brev_b32 s44, -2
	v_add_u32_e32 v118, 0x4400, v27
	s_mov_b32 s45, 0xc1a00000
	v_lshlrev_b64 v[48:49], 2, v[48:49]
	v_lshlrev_b64 v[50:51], 2, v[50:51]
	;; [unrolled: 1-line block ×4, first 2 shown]
	v_add_u32_e32 v119, v25, v58
	v_add_u32_e32 v120, v25, v59
	s_mov_b32 s46, 0x5040100
	v_mov_b32_e32 v121, 0x7f800000
	v_mov_b32_e32 v122, 0
	;; [unrolled: 1-line block ×18, first 2 shown]
	s_andn2_b64 vcc, exec, s[26:27]
	s_ashr_i32 s31, s30, 31
	s_cbranch_vccnz .LBB25_367
.LBB25_364:
	v_mov_b32_e32 v16, 0
	v_mov_b32_e32 v17, 0
	;; [unrolled: 1-line block ×4, first 2 shown]
	s_and_saveexec_b64 s[24:25], s[4:5]
	s_cbranch_execz .LBB25_366
; %bb.365:
	s_lshl_b64 s[48:49], s[30:31], 1
	v_mov_b32_e32 v16, s49
	v_add_co_u32_e32 v22, vcc, s48, v92
	v_addc_co_u32_e32 v23, vcc, v93, v16, vcc
	v_add_co_u32_e32 v16, vcc, v22, v30
	v_addc_co_u32_e32 v17, vcc, v23, v31, vcc
	;; [unrolled: 2-line block ×5, first 2 shown]
	flat_load_ushort v16, v[16:17]
	s_nop 0
	flat_load_ushort v17, v[18:19]
	s_nop 0
	flat_load_ushort v18, v[20:21]
	flat_load_ushort v19, v[22:23]
.LBB25_366:
	s_or_b64 exec, exec, s[24:25]
	s_waitcnt vmcnt(0) lgkmcnt(0)
	ds_write_b16 v94, v16 offset:17408
	ds_write_b16 v95, v17 offset:17408
	ds_write_b16 v96, v18 offset:17408
	ds_write_b16 v97, v19 offset:17408
.LBB25_367:                             ; =>This Inner Loop Header: Depth=1
	s_mul_hi_i32 s25, s30, s62
	s_mul_i32 s24, s30, s62
	s_lshl_b64 s[24:25], s[24:25], 2
	s_add_u32 s24, s35, s24
	s_addc_u32 s25, s36, s25
	v_mov_b32_e32 v16, s25
	v_add_co_u32_e32 v17, vcc, s24, v40
	v_addc_co_u32_e32 v16, vcc, v16, v41, vcc
	v_add_co_u32_e32 v18, vcc, v17, v114
	v_addc_co_u32_e32 v16, vcc, 0, v16, vcc
	v_mov_b32_e32 v22, s29
	v_mov_b32_e32 v23, s28
	buffer_store_dword v91, off, s[0:3], 0
	buffer_store_dword v91, off, s[0:3], 0 offset:4
	buffer_store_dword v91, off, s[0:3], 0 offset:8
	buffer_store_dword v91, off, s[0:3], 0 offset:12
	v_cndmask_b32_e64 v17, v22, v16, s[6:7]
	v_cndmask_b32_e64 v16, v23, v18, s[6:7]
	flat_load_dwordx4 v[16:19], v[16:17]
	v_mov_b32_e32 v20, s25
	v_add_co_u32_e32 v21, vcc, s24, v42
	v_addc_co_u32_e32 v20, vcc, v20, v43, vcc
	v_add_co_u32_e32 v21, vcc, v21, v114
	v_addc_co_u32_e32 v24, vcc, 0, v20, vcc
	v_cndmask_b32_e64 v20, v23, v21, s[22:23]
	v_cndmask_b32_e64 v21, v22, v24, s[22:23]
	s_waitcnt vmcnt(0) lgkmcnt(0)
	ds_write_b128 v100, v[16:19]
	flat_load_dwordx4 v[16:19], v[20:21]
	v_mov_b32_e32 v20, s25
	v_add_co_u32_e32 v21, vcc, s24, v44
	v_addc_co_u32_e32 v20, vcc, v20, v45, vcc
	v_add_co_u32_e32 v21, vcc, v21, v114
	v_addc_co_u32_e32 v24, vcc, 0, v20, vcc
	v_cndmask_b32_e64 v20, v23, v21, s[10:11]
	v_cndmask_b32_e64 v21, v22, v24, s[10:11]
	s_waitcnt vmcnt(0) lgkmcnt(0)
	ds_write_b128 v101, v[16:19]
	;; [unrolled: 10-line block ×3, first 2 shown]
	flat_load_dwordx4 v[16:19], v[20:21]
	s_waitcnt vmcnt(0) lgkmcnt(0)
	ds_write_b128 v103, v[16:19]
	s_waitcnt lgkmcnt(0)
	s_barrier
	ds_read2_b64 v[16:19], v104 offset1:4
	s_waitcnt lgkmcnt(0)
	v_mfma_f32_16x16x16f16 v[20:23], v[16:17], v[12:13], 0
	v_mfma_f32_16x16x16f16 v[16:19], v[18:19], v[14:15], v[20:23]
	s_nop 7
	s_nop 1
	ds_read2_b64 v[20:23], v104 offset0:8 offset1:12
	s_waitcnt lgkmcnt(0)
	v_mfma_f32_16x16x16f16 v[16:19], v[20:21], v[8:9], v[16:19]
	v_mfma_f32_16x16x16f16 v[16:19], v[22:23], v[10:11], v[16:19]
	ds_read2_b64 v[20:23], v104 offset0:16 offset1:20
	s_waitcnt lgkmcnt(0)
	v_mfma_f32_16x16x16f16 v[16:19], v[20:21], v[4:5], v[16:19]
	v_mfma_f32_16x16x16f16 v[16:19], v[22:23], v[6:7], v[16:19]
	ds_read2_b64 v[20:23], v104 offset0:24 offset1:28
	s_waitcnt lgkmcnt(0)
	s_barrier
	v_mfma_f32_16x16x16f16 v[16:19], v[20:21], v[0:1], v[16:19]
                                        ; implicit-def: $vgpr20
	v_mfma_f32_16x16x16f16 v[16:19], v[22:23], v[2:3], v[16:19]
	s_nop 7
	s_nop 2
	v_cmp_nlt_f32_e64 s[24:25], |v16|, s38
	s_and_saveexec_b64 s[48:49], s[24:25]
	s_xor_b64 s[24:25], exec, s[48:49]
	s_cbranch_execz .LBB25_369
; %bb.368:                              ;   in Loop: Header=BB25_367 Depth=1
	v_add_f32_e64 v20, |v16|, |v16|
	v_mul_f32_e32 v21, 0x3fb8aa3b, v20
	v_rndne_f32_e32 v22, v21
	v_sub_f32_e32 v23, v21, v22
	v_fma_f32 v21, v20, s39, -v21
	v_fmac_f32_e32 v21, 0x32a5705f, v20
	v_add_f32_e32 v21, v23, v21
	v_cvt_i32_f32_e32 v22, v22
	v_exp_f32_e32 v21, v21
	v_cmp_ngt_f32_e32 vcc, s41, v20
	v_ldexp_f32 v21, v21, v22
	v_cndmask_b32_e32 v21, 0, v21, vcc
	v_cmp_nlt_f32_e32 vcc, s43, v20
	v_cndmask_b32_e32 v20, v121, v21, vcc
	v_add_f32_e32 v20, 1.0, v20
	v_rcp_f32_e32 v20, v20
	v_fma_f32 v20, v20, -2.0, 1.0
.LBB25_369:                             ;   in Loop: Header=BB25_367 Depth=1
	s_andn2_saveexec_b64 s[24:25], s[24:25]
; %bb.370:                              ;   in Loop: Header=BB25_367 Depth=1
	v_mul_f32_e32 v20, v16, v16
	v_mov_b32_e32 v21, 0x3ca908c9
	v_fmac_f32_e32 v21, 0xbbbac73d, v20
	v_fma_f32 v21, v20, v21, v115
	v_fma_f32 v21, v20, v21, v116
	;; [unrolled: 1-line block ×3, first 2 shown]
	v_mul_f32_e64 v21, |v16|, v21
	v_fma_f32 v20, v20, v21, |v16|
; %bb.371:                              ;   in Loop: Header=BB25_367 Depth=1
	s_or_b64 exec, exec, s[24:25]
	v_cmp_nlt_f32_e64 s[24:25], |v17|, s38
                                        ; implicit-def: $vgpr21
	s_and_saveexec_b64 s[48:49], s[24:25]
	s_xor_b64 s[24:25], exec, s[48:49]
	s_cbranch_execz .LBB25_373
; %bb.372:                              ;   in Loop: Header=BB25_367 Depth=1
	v_add_f32_e64 v21, |v17|, |v17|
	v_mul_f32_e32 v22, 0x3fb8aa3b, v21
	v_rndne_f32_e32 v23, v22
	v_sub_f32_e32 v24, v22, v23
	v_fma_f32 v22, v21, s39, -v22
	v_fmac_f32_e32 v22, 0x32a5705f, v21
	v_add_f32_e32 v22, v24, v22
	v_cvt_i32_f32_e32 v23, v23
	v_exp_f32_e32 v22, v22
	v_cmp_ngt_f32_e32 vcc, s41, v21
	v_ldexp_f32 v22, v22, v23
	v_cndmask_b32_e32 v22, 0, v22, vcc
	v_cmp_nlt_f32_e32 vcc, s43, v21
	v_cndmask_b32_e32 v21, v121, v22, vcc
	v_add_f32_e32 v21, 1.0, v21
	v_rcp_f32_e32 v21, v21
	v_fma_f32 v21, v21, -2.0, 1.0
.LBB25_373:                             ;   in Loop: Header=BB25_367 Depth=1
	s_andn2_saveexec_b64 s[24:25], s[24:25]
; %bb.374:                              ;   in Loop: Header=BB25_367 Depth=1
	v_mul_f32_e32 v21, v17, v17
	v_mov_b32_e32 v22, 0x3ca908c9
	v_fmac_f32_e32 v22, 0xbbbac73d, v21
	v_fma_f32 v22, v21, v22, v115
	v_fma_f32 v22, v21, v22, v116
	;; [unrolled: 1-line block ×3, first 2 shown]
	v_mul_f32_e64 v22, |v17|, v22
	v_fma_f32 v21, v21, v22, |v17|
; %bb.375:                              ;   in Loop: Header=BB25_367 Depth=1
	s_or_b64 exec, exec, s[24:25]
	v_cmp_nlt_f32_e64 s[24:25], |v18|, s38
                                        ; implicit-def: $vgpr22
	s_and_saveexec_b64 s[48:49], s[24:25]
	s_xor_b64 s[24:25], exec, s[48:49]
	s_cbranch_execz .LBB25_377
; %bb.376:                              ;   in Loop: Header=BB25_367 Depth=1
	v_add_f32_e64 v22, |v18|, |v18|
	v_mul_f32_e32 v23, 0x3fb8aa3b, v22
	v_rndne_f32_e32 v24, v23
	v_sub_f32_e32 v25, v23, v24
	v_fma_f32 v23, v22, s39, -v23
	v_fmac_f32_e32 v23, 0x32a5705f, v22
	v_add_f32_e32 v23, v25, v23
	v_cvt_i32_f32_e32 v24, v24
	v_exp_f32_e32 v23, v23
	v_cmp_ngt_f32_e32 vcc, s41, v22
	v_ldexp_f32 v23, v23, v24
	v_cndmask_b32_e32 v23, 0, v23, vcc
	v_cmp_nlt_f32_e32 vcc, s43, v22
	v_cndmask_b32_e32 v22, v121, v23, vcc
	v_add_f32_e32 v22, 1.0, v22
	v_rcp_f32_e32 v22, v22
	v_fma_f32 v22, v22, -2.0, 1.0
.LBB25_377:                             ;   in Loop: Header=BB25_367 Depth=1
	s_andn2_saveexec_b64 s[24:25], s[24:25]
; %bb.378:                              ;   in Loop: Header=BB25_367 Depth=1
	v_mul_f32_e32 v22, v18, v18
	v_mov_b32_e32 v23, 0x3ca908c9
	v_fmac_f32_e32 v23, 0xbbbac73d, v22
	v_fma_f32 v23, v22, v23, v115
	v_fma_f32 v23, v22, v23, v116
	;; [unrolled: 1-line block ×3, first 2 shown]
	v_mul_f32_e64 v23, |v18|, v23
	v_fma_f32 v22, v22, v23, |v18|
; %bb.379:                              ;   in Loop: Header=BB25_367 Depth=1
	s_or_b64 exec, exec, s[24:25]
	v_cmp_nlt_f32_e64 s[24:25], |v19|, s38
                                        ; implicit-def: $vgpr23
	s_and_saveexec_b64 s[48:49], s[24:25]
	s_xor_b64 s[24:25], exec, s[48:49]
	s_cbranch_execz .LBB25_381
; %bb.380:                              ;   in Loop: Header=BB25_367 Depth=1
	v_add_f32_e64 v23, |v19|, |v19|
	v_mul_f32_e32 v24, 0x3fb8aa3b, v23
	v_rndne_f32_e32 v25, v24
	v_sub_f32_e32 v27, v24, v25
	v_fma_f32 v24, v23, s39, -v24
	v_fmac_f32_e32 v24, 0x32a5705f, v23
	v_add_f32_e32 v24, v27, v24
	v_cvt_i32_f32_e32 v25, v25
	v_exp_f32_e32 v24, v24
	v_cmp_ngt_f32_e32 vcc, s41, v23
	v_ldexp_f32 v24, v24, v25
	v_cndmask_b32_e32 v24, 0, v24, vcc
	v_cmp_nlt_f32_e32 vcc, s43, v23
	v_cndmask_b32_e32 v23, v121, v24, vcc
	v_add_f32_e32 v23, 1.0, v23
	v_rcp_f32_e32 v23, v23
	v_fma_f32 v23, v23, -2.0, 1.0
.LBB25_381:                             ;   in Loop: Header=BB25_367 Depth=1
	s_andn2_saveexec_b64 s[24:25], s[24:25]
; %bb.382:                              ;   in Loop: Header=BB25_367 Depth=1
	v_mul_f32_e32 v23, v19, v19
	v_mov_b32_e32 v24, 0x3ca908c9
	v_fmac_f32_e32 v24, 0xbbbac73d, v23
	v_fma_f32 v24, v23, v24, v115
	v_fma_f32 v24, v23, v24, v116
	;; [unrolled: 1-line block ×3, first 2 shown]
	v_mul_f32_e64 v24, |v19|, v24
	v_fma_f32 v23, v23, v24, |v19|
; %bb.383:                              ;   in Loop: Header=BB25_367 Depth=1
	s_or_b64 exec, exec, s[24:25]
	v_bfi_b32 v16, s44, v20, v16
	v_mul_f32_e32 v20, s73, v16
	v_bfi_b32 v16, s44, v21, v17
	v_mul_f32_e32 v21, s73, v16
	;; [unrolled: 2-line block ×4, first 2 shown]
	s_and_b64 vcc, exec, s[26:27]
	s_cbranch_vccz .LBB25_388
; %bb.384:                              ;   in Loop: Header=BB25_367 Depth=1
	ds_read2_b32 v[16:17], v118 offset1:1
	v_mov_b32_e32 v27, v26
	s_waitcnt lgkmcnt(0)
	v_cvt_f32_f16_e32 v24, v16
	v_cvt_f32_f16_e32 v18, v17
	v_cvt_f32_f16_sdwa v19, v17 dst_sel:DWORD dst_unused:UNUSED_PAD src0_sel:WORD_1
	v_cvt_f32_f16_sdwa v25, v16 dst_sel:DWORD dst_unused:UNUSED_PAD src0_sel:WORD_1
	v_pk_fma_f32 v[18:19], v[26:27], v[18:19], v[22:23]
	v_pk_fma_f32 v[16:17], v[28:29], v[24:25], v[20:21]
	s_cbranch_execnz .LBB25_386
.LBB25_385:                             ;   in Loop: Header=BB25_367 Depth=1
	v_pk_mov_b32 v[16:17], v[20:21], v[20:21] op_sel:[0,1]
	v_pk_mov_b32 v[18:19], v[22:23], v[22:23] op_sel:[0,1]
.LBB25_386:                             ;   in Loop: Header=BB25_367 Depth=1
	s_mul_hi_i32 s25, s30, s42
	s_mul_i32 s24, s30, s42
	s_lshl_b64 s[24:25], s[24:25], 2
	s_add_u32 s24, s33, s24
	s_addc_u32 s25, s34, s25
	v_mov_b32_e32 v20, s25
	v_add_co_u32_e32 v21, vcc, s24, v48
	v_addc_co_u32_e32 v20, vcc, v20, v49, vcc
	v_add_co_u32_e32 v22, vcc, v21, v114
	v_addc_co_u32_e32 v20, vcc, 0, v20, vcc
	v_mov_b32_e32 v27, s29
	v_mov_b32_e32 v123, s28
	buffer_store_dword v91, off, s[0:3], 0
	buffer_store_dword v91, off, s[0:3], 0 offset:4
	buffer_store_dword v91, off, s[0:3], 0 offset:8
	;; [unrolled: 1-line block ×3, first 2 shown]
	v_cndmask_b32_e64 v21, v27, v20, s[6:7]
	v_cndmask_b32_e64 v20, v123, v22, s[6:7]
	flat_load_dwordx4 v[20:23], v[20:21]
	v_mov_b32_e32 v24, s25
	v_add_co_u32_e32 v25, vcc, s24, v50
	v_addc_co_u32_e32 v24, vcc, v24, v51, vcc
	v_add_co_u32_e32 v25, vcc, v25, v114
	v_addc_co_u32_e32 v124, vcc, 0, v24, vcc
	v_cndmask_b32_e64 v24, v123, v25, s[22:23]
	v_cndmask_b32_e64 v25, v27, v124, s[22:23]
	v_add_f32_e32 v125, 0x40051340, v17
	v_add_f32_e32 v126, 0x40051340, v18
	v_add_f32_e32 v127, 0x40051340, v19
	v_cndmask_b32_e64 v129, v18, v18, s[16:17]
	v_cndmask_b32_e64 v128, v19, v19, s[16:17]
	v_mov_b32_e32 v18, s37
	v_mov_b32_e32 v19, s37
	s_add_i32 s40, s40, 1
	s_add_i32 s30, s30, 64
	s_waitcnt vmcnt(0) lgkmcnt(0)
	ds_write_b128 v100, v[20:23]
	flat_load_dwordx4 v[20:23], v[24:25]
	v_mov_b32_e32 v24, s25
	v_add_co_u32_e32 v25, vcc, s24, v52
	v_addc_co_u32_e32 v24, vcc, v24, v53, vcc
	v_add_co_u32_e32 v25, vcc, v25, v114
	v_addc_co_u32_e32 v124, vcc, 0, v24, vcc
	v_cndmask_b32_e64 v24, v123, v25, s[10:11]
	v_cndmask_b32_e64 v25, v27, v124, s[10:11]
	v_max_f32_e32 v124, v89, v89
	v_cmp_lt_i32_e32 vcc, s40, v90
	s_and_b64 vcc, exec, vcc
	s_waitcnt vmcnt(0) lgkmcnt(0)
	ds_write_b128 v101, v[20:23]
	flat_load_dwordx4 v[22:25], v[24:25]
	v_add_f32_e32 v20, 0x40051340, v16
	v_max_f32_e32 v20, v124, v20
	v_cndmask_b32_e64 v20, v89, v20, s[14:15]
	v_max_f32_e32 v124, v20, v20
	v_max_f32_e32 v124, v124, v125
	v_cndmask_b32_e64 v20, v20, v124, s[16:17]
	v_max_f32_e32 v124, v20, v20
	;; [unrolled: 3-line block ×3, first 2 shown]
	v_max_f32_e32 v124, v124, v127
	v_cndmask_b32_e64 v20, v20, v124, s[20:21]
	ds_bpermute_b32 v124, v98, v20
	v_mov_b32_e32 v125, s25
	v_add_co_u32_e64 v126, s[24:25], s24, v54
	v_addc_co_u32_e64 v125, s[24:25], v125, v55, s[24:25]
	v_max_f32_e32 v20, v20, v20
	s_waitcnt lgkmcnt(0)
	v_max_f32_e32 v124, v124, v124
	v_max_f32_e32 v20, v20, v124
	v_add_co_u32_e64 v124, s[24:25], v126, v114
	v_addc_co_u32_e64 v125, s[24:25], 0, v125, s[24:25]
	v_cndmask_b32_e64 v124, v123, v124, s[12:13]
	v_cndmask_b32_e64 v125, v27, v125, s[12:13]
	ds_bpermute_b32 v127, v99, v20
	v_mov_b32_e32 v21, s37
	s_waitcnt lgkmcnt(0)
	v_max_f32_e32 v27, v127, v127
	v_max_f32_e32 v20, v20, v27
	v_sub_f32_e32 v16, v16, v20
	v_sub_f32_e32 v17, v17, v20
	v_mul_f32_e32 v126, 0x3fb8aa3b, v16
	v_sub_f32_e32 v27, v129, v20
	v_mul_f32_e32 v127, 0x3fb8aa3b, v17
	v_fma_f32 v131, v16, s39, -v126
	v_rndne_f32_e32 v132, v126
	v_sub_f32_e32 v123, v128, v20
	v_mul_f32_e32 v128, 0x3fb8aa3b, v27
	v_fma_f32 v133, v17, s39, -v127
	v_rndne_f32_e32 v134, v127
	v_fmac_f32_e32 v131, 0x32a5705f, v16
	v_sub_f32_e32 v126, v126, v132
	v_sub_f32_e32 v89, v89, v20
	v_mul_f32_e32 v129, 0x3fb8aa3b, v123
	v_fma_f32 v135, v27, s39, -v128
	v_rndne_f32_e32 v136, v128
	v_fmac_f32_e32 v133, 0x32a5705f, v17
	v_add_f32_e32 v126, v126, v131
	v_mul_f32_e32 v130, 0x3fb8aa3b, v89
	v_fma_f32 v137, v123, s39, -v129
	v_rndne_f32_e32 v138, v129
	v_cvt_i32_f32_e32 v132, v132
	v_fmac_f32_e32 v135, 0x32a5705f, v27
	v_exp_f32_e32 v126, v126
	v_fma_f32 v139, v89, s39, -v130
	v_rndne_f32_e32 v140, v130
	v_fmac_f32_e32 v137, 0x32a5705f, v123
	v_sub_f32_e32 v129, v129, v138
	v_fmac_f32_e32 v139, 0x32a5705f, v89
	v_sub_f32_e32 v130, v130, v140
	v_add_f32_e32 v129, v129, v137
	v_add_f32_e32 v130, v130, v139
	v_exp_f32_e32 v129, v129
	v_exp_f32_e32 v130, v130
	v_ldexp_f32 v126, v126, v132
	v_cmp_ngt_f32_e64 s[24:25], s41, v16
	v_cndmask_b32_e64 v126, 0, v126, s[24:25]
	v_cmp_ngt_f32_e64 s[24:25], s41, v17
	s_waitcnt vmcnt(0)
	ds_write_b128 v102, v[22:25]
	flat_load_dwordx4 v[22:25], v[124:125]
	v_sub_f32_e32 v124, v127, v134
	v_sub_f32_e32 v127, v128, v136
	v_add_f32_e32 v124, v124, v133
	v_cvt_i32_f32_e32 v125, v134
	v_add_f32_e32 v127, v127, v135
	v_exp_f32_e32 v124, v124
	v_cvt_i32_f32_e32 v128, v136
	v_exp_f32_e32 v127, v127
	v_cvt_i32_f32_e32 v134, v138
	v_cvt_i32_f32_e32 v136, v140
	v_ldexp_f32 v124, v124, v125
	v_ldexp_f32 v125, v127, v128
	v_cndmask_b32_e64 v124, 0, v124, s[24:25]
	v_cmp_ngt_f32_e64 s[24:25], s41, v27
	v_ldexp_f32 v127, v129, v134
	v_cndmask_b32_e64 v125, 0, v125, s[24:25]
	v_cmp_ngt_f32_e64 s[24:25], s41, v123
	;; [unrolled: 3-line block ×3, first 2 shown]
	v_cndmask_b32_e64 v128, 0, v128, s[24:25]
	v_cmp_nlt_f32_e64 s[24:25], s43, v16
	v_cndmask_b32_e64 v16, v121, v126, s[24:25]
	v_cmp_nlt_f32_e64 s[24:25], s43, v17
	;; [unrolled: 2-line block ×5, first 2 shown]
	v_cndmask_b32_e64 v124, v121, v128, s[24:25]
	v_cmp_le_f32_e64 s[24:25], s45, v89
	v_cndmask_b32_e64 v16, 0, v16, s[14:15]
	v_cndmask_b32_e64 v21, v21, v17, s[16:17]
	;; [unrolled: 1-line block ×3, first 2 shown]
	v_cvt_f16_f32_e32 v89, v142
	v_cvt_f16_f32_e32 v124, v16
	;; [unrolled: 1-line block ×3, first 2 shown]
	v_add_f32_e32 v17, v17, v16
	v_cndmask_b32_e64 v16, v16, v17, s[16:17]
	v_add_f32_e32 v17, v16, v27
	v_cndmask_b32_e64 v18, v18, v27, s[18:19]
	v_cndmask_b32_e64 v19, v19, v123, s[20:21]
	;; [unrolled: 1-line block ×3, first 2 shown]
	v_pk_mul_f16 v17, v89, v78 op_sel_hi:[0,1]
	v_pk_mul_f16 v78, v89, v68 op_sel_hi:[0,1]
	v_pk_mul_f16 v129, v89, v67 op_sel_hi:[0,1]
	v_pk_mul_f16 v131, v89, v66 op_sel_hi:[0,1]
	v_pk_mul_f16 v132, v89, v65 op_sel_hi:[0,1]
	v_pk_mul_f16 v133, v89, v64 op_sel_hi:[0,1]
	v_pack_b32_f16 v68, v124, v21
	v_cvt_f16_f32_e32 v125, v18
	v_cvt_f16_f32_e32 v126, v19
	v_pk_mul_f16 v19, v89, v63 op_sel_hi:[0,1]
	v_cvt_f32_f16_e32 v16, v17
	v_cvt_f32_f16_sdwa v17, v17 dst_sel:DWORD dst_unused:UNUSED_PAD src0_sel:WORD_1
	v_cvt_f32_f16_e32 v18, v19
	v_cvt_f32_f16_sdwa v19, v19 dst_sel:DWORD dst_unused:UNUSED_PAD src0_sel:WORD_1
	v_pk_mul_f16 v63, v89, v76 op_sel_hi:[0,1]
	v_pk_mul_f16 v74, v89, v74 op_sel_hi:[0,1]
	;; [unrolled: 1-line block ×3, first 2 shown]
	v_pack_b32_f16 v69, v125, v126
	v_pk_mul_f16 v72, v89, v72 op_sel_hi:[0,1]
	v_pk_mul_f16 v70, v89, v70 op_sel_hi:[0,1]
	v_cvt_f32_f16_sdwa v125, v76 dst_sel:DWORD dst_unused:UNUSED_PAD src0_sel:WORD_1
	v_add_f32_e32 v123, v27, v123
	s_waitcnt vmcnt(0) lgkmcnt(0)
	ds_write_b128 v103, v[22:25]
	s_waitcnt lgkmcnt(0)
	s_barrier
	ds_read_u16 v21, v105
	ds_read_u16 v64, v105 offset:32
	ds_read_u16 v124, v105 offset:64
	;; [unrolled: 1-line block ×23, first 2 shown]
	ds_read_u16 v24, v120
	ds_read_u16 v67, v120 offset:32
	ds_read_u16 v149, v120 offset:64
	ds_read_u16 v150, v120 offset:96
	ds_read_u16 v151, v120 offset:128
	ds_read_u16 v152, v120 offset:160
	ds_read_u16 v153, v120 offset:192
	ds_read_u16 v154, v120 offset:224
	s_waitcnt lgkmcnt(7)
	v_perm_b32 v25, v24, v23, s46
	v_perm_b32 v24, v22, v21, s46
	s_waitcnt lgkmcnt(6)
	v_perm_b32 v67, v67, v66, s46
	v_perm_b32 v66, v65, v64, s46
	v_cvt_f32_f16_e32 v22, v63
	v_cvt_f32_f16_sdwa v23, v63 dst_sel:DWORD dst_unused:UNUSED_PAD src0_sel:WORD_1
	v_mfma_f32_16x16x16f16 v[16:19], v[24:25], v[68:69], v[16:19]
	v_cvt_f32_f16_e32 v24, v74
	v_cvt_f32_f16_sdwa v25, v74 dst_sel:DWORD dst_unused:UNUSED_PAD src0_sel:WORD_1
	s_waitcnt lgkmcnt(5)
	v_perm_b32 v127, v149, v127, s46
	v_perm_b32 v126, v130, v124, s46
	v_cvt_f32_f16_e32 v64, v72
	v_cvt_f32_f16_sdwa v65, v72 dst_sel:DWORD dst_unused:UNUSED_PAD src0_sel:WORD_1
	v_pk_mul_f16 v21, v89, v61 op_sel_hi:[0,1]
	v_mfma_f32_16x16x16f16 v[22:25], v[66:67], v[68:69], v[22:25]
	v_cvt_f32_f16_e32 v66, v70
	v_cvt_f32_f16_sdwa v67, v70 dst_sel:DWORD dst_unused:UNUSED_PAD src0_sel:WORD_1
	v_pk_mul_f16 v63, v89, v60 op_sel_hi:[0,1]
	s_waitcnt lgkmcnt(4)
	v_perm_b32 v61, v150, v141, s46
	v_perm_b32 v60, v135, v128, s46
	v_cvt_f32_f16_e32 v124, v76
	v_cvt_f32_f16_e32 v128, v129
	v_mfma_f32_16x16x16f16 v[64:67], v[126:127], v[68:69], v[64:67]
	v_cvt_f32_f16_e32 v126, v78
	v_cvt_f32_f16_sdwa v127, v78 dst_sel:DWORD dst_unused:UNUSED_PAD src0_sel:WORD_1
	v_cvt_f32_f16_sdwa v129, v129 dst_sel:DWORD dst_unused:UNUSED_PAD src0_sel:WORD_1
	v_cvt_f32_f16_e32 v130, v131
	v_cvt_f32_f16_sdwa v131, v131 dst_sel:DWORD dst_unused:UNUSED_PAD src0_sel:WORD_1
	s_waitcnt lgkmcnt(2)
	v_perm_b32 v135, v152, v146, s46
	v_pk_mul_f16 v70, v89, v59 op_sel_hi:[0,1]
	v_mfma_f32_16x16x16f16 v[124:127], v[60:61], v[68:69], v[124:127]
	v_perm_b32 v61, v151, v145, s46
	v_perm_b32 v60, v138, v134, s46
	;; [unrolled: 1-line block ×3, first 2 shown]
	v_pk_mul_f16 v72, v89, v58 op_sel_hi:[0,1]
	v_cvt_f32_f16_e32 v58, v132
	v_cvt_f32_f16_sdwa v59, v132 dst_sel:DWORD dst_unused:UNUSED_PAD src0_sel:WORD_1
	s_waitcnt lgkmcnt(1)
	v_perm_b32 v141, v153, v147, s46
	v_mfma_f32_16x16x16f16 v[128:131], v[60:61], v[68:69], v[128:131]
	v_cvt_f32_f16_e32 v60, v133
	v_cvt_f32_f16_sdwa v61, v133 dst_sel:DWORD dst_unused:UNUSED_PAD src0_sel:WORD_1
	v_perm_b32 v140, v140, v137, s46
	v_cvt_f32_f16_e32 v132, v21
	v_cvt_f32_f16_sdwa v133, v21 dst_sel:DWORD dst_unused:UNUSED_PAD src0_sel:WORD_1
	v_cvt_f32_f16_e32 v136, v70
	v_cvt_f32_f16_sdwa v137, v70 dst_sel:DWORD dst_unused:UNUSED_PAD src0_sel:WORD_1
	v_mfma_f32_16x16x16f16 v[58:61], v[134:135], v[68:69], v[58:61]
	v_cvt_f32_f16_e32 v134, v63
	v_cvt_f32_f16_sdwa v135, v63 dst_sel:DWORD dst_unused:UNUSED_PAD src0_sel:WORD_1
	v_cvt_f32_f16_e32 v138, v72
	v_cvt_f32_f16_sdwa v139, v72 dst_sel:DWORD dst_unused:UNUSED_PAD src0_sel:WORD_1
	v_cndmask_b32_e64 v89, v27, v123, s[20:21]
	v_fmac_f32_e32 v89, v122, v142
	v_cvt_f16_f32_e32 v16, v16
	v_mfma_f32_16x16x16f16 v[132:135], v[140:141], v[68:69], v[132:135]
	s_waitcnt lgkmcnt(0)
	v_perm_b32 v141, v154, v148, s46
	v_perm_b32 v140, v144, v143, s46
	v_cvt_f16_f32_e32 v17, v17
	v_cvt_f16_f32_e32 v18, v18
	;; [unrolled: 1-line block ×5, first 2 shown]
	v_mfma_f32_16x16x16f16 v[136:139], v[140:141], v[68:69], v[136:139]
	v_cvt_f16_f32_e32 v23, v24
	v_cvt_f16_f32_e32 v24, v25
	;; [unrolled: 1-line block ×26, first 2 shown]
	v_pack_b32_f16 v78, v16, v17
	v_pack_b32_f16 v63, v18, v19
	;; [unrolled: 1-line block ×16, first 2 shown]
	s_barrier
	s_cbranch_vccz .LBB25_390
; %bb.387:                              ;   in Loop: Header=BB25_367 Depth=1
	v_mov_b32_e32 v122, v89
	v_mov_b32_e32 v89, v20
	s_andn2_b64 vcc, exec, s[26:27]
	s_ashr_i32 s31, s30, 31
	s_cbranch_vccz .LBB25_364
	s_branch .LBB25_367
.LBB25_388:                             ;   in Loop: Header=BB25_367 Depth=1
                                        ; implicit-def: $vgpr16_vgpr17_vgpr18_vgpr19
	s_branch .LBB25_385
.LBB25_389:
	v_mov_b32_e32 v89, 0
	v_mov_b32_e32 v20, 0xfeffffff
	v_mov_b32_e32 v78, 0
	v_mov_b32_e32 v74, 0
	v_mov_b32_e32 v76, 0
	v_mov_b32_e32 v70, 0
	v_mov_b32_e32 v72, 0
	v_mov_b32_e32 v68, 0
	v_mov_b32_e32 v69, 0
	v_mov_b32_e32 v66, 0
	v_mov_b32_e32 v67, 0
	v_mov_b32_e32 v64, 0
	v_mov_b32_e32 v65, 0
	v_mov_b32_e32 v60, 0
	v_mov_b32_e32 v61, 0
	v_mov_b32_e32 v58, 0
	v_mov_b32_e32 v59, 0
.LBB25_390:
	s_lshl_b32 s14, s40, 6
	v_readlane_b32 s4, v219, 4
	s_sub_i32 s18, s4, s14
	s_cmp_lg_u64 s[8:9], 0
	s_cselect_b64 s[16:17], -1, 0
	s_ashr_i32 s15, s14, 31
	s_cmp_eq_u64 s[8:9], 0
	v_readlane_b32 s5, v219, 5
	s_cbranch_scc1 .LBB25_400
; %bb.391:
	s_lshl_b64 s[4:5], s[14:15], 1
	s_add_u32 s4, s8, s4
	s_addc_u32 s5, s9, s5
	v_mov_b32_e32 v17, s5
	v_add_co_u32_e64 v16, s[4:5], s4, v88
	v_cmp_gt_i32_e32 vcc, s18, v32
	v_mov_b32_e32 v18, 0
	v_addc_co_u32_e64 v17, s[4:5], 0, v17, s[4:5]
	v_mov_b32_e32 v21, 0
	s_and_saveexec_b64 s[6:7], vcc
	s_cbranch_execz .LBB25_393
; %bb.392:
	v_readlane_b32 s4, v219, 10
	v_mul_hi_u32 v19, s4, v83
	v_readlane_b32 s5, v219, 11
	v_add_u32_e32 v19, v83, v19
	v_lshrrev_b32_e32 v19, s5, v19
	v_mul_lo_u32 v19, v19, s60
	v_sub_u32_e32 v19, v83, v19
	v_mad_i64_i32 v[22:23], s[4:5], v19, s66, 0
	v_lshlrev_b64 v[22:23], 1, v[22:23]
	v_add_co_u32_e64 v22, s[4:5], v16, v22
	v_addc_co_u32_e64 v23, s[4:5], v17, v23, s[4:5]
	flat_load_ushort v21, v[22:23]
.LBB25_393:
	s_or_b64 exec, exec, s[6:7]
	s_movk_i32 s4, 0x90
	v_mad_u32_u24 v19, v73, s4, 0
	v_lshl_add_u32 v22, v32, 1, v19
	s_waitcnt vmcnt(0) lgkmcnt(0)
	ds_write_b16 v22, v21 offset:17408
	s_and_saveexec_b64 s[6:7], vcc
	s_cbranch_execz .LBB25_395
; %bb.394:
	v_readlane_b32 s4, v219, 10
	v_mul_hi_u32 v18, s4, v84
	v_readlane_b32 s5, v219, 11
	v_add_u32_e32 v18, v84, v18
	v_lshrrev_b32_e32 v18, s5, v18
	v_mul_lo_u32 v18, v18, s60
	v_sub_u32_e32 v18, v84, v18
	v_mad_i64_i32 v[22:23], s[4:5], v18, s66, 0
	v_lshlrev_b64 v[22:23], 1, v[22:23]
	v_add_co_u32_e64 v22, s[4:5], v16, v22
	v_addc_co_u32_e64 v23, s[4:5], v17, v23, s[4:5]
	flat_load_ushort v18, v[22:23]
.LBB25_395:
	s_or_b64 exec, exec, s[6:7]
	v_add_u32_e32 v19, 0x240, v19
	v_lshl_add_u32 v21, v32, 1, v19
	s_waitcnt vmcnt(0) lgkmcnt(0)
	ds_write_b16 v21, v18 offset:17408
	v_mov_b32_e32 v18, 0
	v_mov_b32_e32 v21, 0
	s_and_saveexec_b64 s[6:7], vcc
	s_cbranch_execz .LBB25_397
; %bb.396:
	v_readlane_b32 s4, v219, 10
	v_mul_hi_u32 v21, s4, v85
	v_readlane_b32 s5, v219, 11
	v_add_u32_e32 v21, v85, v21
	v_lshrrev_b32_e32 v21, s5, v21
	v_mul_lo_u32 v21, v21, s60
	v_sub_u32_e32 v21, v85, v21
	v_mad_i64_i32 v[22:23], s[4:5], v21, s66, 0
	v_lshlrev_b64 v[22:23], 1, v[22:23]
	v_add_co_u32_e64 v22, s[4:5], v16, v22
	v_addc_co_u32_e64 v23, s[4:5], v17, v23, s[4:5]
	flat_load_ushort v21, v[22:23]
.LBB25_397:
	s_or_b64 exec, exec, s[6:7]
	v_add_u32_e32 v19, 0x240, v19
	v_lshl_add_u32 v19, v32, 1, v19
	s_waitcnt vmcnt(0) lgkmcnt(0)
	ds_write_b16 v19, v21 offset:17408
	s_and_saveexec_b64 s[4:5], vcc
	s_cbranch_execz .LBB25_399
; %bb.398:
	v_readlane_b32 s6, v219, 10
	v_mul_hi_u32 v18, s6, v86
	v_readlane_b32 s7, v219, 11
	v_add_u32_e32 v18, v86, v18
	v_lshrrev_b32_e32 v18, s7, v18
	v_mul_lo_u32 v18, v18, s60
	v_sub_u32_e32 v18, v86, v18
	v_mad_i64_i32 v[22:23], s[6:7], v18, s66, 0
	v_lshlrev_b64 v[22:23], 1, v[22:23]
	v_add_co_u32_e32 v16, vcc, v16, v22
	v_addc_co_u32_e32 v17, vcc, v17, v23, vcc
	flat_load_ushort v18, v[16:17]
.LBB25_399:
	s_or_b64 exec, exec, s[4:5]
	s_waitcnt vmcnt(0) lgkmcnt(0)
	ds_write_b16 v19, v18 offset:17984
.LBB25_400:
	s_mul_hi_i32 s5, s14, s62
	s_mul_i32 s4, s14, s62
	v_add_u32_e32 v19, v75, v87
	s_lshl_b64 s[4:5], s[4:5], 2
	v_mul_lo_u32 v28, s62, v19
	s_add_u32 s8, s35, s4
	v_ashrrev_i32_e32 v29, 31, v28
	s_addc_u32 s9, s36, s5
	v_mov_b32_e32 v16, 0
	v_lshlrev_b64 v[22:23], 2, v[28:29]
	buffer_store_dword v16, off, s[0:3], 0
	buffer_store_dword v16, off, s[0:3], 0 offset:4
	buffer_store_dword v16, off, s[0:3], 0 offset:8
	;; [unrolled: 1-line block ×3, first 2 shown]
	v_and_b32_e32 v16, 60, v33
	v_mov_b32_e32 v17, s9
	v_add_co_u32_e32 v18, vcc, s8, v22
	v_lshlrev_b32_e32 v16, 2, v16
	v_addc_co_u32_e32 v17, vcc, v17, v23, vcc
	s_mov_b64 s[4:5], src_private_base
	v_add_co_u32_e32 v18, vcc, v18, v16
	v_addc_co_u32_e32 v17, vcc, 0, v17, vcc
	v_mov_b32_e32 v21, s5
	v_cmp_gt_i32_e64 s[12:13], s18, v19
	v_cndmask_b32_e64 v23, v21, v17, s[12:13]
	v_mov_b32_e32 v17, 0
	v_cndmask_b32_e64 v22, v17, v18, s[12:13]
	flat_load_dwordx4 v[22:25], v[22:23]
	s_lshl_b32 s4, s62, 4
	v_add_u32_e32 v28, s4, v28
	v_ashrrev_i32_e32 v29, 31, v28
	v_lshlrev_b64 v[30:31], 2, v[28:29]
	v_mov_b32_e32 v34, s9
	v_add_co_u32_e32 v29, vcc, s8, v30
	v_addc_co_u32_e32 v30, vcc, v34, v31, vcc
	v_mul_u32_u24_e32 v18, 0x110, v19
	v_add_u32_e32 v27, 16, v19
	v_add_co_u32_e32 v29, vcc, v29, v16
	v_add3_u32 v18, 0, v18, v16
	v_addc_co_u32_e32 v30, vcc, 0, v30, vcc
	v_cmp_gt_i32_e64 s[10:11], s18, v27
	v_cndmask_b32_e64 v31, v21, v30, s[10:11]
	v_cndmask_b32_e64 v30, v17, v29, s[10:11]
	v_add_u32_e32 v28, s4, v28
	v_ashrrev_i32_e32 v29, 31, v28
	v_add_u32_e32 v27, 32, v19
	v_cmp_gt_i32_e64 s[6:7], s18, v27
	v_add_u32_e32 v27, 48, v19
	s_waitcnt vmcnt(0) lgkmcnt(0)
	ds_write_b128 v18, v[22:25]
	flat_load_dwordx4 v[22:25], v[30:31]
	v_lshlrev_b64 v[30:31], 2, v[28:29]
	v_add_co_u32_e32 v29, vcc, s8, v30
	v_addc_co_u32_e32 v30, vcc, v34, v31, vcc
	v_add_co_u32_e32 v29, vcc, v29, v16
	v_addc_co_u32_e32 v30, vcc, 0, v30, vcc
	v_cndmask_b32_e64 v31, v21, v30, s[6:7]
	v_cndmask_b32_e64 v30, v17, v29, s[6:7]
	v_add_u32_e32 v28, s4, v28
	v_ashrrev_i32_e32 v29, 31, v28
	v_lshlrev_b64 v[28:29], 2, v[28:29]
	v_add_co_u32_e32 v28, vcc, s8, v28
	v_cmp_gt_i32_e64 s[4:5], s18, v27
	s_movk_i32 s8, 0x110
	s_waitcnt vmcnt(0) lgkmcnt(0)
	ds_write_b128 v18, v[22:25] offset:4352
	flat_load_dwordx4 v[22:25], v[30:31]
	v_mov_b32_e32 v30, s9
	v_addc_co_u32_e32 v29, vcc, v30, v29, vcc
	v_add_co_u32_e32 v28, vcc, v28, v16
	v_addc_co_u32_e32 v29, vcc, 0, v29, vcc
	v_cndmask_b32_e64 v29, v21, v29, s[4:5]
	v_cndmask_b32_e64 v28, v17, v28, s[4:5]
	v_and_b32_e32 v21, 48, v71
	v_mad_u32_u24 v17, v21, s8, 0
	v_add3_u32 v27, v17, v81, v82
	s_mov_b32 s8, 0x3f200000
	s_waitcnt vmcnt(0) lgkmcnt(0)
	ds_write_b128 v18, v[22:25] offset:8704
	flat_load_dwordx4 v[22:25], v[28:29]
	s_waitcnt vmcnt(0) lgkmcnt(0)
	ds_write_b128 v18, v[22:25] offset:13056
	s_waitcnt lgkmcnt(0)
	s_barrier
	ds_read2_b64 v[22:25], v27 offset1:4
	s_waitcnt lgkmcnt(0)
	v_mfma_f32_16x16x16f16 v[28:31], v[22:23], v[12:13], 0
	v_mfma_f32_16x16x16f16 v[12:15], v[24:25], v[14:15], v[28:31]
	ds_read2_b64 v[22:25], v27 offset0:8 offset1:12
	s_waitcnt lgkmcnt(0)
	v_mfma_f32_16x16x16f16 v[12:15], v[22:23], v[8:9], v[12:15]
	v_mfma_f32_16x16x16f16 v[8:11], v[24:25], v[10:11], v[12:15]
	s_nop 7
	s_nop 1
	ds_read2_b64 v[12:15], v27 offset0:16 offset1:20
	s_waitcnt lgkmcnt(0)
	v_mfma_f32_16x16x16f16 v[8:11], v[12:13], v[4:5], v[8:11]
	v_mfma_f32_16x16x16f16 v[4:7], v[14:15], v[6:7], v[8:11]
	s_nop 7
	s_nop 1
	ds_read2_b64 v[8:11], v27 offset0:24 offset1:28
	s_waitcnt lgkmcnt(0)
	v_mfma_f32_16x16x16f16 v[4:7], v[8:9], v[0:1], v[4:7]
	s_barrier
	v_mfma_f32_16x16x16f16 v[0:3], v[10:11], v[2:3], v[4:7]
                                        ; implicit-def: $vgpr4
	s_nop 7
	s_nop 2
	v_cmp_nlt_f32_e64 s[8:9], |v0|, s8
	s_and_saveexec_b64 s[20:21], s[8:9]
	s_xor_b64 s[8:9], exec, s[20:21]
	s_cbranch_execz .LBB25_402
; %bb.401:
	v_add_f32_e64 v4, |v0|, |v0|
	v_mul_f32_e32 v5, 0x3fb8aa3b, v4
	s_mov_b32 s15, 0x3fb8aa3b
	v_rndne_f32_e32 v6, v5
	v_sub_f32_e32 v7, v5, v6
	v_fma_f32 v5, v4, s15, -v5
	v_fmac_f32_e32 v5, 0x32a5705f, v4
	v_add_f32_e32 v5, v7, v5
	v_exp_f32_e32 v5, v5
	v_cvt_i32_f32_e32 v6, v6
	s_mov_b32 s15, 0xc2ce8ed0
	v_cmp_ngt_f32_e32 vcc, s15, v4
	s_mov_b32 s15, 0x42b17218
	v_ldexp_f32 v5, v5, v6
	v_cndmask_b32_e32 v5, 0, v5, vcc
	v_mov_b32_e32 v6, 0x7f800000
	v_cmp_nlt_f32_e32 vcc, s15, v4
	v_cndmask_b32_e32 v4, v6, v5, vcc
	v_add_f32_e32 v4, 1.0, v4
	v_rcp_f32_e32 v4, v4
	v_fma_f32 v4, v4, -2.0, 1.0
.LBB25_402:
	s_andn2_saveexec_b64 s[8:9], s[8:9]
; %bb.403:
	v_mul_f32_e32 v4, v0, v0
	v_mov_b32_e32 v5, 0x3ca908c9
	v_fmac_f32_e32 v5, 0xbbbac73d, v4
	v_mov_b32_e32 v6, 0xbd5c1c4e
	v_fmac_f32_e32 v6, v4, v5
	;; [unrolled: 2-line block ×4, first 2 shown]
	v_mul_f32_e64 v5, |v0|, v6
	v_fma_f32 v4, v4, v5, |v0|
; %bb.404:
	s_or_b64 exec, exec, s[8:9]
	s_mov_b32 s8, 0x3f200000
	v_cmp_nlt_f32_e64 s[8:9], |v1|, s8
                                        ; implicit-def: $vgpr5
	s_and_saveexec_b64 s[20:21], s[8:9]
	s_xor_b64 s[8:9], exec, s[20:21]
	s_cbranch_execz .LBB25_406
; %bb.405:
	v_add_f32_e64 v5, |v1|, |v1|
	v_mul_f32_e32 v6, 0x3fb8aa3b, v5
	s_mov_b32 s15, 0x3fb8aa3b
	v_rndne_f32_e32 v7, v6
	v_sub_f32_e32 v8, v6, v7
	v_fma_f32 v6, v5, s15, -v6
	v_fmac_f32_e32 v6, 0x32a5705f, v5
	v_add_f32_e32 v6, v8, v6
	v_exp_f32_e32 v6, v6
	v_cvt_i32_f32_e32 v7, v7
	s_mov_b32 s15, 0xc2ce8ed0
	v_cmp_ngt_f32_e32 vcc, s15, v5
	s_mov_b32 s15, 0x42b17218
	v_ldexp_f32 v6, v6, v7
	v_cndmask_b32_e32 v6, 0, v6, vcc
	v_mov_b32_e32 v7, 0x7f800000
	v_cmp_nlt_f32_e32 vcc, s15, v5
	v_cndmask_b32_e32 v5, v7, v6, vcc
	v_add_f32_e32 v5, 1.0, v5
	v_rcp_f32_e32 v5, v5
	v_fma_f32 v5, v5, -2.0, 1.0
.LBB25_406:
	s_andn2_saveexec_b64 s[8:9], s[8:9]
; %bb.407:
	v_mul_f32_e32 v5, v1, v1
	v_mov_b32_e32 v6, 0x3ca908c9
	v_fmac_f32_e32 v6, 0xbbbac73d, v5
	v_mov_b32_e32 v7, 0xbd5c1c4e
	v_fmac_f32_e32 v7, v5, v6
	;; [unrolled: 2-line block ×4, first 2 shown]
	v_mul_f32_e64 v6, |v1|, v7
	v_fma_f32 v5, v5, v6, |v1|
; %bb.408:
	s_or_b64 exec, exec, s[8:9]
	s_mov_b32 s8, 0x3f200000
	v_cmp_nlt_f32_e64 s[8:9], |v2|, s8
                                        ; implicit-def: $vgpr6
	s_and_saveexec_b64 s[20:21], s[8:9]
	s_xor_b64 s[8:9], exec, s[20:21]
	s_cbranch_execz .LBB25_410
; %bb.409:
	v_add_f32_e64 v6, |v2|, |v2|
	v_mul_f32_e32 v7, 0x3fb8aa3b, v6
	s_mov_b32 s15, 0x3fb8aa3b
	v_rndne_f32_e32 v8, v7
	v_sub_f32_e32 v9, v7, v8
	v_fma_f32 v7, v6, s15, -v7
	v_fmac_f32_e32 v7, 0x32a5705f, v6
	v_add_f32_e32 v7, v9, v7
	v_exp_f32_e32 v7, v7
	v_cvt_i32_f32_e32 v8, v8
	s_mov_b32 s15, 0xc2ce8ed0
	v_cmp_ngt_f32_e32 vcc, s15, v6
	s_mov_b32 s15, 0x42b17218
	v_ldexp_f32 v7, v7, v8
	v_cndmask_b32_e32 v7, 0, v7, vcc
	v_mov_b32_e32 v8, 0x7f800000
	v_cmp_nlt_f32_e32 vcc, s15, v6
	v_cndmask_b32_e32 v6, v8, v7, vcc
	v_add_f32_e32 v6, 1.0, v6
	v_rcp_f32_e32 v6, v6
	v_fma_f32 v6, v6, -2.0, 1.0
.LBB25_410:
	s_andn2_saveexec_b64 s[8:9], s[8:9]
; %bb.411:
	v_mul_f32_e32 v6, v2, v2
	v_mov_b32_e32 v7, 0x3ca908c9
	v_fmac_f32_e32 v7, 0xbbbac73d, v6
	v_mov_b32_e32 v8, 0xbd5c1c4e
	v_fmac_f32_e32 v8, v6, v7
	;; [unrolled: 2-line block ×4, first 2 shown]
	v_mul_f32_e64 v7, |v2|, v8
	v_fma_f32 v6, v6, v7, |v2|
; %bb.412:
	s_or_b64 exec, exec, s[8:9]
	s_mov_b32 s8, 0x3f200000
	v_cmp_nlt_f32_e64 s[8:9], |v3|, s8
                                        ; implicit-def: $vgpr7
	s_and_saveexec_b64 s[20:21], s[8:9]
	s_xor_b64 s[8:9], exec, s[20:21]
	s_cbranch_execz .LBB25_414
; %bb.413:
	v_add_f32_e64 v7, |v3|, |v3|
	v_mul_f32_e32 v8, 0x3fb8aa3b, v7
	s_mov_b32 s15, 0x3fb8aa3b
	v_rndne_f32_e32 v9, v8
	v_sub_f32_e32 v10, v8, v9
	v_fma_f32 v8, v7, s15, -v8
	v_fmac_f32_e32 v8, 0x32a5705f, v7
	v_add_f32_e32 v8, v10, v8
	v_exp_f32_e32 v8, v8
	v_cvt_i32_f32_e32 v9, v9
	s_mov_b32 s15, 0xc2ce8ed0
	v_cmp_ngt_f32_e32 vcc, s15, v7
	s_mov_b32 s15, 0x42b17218
	v_ldexp_f32 v8, v8, v9
	v_cndmask_b32_e32 v8, 0, v8, vcc
	v_mov_b32_e32 v9, 0x7f800000
	v_cmp_nlt_f32_e32 vcc, s15, v7
	v_cndmask_b32_e32 v7, v9, v8, vcc
	v_add_f32_e32 v7, 1.0, v7
	v_rcp_f32_e32 v7, v7
	v_fma_f32 v7, v7, -2.0, 1.0
.LBB25_414:
	s_andn2_saveexec_b64 s[8:9], s[8:9]
; %bb.415:
	v_mul_f32_e32 v7, v3, v3
	v_mov_b32_e32 v8, 0x3ca908c9
	v_fmac_f32_e32 v8, 0xbbbac73d, v7
	v_mov_b32_e32 v9, 0xbd5c1c4e
	v_fmac_f32_e32 v9, v7, v8
	;; [unrolled: 2-line block ×4, first 2 shown]
	v_mul_f32_e64 v8, |v3|, v9
	v_fma_f32 v7, v7, v8, |v3|
; %bb.416:
	s_or_b64 exec, exec, s[8:9]
	s_brev_b32 s8, -2
	v_bfi_b32 v0, s8, v4, v0
	v_mul_f32_e32 v4, s73, v0
	v_bfi_b32 v0, s8, v5, v1
	v_mul_f32_e32 v5, s73, v0
	;; [unrolled: 2-line block ×4, first 2 shown]
	s_and_b64 vcc, exec, s[16:17]
	s_cbranch_vccz .LBB25_418
; %bb.417:
	v_lshrrev_b32_e32 v12, 2, v32
	v_and_b32_e32 v11, 0xfc, v12
	v_add_u16_e32 v1, v21, v11
	s_movk_i32 s8, 0x90
	v_lshrrev_b16_e32 v1, 1, v1
	v_mad_u32_u24 v0, v80, s8, 0
	v_lshlrev_b32_e32 v1, 2, v1
	s_movk_i32 s8, 0x4400
	v_add3_u32 v0, v0, v1, s8
	ds_read2_b32 v[0:1], v0 offset1:1
	v_add_u32_e32 v10, v21, v11
	s_mov_b64 s[8:9], 0
	s_waitcnt lgkmcnt(0)
	v_cvt_f32_f16_e32 v8, v0
	v_cvt_f32_f16_e32 v2, v1
	v_cvt_f32_f16_sdwa v3, v1 dst_sel:DWORD dst_unused:UNUSED_PAD src0_sel:WORD_1
	v_cvt_f32_f16_sdwa v9, v0 dst_sel:DWORD dst_unused:UNUSED_PAD src0_sel:WORD_1
	v_pk_fma_f32 v[2:3], v[26:27], v[2:3], v[6:7] op_sel_hi:[0,1,1]
	v_pk_fma_f32 v[0:1], v[26:27], v[8:9], v[4:5] op_sel_hi:[0,1,1]
	s_branch .LBB25_419
.LBB25_418:
	s_mov_b64 s[8:9], -1
                                        ; implicit-def: $vgpr0_vgpr1_vgpr2_vgpr3
                                        ; implicit-def: $vgpr12
                                        ; implicit-def: $vgpr11
                                        ; implicit-def: $vgpr10
.LBB25_419:
	v_add_u32_e32 v13, 0x1100, v18
	v_add_u32_e32 v9, 0x2200, v18
	s_andn2_b64 vcc, exec, s[8:9]
	v_add_u32_e32 v8, 0x3300, v18
	s_cbranch_vccnz .LBB25_421
; %bb.420:
	v_and_b32_e32 v11, 0xfc, v79
	v_pk_mov_b32 v[0:1], v[4:5], v[4:5] op_sel:[0,1]
	v_add_u32_e32 v10, v21, v11
	v_mov_b32_e32 v12, v79
	v_pk_mov_b32 v[2:3], v[6:7], v[6:7] op_sel:[0,1]
.LBB25_421:
	s_mul_hi_i32 s9, s14, s42
	s_mul_i32 s8, s14, s42
	s_lshl_b64 s[8:9], s[8:9], 2
	v_mul_lo_u32 v14, s42, v19
	s_add_u32 s14, s33, s8
	v_mov_b32_e32 v4, 0
	v_ashrrev_i32_e32 v15, 31, v14
	s_addc_u32 s15, s34, s9
	buffer_store_dword v4, off, s[0:3], 0
	buffer_store_dword v4, off, s[0:3], 0 offset:4
	buffer_store_dword v4, off, s[0:3], 0 offset:8
	;; [unrolled: 1-line block ×3, first 2 shown]
	v_lshlrev_b64 v[4:5], 2, v[14:15]
	v_mov_b32_e32 v6, s15
	v_add_co_u32_e32 v4, vcc, s14, v4
	v_addc_co_u32_e32 v5, vcc, v6, v5, vcc
	s_mov_b64 s[8:9], src_private_base
	v_add_co_u32_e32 v4, vcc, v4, v16
	v_addc_co_u32_e32 v5, vcc, 0, v5, vcc
	v_mov_b32_e32 v21, s9
	v_mov_b32_e32 v24, 0
	v_cndmask_b32_e64 v5, v21, v5, s[12:13]
	v_cndmask_b32_e64 v4, v24, v4, s[12:13]
	flat_load_dwordx4 v[4:7], v[4:5]
	s_lshl_b32 s17, s42, 4
	v_add_u32_e32 v14, s17, v14
	v_ashrrev_i32_e32 v15, 31, v14
	v_lshlrev_b64 v[22:23], 2, v[14:15]
	v_mov_b32_e32 v19, s15
	v_add_co_u32_e32 v15, vcc, s14, v22
	v_addc_co_u32_e32 v19, vcc, v19, v23, vcc
	v_add_co_u32_e32 v15, vcc, v15, v16
	v_addc_co_u32_e32 v19, vcc, 0, v19, vcc
	v_cndmask_b32_e64 v23, v21, v19, s[10:11]
	v_cndmask_b32_e64 v22, v24, v15, s[10:11]
	v_add_u32_e32 v14, s17, v14
	v_ashrrev_i32_e32 v15, 31, v14
	v_mul_u32_u24_e32 v34, 0x88, v11
	v_mul_u32_u24_e32 v35, 0x110, v11
	v_or_b32_e32 v37, 3, v12
	v_mov_b32_e32 v11, s15
	v_mbcnt_hi_u32_b32 v31, -1, v62
	v_add_u32_e32 v25, 1, v10
	v_add_u32_e32 v27, 2, v10
	v_add_u32_e32 v29, 3, v10
	v_add_f32_e32 v26, 0x40051340, v1
	v_cmp_gt_u32_e64 s[12:13], s18, v25
	v_add_f32_e32 v28, 0x40051340, v2
	v_add_f32_e32 v30, 0x40051340, v3
	s_mov_b32 s10, 0
	v_lshlrev_b32_e32 v38, 1, v56
	v_add3_u32 v39, v17, v35, v38
	s_mov_b32 s19, 0x3fb8aa3b
	s_mov_b32 s20, 0xc2ce8ed0
	;; [unrolled: 1-line block ×3, first 2 shown]
	v_mov_b32_e32 v36, 0x7f800000
	s_mov_b32 s9, 0xc1a00000
	s_mov_b32 s8, 0x5040100
	s_waitcnt vmcnt(0) lgkmcnt(0)
	ds_write_b128 v18, v[4:7]
	flat_load_dwordx4 v[4:7], v[22:23]
	v_lshlrev_b64 v[18:19], 2, v[14:15]
	v_add_co_u32_e32 v12, vcc, s14, v18
	v_addc_co_u32_e32 v11, vcc, v11, v19, vcc
	v_add_co_u32_e32 v12, vcc, v12, v16
	v_addc_co_u32_e32 v11, vcc, 0, v11, vcc
	v_cndmask_b32_e64 v19, v21, v11, s[6:7]
	v_cndmask_b32_e64 v18, v24, v12, s[6:7]
	v_add_f32_e32 v22, 0x40051340, v0
	v_max_f32_e32 v23, v20, v20
	v_max_f32_e32 v15, v23, v22
	v_cmp_gt_u32_e64 s[6:7], s18, v10
	v_cndmask_b32_e64 v10, v20, v15, s[6:7]
	v_xor_b32_e32 v22, 16, v31
	v_or_b32_e32 v23, v34, v56
	v_mul_i32_i24_e32 v34, 0x110, v37
	v_mov_b32_e32 v11, s10
	v_mov_b32_e32 v12, s10
	s_waitcnt vmcnt(0) lgkmcnt(0)
	ds_write_b128 v13, v[4:7]
	flat_load_dwordx4 v[4:7], v[18:19]
	v_and_b32_e32 v18, 64, v31
	v_xor_b32_e32 v19, 32, v31
	v_add_u32_e32 v15, 64, v18
	v_cmp_lt_i32_e32 vcc, v19, v15
	v_lshl_add_u32 v18, v23, 1, v17
	v_max_f32_e32 v23, v10, v10
	v_cndmask_b32_e32 v19, v31, v19, vcc
	v_cmp_lt_i32_e32 vcc, v22, v15
	v_cndmask_b32_e32 v15, v31, v22, vcc
	v_max_f32_e32 v22, v23, v26
	v_cndmask_b32_e64 v10, v10, v22, s[12:13]
	v_lshlrev_b32_e32 v37, 2, v19
	v_cndmask_b32_e64 v19, v3, v3, s[12:13]
	v_max_f32_e32 v3, v10, v10
	v_mov_b32_e32 v13, s10
	v_cndmask_b32_e64 v22, v2, v2, s[12:13]
	v_add_u32_e32 v2, s17, v14
	v_max_f32_e32 v14, v3, v28
	v_cmp_gt_u32_e64 s[10:11], s18, v27
	v_cndmask_b32_e64 v10, v10, v14, s[10:11]
	v_max_f32_e32 v14, v10, v10
	v_max_f32_e32 v14, v14, v30
	v_cmp_gt_u32_e32 vcc, s18, v29
	v_cndmask_b32_e32 v10, v10, v14, vcc
	ds_bpermute_b32 v14, v37, v10
	v_max_f32_e32 v10, v10, v10
	v_lshlrev_b32_e32 v35, 2, v15
	v_ashrrev_i32_e32 v3, 31, v2
	v_lshlrev_b64 v[2:3], 2, v[2:3]
	s_waitcnt lgkmcnt(0)
	v_max_f32_e32 v14, v14, v14
	v_max_f32_e32 v10, v10, v14
	ds_bpermute_b32 v14, v35, v10
	v_mov_b32_e32 v15, s15
	v_add_co_u32_e64 v2, s[14:15], s14, v2
	v_add3_u32 v17, v17, v34, v38
	s_waitcnt lgkmcnt(0)
	v_max_f32_e32 v14, v14, v14
	v_addc_co_u32_e64 v3, s[14:15], v15, v3, s[14:15]
	v_max_f32_e32 v34, v10, v14
	v_add_co_u32_e64 v2, s[14:15], v2, v16
	v_sub_f32_e32 v10, v0, v34
	v_addc_co_u32_e64 v3, s[14:15], 0, v3, s[14:15]
	v_mul_f32_e32 v0, 0x3fb8aa3b, v10
	v_cndmask_b32_e64 v3, v21, v3, s[4:5]
	v_cndmask_b32_e64 v2, v24, v2, s[4:5]
	v_sub_f32_e32 v14, v1, v34
	v_rndne_f32_e32 v1, v0
	v_fma_f32 v24, v10, s19, -v0
	v_sub_f32_e32 v40, v0, v1
	v_cvt_i32_f32_e32 v41, v1
	v_sub_f32_e32 v15, v22, v34
	v_sub_f32_e32 v16, v19, v34
	v_sub_f32_e32 v19, v20, v34
	v_mul_f32_e32 v20, 0x3fb8aa3b, v14
	v_mul_f32_e32 v21, 0x3fb8aa3b, v15
	;; [unrolled: 1-line block ×4, first 2 shown]
	v_fma_f32 v25, v14, s19, -v20
	v_rndne_f32_e32 v26, v20
	v_fma_f32 v27, v15, s19, -v21
	v_rndne_f32_e32 v28, v21
	;; [unrolled: 2-line block ×3, first 2 shown]
	v_rndne_f32_e32 v38, v23
	v_fmac_f32_e32 v24, 0x32a5705f, v10
	v_fma_f32 v31, v19, s19, -v23
	v_fmac_f32_e32 v25, 0x32a5705f, v14
	v_fmac_f32_e32 v27, 0x32a5705f, v15
	;; [unrolled: 1-line block ×4, first 2 shown]
	v_cmp_ngt_f32_e64 s[4:5], s20, v10
	s_waitcnt vmcnt(0)
	ds_write_b128 v9, v[4:7]
	flat_load_dwordx4 v[0:3], v[2:3]
	v_sub_f32_e32 v4, v20, v26
	v_sub_f32_e32 v6, v21, v28
	;; [unrolled: 1-line block ×4, first 2 shown]
	v_add_f32_e32 v23, v40, v24
	v_add_f32_e32 v4, v4, v25
	;; [unrolled: 1-line block ×4, first 2 shown]
	v_exp_f32_e32 v23, v23
	v_cvt_i32_f32_e32 v5, v26
	v_cvt_i32_f32_e32 v7, v28
	;; [unrolled: 1-line block ×3, first 2 shown]
	v_exp_f32_e32 v4, v4
	v_exp_f32_e32 v6, v6
	;; [unrolled: 1-line block ×3, first 2 shown]
	v_add_f32_e32 v21, v21, v31
	v_cvt_i32_f32_e32 v22, v38
	v_exp_f32_e32 v21, v21
	v_ldexp_f32 v23, v23, v41
	v_ldexp_f32 v4, v4, v5
	;; [unrolled: 1-line block ×4, first 2 shown]
	v_cndmask_b32_e64 v9, 0, v23, s[4:5]
	v_cmp_ngt_f32_e64 s[4:5], s20, v14
	v_cndmask_b32_e64 v4, 0, v4, s[4:5]
	v_cmp_ngt_f32_e64 s[4:5], s20, v15
	;; [unrolled: 2-line block ×3, first 2 shown]
	v_ldexp_f32 v7, v21, v22
	v_cndmask_b32_e64 v6, 0, v6, s[4:5]
	v_cmp_ngt_f32_e64 s[4:5], s20, v19
	v_cndmask_b32_e64 v7, 0, v7, s[4:5]
	v_cmp_nlt_f32_e64 s[4:5], s16, v10
	v_cndmask_b32_e64 v9, v36, v9, s[4:5]
	v_cmp_nlt_f32_e64 s[4:5], s16, v14
	;; [unrolled: 2-line block ×5, first 2 shown]
	v_cndmask_b32_e64 v7, v36, v7, s[4:5]
	v_cmp_le_f32_e64 s[4:5], s9, v19
	v_cndmask_b32_e64 v36, 0, v7, s[4:5]
	v_cvt_f16_f32_e32 v24, v36
	v_cndmask_b32_e64 v4, 0, v9, s[6:7]
	v_add_f32_e32 v7, v10, v4
	v_cndmask_b32_e64 v9, v11, v10, s[12:13]
	v_cvt_f16_f32_e32 v10, v4
	v_cndmask_b32_e64 v4, v4, v7, s[12:13]
	v_cndmask_b32_e64 v11, v12, v5, s[10:11]
	v_cndmask_b32_e32 v12, v13, v6, vcc
	v_add_f32_e32 v5, v4, v5
	v_pk_mul_f16 v7, v24, v63 op_sel_hi:[0,1]
	v_pk_mul_f16 v20, v24, v68 op_sel_hi:[0,1]
	;; [unrolled: 1-line block ×6, first 2 shown]
	v_cvt_f16_f32_e32 v9, v9
	v_cvt_f16_f32_e32 v11, v11
	;; [unrolled: 1-line block ×3, first 2 shown]
	v_cndmask_b32_e64 v28, v4, v5, s[10:11]
	v_pk_mul_f16 v5, v24, v78 op_sel_hi:[0,1]
	v_add_f32_e32 v29, v28, v6
	v_cvt_f32_f16_e32 v4, v5
	v_cvt_f32_f16_sdwa v5, v5 dst_sel:DWORD dst_unused:UNUSED_PAD src0_sel:WORD_1
	v_cvt_f32_f16_e32 v6, v7
	v_cvt_f32_f16_sdwa v7, v7 dst_sel:DWORD dst_unused:UNUSED_PAD src0_sel:WORD_1
	v_pack_b32_f16 v42, v10, v9
	v_pack_b32_f16 v43, v11, v12
	v_pk_mul_f16 v13, v24, v76 op_sel_hi:[0,1]
	v_pk_mul_f16 v14, v24, v74 op_sel_hi:[0,1]
	v_cvt_f32_f16_sdwa v9, v13 dst_sel:DWORD dst_unused:UNUSED_PAD src0_sel:WORD_1
	v_cvt_f32_f16_e32 v10, v14
	v_cvt_f32_f16_sdwa v11, v14 dst_sel:DWORD dst_unused:UNUSED_PAD src0_sel:WORD_1
	v_pk_mul_f16 v15, v24, v72 op_sel_hi:[0,1]
	v_pk_mul_f16 v16, v24, v70 op_sel_hi:[0,1]
	v_cvt_f32_f16_e32 v12, v15
	s_waitcnt vmcnt(0) lgkmcnt(0)
	ds_write_b128 v8, v[0:3]
	s_waitcnt lgkmcnt(0)
	s_barrier
	ds_read_u16 v0, v18
	ds_read_u16 v22, v18 offset:32
	ds_read_u16 v26, v18 offset:64
	;; [unrolled: 1-line block ×23, first 2 shown]
	ds_read_u16 v3, v17
	ds_read_u16 v39, v17 offset:32
	ds_read_u16 v63, v17 offset:64
	;; [unrolled: 1-line block ×7, first 2 shown]
	s_waitcnt lgkmcnt(7)
	v_perm_b32 v1, v3, v1, s8
	v_perm_b32 v0, v2, v0, s8
	v_cvt_f32_f16_e32 v8, v13
	v_cvt_f32_f16_sdwa v13, v15 dst_sel:DWORD dst_unused:UNUSED_PAD src0_sel:WORD_1
	v_mfma_f32_16x16x16f16 v[0:3], v[0:1], v[42:43], v[4:7]
	v_cvt_f32_f16_e32 v14, v16
	v_cvt_f32_f16_sdwa v15, v16 dst_sel:DWORD dst_unused:UNUSED_PAD src0_sel:WORD_1
	v_pk_mul_f16 v19, v24, v69 op_sel_hi:[0,1]
	s_waitcnt lgkmcnt(6)
	s_nop 2
	v_perm_b32 v5, v39, v50, s8
	v_perm_b32 v4, v18, v22, s8
	v_cvt_f32_f16_e32 v16, v19
	v_cvt_f32_f16_sdwa v17, v19 dst_sel:DWORD dst_unused:UNUSED_PAD src0_sel:WORD_1
	v_mfma_f32_16x16x16f16 v[4:7], v[4:5], v[42:43], v[8:11]
	v_cvt_f32_f16_e32 v18, v20
	v_cvt_f32_f16_sdwa v19, v20 dst_sel:DWORD dst_unused:UNUSED_PAD src0_sel:WORD_1
	v_cvt_f32_f16_e32 v20, v21
	s_waitcnt lgkmcnt(5)
	s_nop 2
	v_perm_b32 v9, v63, v51, s8
	v_perm_b32 v8, v41, v26, s8
	v_cvt_f32_f16_sdwa v21, v21 dst_sel:DWORD dst_unused:UNUSED_PAD src0_sel:WORD_1
	v_cvt_f32_f16_e32 v22, v23
	v_mfma_f32_16x16x16f16 v[8:11], v[8:9], v[42:43], v[12:15]
	v_cvt_f32_f16_sdwa v23, v23 dst_sel:DWORD dst_unused:UNUSED_PAD src0_sel:WORD_1
	v_pk_mul_f16 v39, v24, v61 op_sel_hi:[0,1]
	v_pk_mul_f16 v41, v24, v60 op_sel_hi:[0,1]
	s_waitcnt lgkmcnt(4)
	s_nop 2
	v_perm_b32 v13, v64, v52, s8
	v_perm_b32 v12, v45, v30, s8
	v_pk_mul_f16 v45, v24, v59 op_sel_hi:[0,1]
	v_cvt_f32_f16_e32 v26, v27
	v_mfma_f32_16x16x16f16 v[12:15], v[12:13], v[42:43], v[16:19]
	v_cvt_f32_f16_sdwa v27, v27 dst_sel:DWORD dst_unused:UNUSED_PAD src0_sel:WORD_1
	v_cvt_f32_f16_e32 v30, v41
	v_cmp_gt_u32_e64 s[4:5], 16, v32
	s_waitcnt lgkmcnt(3)
	s_nop 2
	v_perm_b32 v17, v65, v53, s8
	v_perm_b32 v16, v46, v31, s8
	v_pk_mul_f16 v46, v24, v58 op_sel_hi:[0,1]
	v_cvt_f32_f16_e32 v24, v25
	v_mfma_f32_16x16x16f16 v[16:19], v[16:17], v[42:43], v[20:23]
	v_cvt_f32_f16_sdwa v25, v25 dst_sel:DWORD dst_unused:UNUSED_PAD src0_sel:WORD_1
	v_cvt_f32_f16_sdwa v31, v41 dst_sel:DWORD dst_unused:UNUSED_PAD src0_sel:WORD_1
	;; [unrolled: 1-line block ×3, first 2 shown]
	s_waitcnt lgkmcnt(2)
	s_nop 2
	v_perm_b32 v21, v66, v54, s8
	v_perm_b32 v20, v47, v38, s8
	v_cndmask_b32_e32 v47, v28, v29, vcc
	v_cvt_f32_f16_e32 v28, v39
	v_mfma_f32_16x16x16f16 v[20:23], v[20:21], v[42:43], v[24:27]
	v_cvt_f32_f16_sdwa v29, v39 dst_sel:DWORD dst_unused:UNUSED_PAD src0_sel:WORD_1
	v_cvt_f32_f16_e32 v38, v45
	v_cvt_f32_f16_sdwa v39, v45 dst_sel:DWORD dst_unused:UNUSED_PAD src0_sel:WORD_1
	s_waitcnt lgkmcnt(1)
	s_nop 2
	v_perm_b32 v25, v67, v55, s8
	v_perm_b32 v24, v48, v40, s8
	v_cvt_f32_f16_e32 v40, v46
	v_fmac_f32_e32 v47, v89, v36
	v_mfma_f32_16x16x16f16 v[24:27], v[24:25], v[42:43], v[28:31]
	ds_bpermute_b32 v36, v37, v47
	s_waitcnt lgkmcnt(0)
	s_barrier
	s_nop 3
	v_perm_b32 v31, v68, v62, s8
	v_perm_b32 v30, v49, v44, s8
	v_add_f32_e32 v36, v47, v36
	s_movk_i32 s8, 0x110
	v_mfma_f32_16x16x16f16 v[28:31], v[30:31], v[42:43], v[38:41]
	s_nop 6
	ds_bpermute_b32 v38, v35, v36
	s_and_saveexec_b64 s[6:7], s[4:5]
	s_cbranch_execz .LBB25_423
; %bb.422:
	s_waitcnt lgkmcnt(0)
	v_add_f32_e32 v36, v36, v38
	v_or_b32_e32 v38, v71, v32
	v_mad_u32_u24 v38, v38, s8, 0
	ds_write2_b32 v38, v34, v36 offset0:64 offset1:65
.LBB25_423:
	s_or_b64 exec, exec, s[6:7]
	v_cmp_eq_u32_e32 vcc, 0, v77
	v_cmp_ne_u32_e64 s[6:7], 0, v77
	s_waitcnt lgkmcnt(0)
	s_barrier
	s_and_saveexec_b64 s[8:9], s[6:7]
	s_xor_b64 s[6:7], exec, s[8:9]
	s_cbranch_execz .LBB25_425
; %bb.424:
	s_barrier
	s_waitcnt lgkmcnt(0)
                                        ; implicit-def: $vgpr37
                                        ; implicit-def: $vgpr35
                                        ; implicit-def: $vgpr75
.LBB25_425:
	s_andn2_saveexec_b64 s[8:9], s[6:7]
	s_cbranch_execz .LBB25_429
; %bb.426:
	v_add_u32_e32 v34, v71, v32
	s_movk_i32 s6, 0x110
	v_mad_u32_u24 v40, v34, s6, 0
	ds_read_b64 v[38:39], v40 offset:256
	s_mov_b32 s6, 0x3fb8aa3b
	s_mov_b32 s10, 0x42b17218
	;; [unrolled: 1-line block ×3, first 2 shown]
	s_waitcnt lgkmcnt(0)
	ds_bpermute_b32 v34, v37, v38
	v_max_f32_e32 v36, v38, v38
	s_barrier
	s_waitcnt lgkmcnt(0)
	v_max_f32_e32 v34, v34, v34
	v_max_f32_e32 v34, v36, v34
	ds_bpermute_b32 v36, v35, v34
	s_waitcnt lgkmcnt(0)
	v_max_f32_e32 v36, v36, v36
	v_max_f32_e32 v34, v34, v36
	v_sub_f32_e32 v36, v38, v34
	v_mul_f32_e32 v38, 0x3fb8aa3b, v36
	v_fma_f32 v41, v36, s6, -v38
	v_rndne_f32_e32 v42, v38
	v_fmac_f32_e32 v41, 0x32a5705f, v36
	v_sub_f32_e32 v38, v38, v42
	v_add_f32_e32 v38, v38, v41
	v_cvt_i32_f32_e32 v42, v42
	v_exp_f32_e32 v38, v38
	s_mov_b32 s6, 0xc2ce8ed0
	v_cmp_ngt_f32_e64 s[6:7], s6, v36
	v_mov_b32_e32 v41, 0x7f800000
	v_ldexp_f32 v38, v38, v42
	v_cndmask_b32_e64 v38, 0, v38, s[6:7]
	v_cmp_nlt_f32_e64 s[6:7], s10, v36
	v_cndmask_b32_e64 v36, v41, v38, s[6:7]
	v_mul_f32_e32 v38, v39, v36
	ds_bpermute_b32 v37, v37, v38
	s_waitcnt lgkmcnt(0)
	v_fmac_f32_e32 v37, v39, v36
	ds_bpermute_b32 v35, v35, v37
	s_waitcnt lgkmcnt(0)
	v_add_f32_e32 v37, v37, v35
	ds_write_b64 v40, v[36:37] offset:256
	s_and_saveexec_b64 s[6:7], s[4:5]
	s_cbranch_execz .LBB25_428
; %bb.427:
	s_add_i32 s4, s65, s64
	s_lshl_b32 s10, s4, 4
	s_lshl_b64 s[4:5], s[10:11], 3
	s_add_u32 s4, s58, s4
	v_or_b32_e32 v35, v75, v32
	s_addc_u32 s5, s59, s5
	v_lshlrev_b32_e32 v36, 3, v35
	v_mov_b32_e32 v35, v37
	global_store_dwordx2 v36, v[34:35], s[4:5]
.LBB25_428:
	s_or_b64 exec, exec, s[6:7]
.LBB25_429:
	s_or_b64 exec, exec, s[8:9]
	v_cvt_f16_f32_e32 v0, v0
	v_cvt_f16_f32_e32 v1, v1
	v_cvt_f16_f32_e32 v2, v2
	v_cvt_f16_f32_e32 v3, v3
	v_cvt_f16_f32_e32 v4, v4
	v_cvt_f16_f32_e32 v6, v6
	v_cvt_f16_f32_e32 v7, v7
	v_cvt_f16_f32_e32 v5, v5
	v_pack_b32_f16 v2, v2, v3
	v_pack_b32_f16 v0, v0, v1
	v_pack_b32_f16 v1, v6, v7
	v_pack_b32_f16 v3, v4, v5
	v_cvt_f16_f32_e32 v4, v8
	v_cvt_f16_f32_e32 v5, v9
	v_cvt_f16_f32_e32 v6, v10
	v_cvt_f16_f32_e32 v7, v11
	v_cvt_f16_f32_e32 v8, v12
	v_cvt_f16_f32_e32 v9, v14
	v_cvt_f16_f32_e32 v10, v15
	v_cvt_f16_f32_e32 v11, v13
	v_pack_b32_f16 v6, v6, v7
	v_pack_b32_f16 v4, v4, v5
	v_pack_b32_f16 v5, v9, v10
	v_pack_b32_f16 v7, v8, v11
	;; [unrolled: 12-line block ×3, first 2 shown]
	v_cvt_f16_f32_e32 v14, v26
	v_cvt_f16_f32_e32 v15, v27
	;; [unrolled: 1-line block ×8, first 2 shown]
	v_pack_b32_f16 v14, v14, v15
	v_pack_b32_f16 v15, v16, v19
	v_or_b32_e32 v16, v71, v56
	s_movk_i32 s4, 0x44
	v_mad_u32_u24 v16, v16, s4, v57
	s_mov_b32 s7, 0
	v_lshl_add_u32 v16, v16, 2, 0
	v_pack_b32_f16 v12, v12, v13
	v_pack_b32_f16 v13, v17, v18
	ds_write2_b32 v16, v0, v2 offset1:1
	ds_write2_b32 v16, v3, v1 offset0:8 offset1:9
	ds_write2_b32 v16, v4, v6 offset0:16 offset1:17
	;; [unrolled: 1-line block ×7, first 2 shown]
	s_waitcnt lgkmcnt(0)
	s_barrier
	s_and_saveexec_b64 s[4:5], vcc
	s_cbranch_execz .LBB25_431
; %bb.430:
	s_lshl_b32 s6, s65, 5
	s_lshl_b64 s[8:9], s[6:7], 3
	s_add_u32 s8, s58, s8
	s_addc_u32 s9, s59, s9
	s_lshl_b32 s6, s64, 10
	s_lshl_b64 s[6:7], s[6:7], 3
	s_add_u32 s6, s8, s6
	v_bfe_u32 v1, v73, 2, 4
	s_movk_i32 s8, 0x3c0
	v_and_or_b32 v1, v73, s8, v1
	s_movk_i32 s8, 0x110
	v_mad_u32_u24 v1, v1, s8, 0
	v_add_u32_e32 v8, v1, v33
	ds_read2st64_b32 v[2:3], v8 offset1:17
	ds_read2st64_b32 v[4:5], v1 offset0:1 offset1:18
	ds_read2st64_b32 v[6:7], v1 offset0:35 offset1:52
	;; [unrolled: 1-line block ×3, first 2 shown]
	v_lshrrev_b32_e32 v0, 2, v73
	s_waitcnt lgkmcnt(3)
	v_cvt_f32_f16_e32 v10, v2
	v_cvt_f32_f16_sdwa v11, v2 dst_sel:DWORD dst_unused:UNUSED_PAD src0_sel:WORD_1
	v_cvt_f32_f16_e32 v2, v3
	v_cvt_f32_f16_sdwa v3, v3 dst_sel:DWORD dst_unused:UNUSED_PAD src0_sel:WORD_1
	s_waitcnt lgkmcnt(0)
	v_cvt_f32_f16_e32 v12, v8
	v_cvt_f32_f16_sdwa v13, v8 dst_sel:DWORD dst_unused:UNUSED_PAD src0_sel:WORD_1
	v_pk_fma_f32 v[10:11], v[4:5], v[10:11], 0 op_sel_hi:[0,1,0]
	v_mov_b32_e32 v4, v5
	v_pk_fma_f32 v[2:3], v[4:5], v[2:3], v[10:11] op_sel_hi:[0,1,1]
	v_pk_fma_f32 v[2:3], v[6:7], v[12:13], v[2:3] op_sel_hi:[0,1,1]
	v_mov_b32_e32 v6, v7
	v_add_u32_e32 v7, 1, v0
	s_addc_u32 s7, s9, s7
	v_cvt_f32_f16_e32 v4, v9
	v_cvt_f32_f16_sdwa v5, v9 dst_sel:DWORD dst_unused:UNUSED_PAD src0_sel:WORD_1
	v_lshlrev_b32_e32 v8, 2, v7
	v_and_b32_e32 v9, 15, v7
	s_movk_i32 s9, 0x7c0
	v_and_or_b32 v8, v8, s9, v9
	v_mad_u32_u24 v10, v8, s8, 0
	v_add_u32_e32 v11, v10, v33
	v_add_lshl_u32 v1, v71, v32, 3
	ds_read2st64_b32 v[8:9], v11 offset1:17
	v_pk_fma_f32 v[2:3], v[6:7], v[4:5], v[2:3] op_sel_hi:[0,1,1]
	global_store_dwordx2 v1, v[2:3], s[6:7]
	v_lshlrev_b32_e32 v1, 6, v7
	ds_read2st64_b32 v[2:3], v10 offset0:1 offset1:18
	ds_read2st64_b32 v[6:7], v10 offset0:35 offset1:52
	ds_read2st64_b32 v[10:11], v11 offset0:34 offset1:51
	s_waitcnt lgkmcnt(3)
	v_cvt_f32_f16_e32 v4, v8
	v_cvt_f32_f16_sdwa v5, v8 dst_sel:DWORD dst_unused:UNUSED_PAD src0_sel:WORD_1
	v_cvt_f32_f16_e32 v8, v9
	v_cvt_f32_f16_sdwa v9, v9 dst_sel:DWORD dst_unused:UNUSED_PAD src0_sel:WORD_1
	s_waitcnt lgkmcnt(0)
	v_cvt_f32_f16_e32 v12, v10
	v_cvt_f32_f16_sdwa v13, v10 dst_sel:DWORD dst_unused:UNUSED_PAD src0_sel:WORD_1
	v_cvt_f32_f16_e32 v10, v11
	v_cvt_f32_f16_sdwa v11, v11 dst_sel:DWORD dst_unused:UNUSED_PAD src0_sel:WORD_1
	v_pk_fma_f32 v[4:5], v[2:3], v[4:5], 0 op_sel_hi:[0,1,0]
	v_mov_b32_e32 v2, v3
	v_pk_fma_f32 v[2:3], v[2:3], v[8:9], v[4:5] op_sel_hi:[0,1,1]
	v_pk_fma_f32 v[2:3], v[6:7], v[12:13], v[2:3] op_sel_hi:[0,1,1]
	v_mov_b32_e32 v4, v7
	v_add_lshl_u32 v1, v1, v32, 3
	v_pk_fma_f32 v[2:3], v[4:5], v[10:11], v[2:3] op_sel_hi:[0,1,1]
	global_store_dwordx2 v1, v[2:3], s[6:7]
	v_add_u32_e32 v1, 2, v0
	v_lshlrev_b32_e32 v2, 2, v1
	v_and_b32_e32 v3, 15, v1
	v_and_or_b32 v2, v2, s9, v3
	v_mad_u32_u24 v6, v2, s8, 0
	v_add_u32_e32 v8, v6, v33
	ds_read2st64_b32 v[2:3], v8 offset1:17
	ds_read2st64_b32 v[4:5], v6 offset0:1 offset1:18
	ds_read2st64_b32 v[6:7], v6 offset0:35 offset1:52
	ds_read2st64_b32 v[8:9], v8 offset0:34 offset1:51
	v_lshlrev_b32_e32 v1, 6, v1
	s_waitcnt lgkmcnt(3)
	v_cvt_f32_f16_e32 v10, v2
	v_cvt_f32_f16_sdwa v11, v2 dst_sel:DWORD dst_unused:UNUSED_PAD src0_sel:WORD_1
	v_cvt_f32_f16_e32 v2, v3
	v_cvt_f32_f16_sdwa v3, v3 dst_sel:DWORD dst_unused:UNUSED_PAD src0_sel:WORD_1
	s_waitcnt lgkmcnt(0)
	v_cvt_f32_f16_e32 v12, v8
	v_cvt_f32_f16_sdwa v13, v8 dst_sel:DWORD dst_unused:UNUSED_PAD src0_sel:WORD_1
	v_pk_fma_f32 v[10:11], v[4:5], v[10:11], 0 op_sel_hi:[0,1,0]
	v_mov_b32_e32 v4, v5
	v_pk_fma_f32 v[2:3], v[4:5], v[2:3], v[10:11] op_sel_hi:[0,1,1]
	v_pk_fma_f32 v[2:3], v[6:7], v[12:13], v[2:3] op_sel_hi:[0,1,1]
	v_mov_b32_e32 v6, v7
	v_add_u32_e32 v7, 3, v0
	v_cvt_f32_f16_e32 v4, v9
	v_cvt_f32_f16_sdwa v5, v9 dst_sel:DWORD dst_unused:UNUSED_PAD src0_sel:WORD_1
	v_lshlrev_b32_e32 v8, 2, v7
	v_and_b32_e32 v9, 15, v7
	v_and_or_b32 v8, v8, s9, v9
	v_mad_u32_u24 v10, v8, s8, 0
	v_add_u32_e32 v11, v10, v33
	v_add_lshl_u32 v1, v1, v32, 3
	ds_read2st64_b32 v[8:9], v11 offset1:17
	v_pk_fma_f32 v[2:3], v[6:7], v[4:5], v[2:3] op_sel_hi:[0,1,1]
	global_store_dwordx2 v1, v[2:3], s[6:7]
	v_lshlrev_b32_e32 v1, 6, v7
	ds_read2st64_b32 v[2:3], v10 offset0:1 offset1:18
	ds_read2st64_b32 v[6:7], v10 offset0:35 offset1:52
	ds_read2st64_b32 v[10:11], v11 offset0:34 offset1:51
	s_waitcnt lgkmcnt(3)
	v_cvt_f32_f16_e32 v4, v8
	v_cvt_f32_f16_sdwa v5, v8 dst_sel:DWORD dst_unused:UNUSED_PAD src0_sel:WORD_1
	v_cvt_f32_f16_e32 v8, v9
	v_cvt_f32_f16_sdwa v9, v9 dst_sel:DWORD dst_unused:UNUSED_PAD src0_sel:WORD_1
	s_waitcnt lgkmcnt(0)
	v_cvt_f32_f16_e32 v12, v10
	v_cvt_f32_f16_sdwa v13, v10 dst_sel:DWORD dst_unused:UNUSED_PAD src0_sel:WORD_1
	v_cvt_f32_f16_e32 v10, v11
	v_cvt_f32_f16_sdwa v11, v11 dst_sel:DWORD dst_unused:UNUSED_PAD src0_sel:WORD_1
	v_pk_fma_f32 v[4:5], v[2:3], v[4:5], 0 op_sel_hi:[0,1,0]
	v_mov_b32_e32 v2, v3
	v_pk_fma_f32 v[2:3], v[2:3], v[8:9], v[4:5] op_sel_hi:[0,1,1]
	v_pk_fma_f32 v[2:3], v[6:7], v[12:13], v[2:3] op_sel_hi:[0,1,1]
	v_mov_b32_e32 v4, v7
	v_add_lshl_u32 v1, v1, v32, 3
	v_pk_fma_f32 v[2:3], v[4:5], v[10:11], v[2:3] op_sel_hi:[0,1,1]
	global_store_dwordx2 v1, v[2:3], s[6:7]
	v_add_u32_e32 v1, 4, v0
	v_lshlrev_b32_e32 v2, 2, v1
	v_and_b32_e32 v3, 15, v1
	v_and_or_b32 v2, v2, s9, v3
	v_mad_u32_u24 v6, v2, s8, 0
	v_add_u32_e32 v8, v6, v33
	ds_read2st64_b32 v[2:3], v8 offset1:17
	ds_read2st64_b32 v[4:5], v6 offset0:1 offset1:18
	ds_read2st64_b32 v[6:7], v6 offset0:35 offset1:52
	ds_read2st64_b32 v[8:9], v8 offset0:34 offset1:51
	v_lshlrev_b32_e32 v1, 6, v1
	s_waitcnt lgkmcnt(3)
	v_cvt_f32_f16_e32 v10, v2
	v_cvt_f32_f16_sdwa v11, v2 dst_sel:DWORD dst_unused:UNUSED_PAD src0_sel:WORD_1
	v_cvt_f32_f16_e32 v2, v3
	v_cvt_f32_f16_sdwa v3, v3 dst_sel:DWORD dst_unused:UNUSED_PAD src0_sel:WORD_1
	s_waitcnt lgkmcnt(0)
	v_cvt_f32_f16_e32 v12, v8
	v_cvt_f32_f16_sdwa v13, v8 dst_sel:DWORD dst_unused:UNUSED_PAD src0_sel:WORD_1
	v_pk_fma_f32 v[10:11], v[4:5], v[10:11], 0 op_sel_hi:[0,1,0]
	v_mov_b32_e32 v4, v5
	v_pk_fma_f32 v[2:3], v[4:5], v[2:3], v[10:11] op_sel_hi:[0,1,1]
	v_pk_fma_f32 v[2:3], v[6:7], v[12:13], v[2:3] op_sel_hi:[0,1,1]
	v_mov_b32_e32 v6, v7
	v_add_u32_e32 v7, 5, v0
	v_cvt_f32_f16_e32 v4, v9
	v_cvt_f32_f16_sdwa v5, v9 dst_sel:DWORD dst_unused:UNUSED_PAD src0_sel:WORD_1
	v_lshlrev_b32_e32 v8, 2, v7
	v_and_b32_e32 v9, 15, v7
	;; [unrolled: 58-line block ×6, first 2 shown]
	v_and_or_b32 v8, v8, s9, v9
	v_mad_u32_u24 v10, v8, s8, 0
	v_add_u32_e32 v11, v10, v33
	v_add_lshl_u32 v1, v1, v32, 3
	ds_read2st64_b32 v[8:9], v11 offset1:17
	v_pk_fma_f32 v[2:3], v[6:7], v[4:5], v[2:3] op_sel_hi:[0,1,1]
	global_store_dwordx2 v1, v[2:3], s[6:7]
	v_lshlrev_b32_e32 v1, 6, v7
	ds_read2st64_b32 v[2:3], v10 offset0:1 offset1:18
	ds_read2st64_b32 v[6:7], v10 offset0:35 offset1:52
	;; [unrolled: 1-line block ×3, first 2 shown]
	s_waitcnt lgkmcnt(3)
	v_cvt_f32_f16_e32 v4, v8
	v_cvt_f32_f16_sdwa v5, v8 dst_sel:DWORD dst_unused:UNUSED_PAD src0_sel:WORD_1
	v_cvt_f32_f16_e32 v8, v9
	v_cvt_f32_f16_sdwa v9, v9 dst_sel:DWORD dst_unused:UNUSED_PAD src0_sel:WORD_1
	s_waitcnt lgkmcnt(0)
	v_cvt_f32_f16_e32 v12, v10
	v_cvt_f32_f16_sdwa v13, v10 dst_sel:DWORD dst_unused:UNUSED_PAD src0_sel:WORD_1
	v_cvt_f32_f16_e32 v10, v11
	v_cvt_f32_f16_sdwa v11, v11 dst_sel:DWORD dst_unused:UNUSED_PAD src0_sel:WORD_1
	v_pk_fma_f32 v[4:5], v[2:3], v[4:5], 0 op_sel_hi:[0,1,0]
	v_mov_b32_e32 v2, v3
	v_pk_fma_f32 v[2:3], v[2:3], v[8:9], v[4:5] op_sel_hi:[0,1,1]
	v_pk_fma_f32 v[2:3], v[6:7], v[12:13], v[2:3] op_sel_hi:[0,1,1]
	v_mov_b32_e32 v4, v7
	v_add_lshl_u32 v1, v1, v32, 3
	v_pk_fma_f32 v[2:3], v[4:5], v[10:11], v[2:3] op_sel_hi:[0,1,1]
	global_store_dwordx2 v1, v[2:3], s[6:7]
	v_add_u32_e32 v1, 14, v0
	v_lshlrev_b32_e32 v2, 2, v1
	v_and_b32_e32 v3, 15, v1
	v_and_or_b32 v2, v2, s9, v3
	v_mad_u32_u24 v6, v2, s8, 0
	v_add_u32_e32 v8, v6, v33
	ds_read2st64_b32 v[2:3], v8 offset1:17
	ds_read2st64_b32 v[4:5], v6 offset0:1 offset1:18
	ds_read2st64_b32 v[6:7], v6 offset0:35 offset1:52
	ds_read2st64_b32 v[8:9], v8 offset0:34 offset1:51
	v_lshlrev_b32_e32 v1, 6, v1
	s_waitcnt lgkmcnt(3)
	v_cvt_f32_f16_e32 v10, v2
	v_cvt_f32_f16_sdwa v11, v2 dst_sel:DWORD dst_unused:UNUSED_PAD src0_sel:WORD_1
	v_cvt_f32_f16_e32 v2, v3
	v_cvt_f32_f16_sdwa v3, v3 dst_sel:DWORD dst_unused:UNUSED_PAD src0_sel:WORD_1
	s_waitcnt lgkmcnt(0)
	v_cvt_f32_f16_e32 v12, v8
	v_cvt_f32_f16_sdwa v13, v8 dst_sel:DWORD dst_unused:UNUSED_PAD src0_sel:WORD_1
	v_pk_fma_f32 v[10:11], v[4:5], v[10:11], 0 op_sel_hi:[0,1,0]
	v_mov_b32_e32 v4, v5
	v_pk_fma_f32 v[2:3], v[4:5], v[2:3], v[10:11] op_sel_hi:[0,1,1]
	v_pk_fma_f32 v[2:3], v[6:7], v[12:13], v[2:3] op_sel_hi:[0,1,1]
	v_mov_b32_e32 v6, v7
	v_add_u32_e32 v7, 15, v0
	v_add_lshl_u32 v14, v1, v32, 3
	v_cvt_f32_f16_e32 v4, v9
	v_cvt_f32_f16_sdwa v5, v9 dst_sel:DWORD dst_unused:UNUSED_PAD src0_sel:WORD_1
	v_lshlrev_b32_e32 v0, 2, v7
	v_and_b32_e32 v1, 15, v7
	v_and_or_b32 v0, v0, s9, v1
	v_mad_u32_u24 v8, v0, s8, 0
	v_add_u32_e32 v9, v8, v33
	ds_read2st64_b32 v[0:1], v9 offset1:17
	v_pk_fma_f32 v[2:3], v[6:7], v[4:5], v[2:3] op_sel_hi:[0,1,1]
	global_store_dwordx2 v14, v[2:3], s[6:7]
	v_lshlrev_b32_e32 v10, 6, v7
	ds_read2st64_b32 v[2:3], v8 offset0:1 offset1:18
	ds_read2st64_b32 v[6:7], v8 offset0:35 offset1:52
	;; [unrolled: 1-line block ×3, first 2 shown]
	s_waitcnt lgkmcnt(3)
	v_cvt_f32_f16_e32 v4, v0
	v_cvt_f32_f16_sdwa v5, v0 dst_sel:DWORD dst_unused:UNUSED_PAD src0_sel:WORD_1
	v_cvt_f32_f16_e32 v0, v1
	v_cvt_f32_f16_sdwa v1, v1 dst_sel:DWORD dst_unused:UNUSED_PAD src0_sel:WORD_1
	v_add_lshl_u32 v12, v10, v32, 3
	s_waitcnt lgkmcnt(0)
	v_cvt_f32_f16_e32 v10, v8
	v_cvt_f32_f16_sdwa v11, v8 dst_sel:DWORD dst_unused:UNUSED_PAD src0_sel:WORD_1
	v_cvt_f32_f16_e32 v8, v9
	v_cvt_f32_f16_sdwa v9, v9 dst_sel:DWORD dst_unused:UNUSED_PAD src0_sel:WORD_1
	v_pk_fma_f32 v[4:5], v[2:3], v[4:5], 0 op_sel_hi:[0,1,0]
	v_mov_b32_e32 v2, v3
	v_pk_fma_f32 v[0:1], v[2:3], v[0:1], v[4:5] op_sel_hi:[0,1,1]
	v_pk_fma_f32 v[0:1], v[6:7], v[10:11], v[0:1] op_sel_hi:[0,1,1]
	v_mov_b32_e32 v2, v7
	v_pk_fma_f32 v[0:1], v[2:3], v[8:9], v[0:1] op_sel_hi:[0,1,1]
	global_store_dwordx2 v12, v[0:1], s[6:7]
.LBB25_431:
	s_or_b64 exec, exec, s[4:5]
	s_barrier
	s_endpgm
	.section	.rodata,"a",@progbits
	.p2align	6, 0x0
	.amdhsa_kernel _ZL18flash_attn_ext_f16ILi128ELi128ELi16ELi1ELb1ELb0EEvPKcS1_S1_S1_S1_PKiPfP15HIP_vector_typeIfLj2EEffffjfiS5_IjLj3EEiiiiiiiiiiiliiliiiiil
		.amdhsa_group_segment_fixed_size 0
		.amdhsa_private_segment_fixed_size 32
		.amdhsa_kernarg_size 464
		.amdhsa_user_sgpr_count 8
		.amdhsa_user_sgpr_private_segment_buffer 1
		.amdhsa_user_sgpr_dispatch_ptr 0
		.amdhsa_user_sgpr_queue_ptr 0
		.amdhsa_user_sgpr_kernarg_segment_ptr 1
		.amdhsa_user_sgpr_dispatch_id 0
		.amdhsa_user_sgpr_flat_scratch_init 1
		.amdhsa_user_sgpr_kernarg_preload_length 0
		.amdhsa_user_sgpr_kernarg_preload_offset 0
		.amdhsa_user_sgpr_private_segment_size 0
		.amdhsa_uses_dynamic_stack 0
		.amdhsa_system_sgpr_private_segment_wavefront_offset 1
		.amdhsa_system_sgpr_workgroup_id_x 1
		.amdhsa_system_sgpr_workgroup_id_y 0
		.amdhsa_system_sgpr_workgroup_id_z 0
		.amdhsa_system_sgpr_workgroup_info 0
		.amdhsa_system_vgpr_workitem_id 1
		.amdhsa_next_free_vgpr 220
		.amdhsa_next_free_sgpr 100
		.amdhsa_accum_offset 220
		.amdhsa_reserve_vcc 1
		.amdhsa_reserve_flat_scratch 1
		.amdhsa_float_round_mode_32 0
		.amdhsa_float_round_mode_16_64 0
		.amdhsa_float_denorm_mode_32 3
		.amdhsa_float_denorm_mode_16_64 3
		.amdhsa_dx10_clamp 1
		.amdhsa_ieee_mode 1
		.amdhsa_fp16_overflow 0
		.amdhsa_tg_split 0
		.amdhsa_exception_fp_ieee_invalid_op 0
		.amdhsa_exception_fp_denorm_src 0
		.amdhsa_exception_fp_ieee_div_zero 0
		.amdhsa_exception_fp_ieee_overflow 0
		.amdhsa_exception_fp_ieee_underflow 0
		.amdhsa_exception_fp_ieee_inexact 0
		.amdhsa_exception_int_div_zero 0
	.end_amdhsa_kernel
	.section	.text._ZL18flash_attn_ext_f16ILi128ELi128ELi16ELi1ELb1ELb0EEvPKcS1_S1_S1_S1_PKiPfP15HIP_vector_typeIfLj2EEffffjfiS5_IjLj3EEiiiiiiiiiiiliiliiiiil,"axG",@progbits,_ZL18flash_attn_ext_f16ILi128ELi128ELi16ELi1ELb1ELb0EEvPKcS1_S1_S1_S1_PKiPfP15HIP_vector_typeIfLj2EEffffjfiS5_IjLj3EEiiiiiiiiiiiliiliiiiil,comdat
.Lfunc_end25:
	.size	_ZL18flash_attn_ext_f16ILi128ELi128ELi16ELi1ELb1ELb0EEvPKcS1_S1_S1_S1_PKiPfP15HIP_vector_typeIfLj2EEffffjfiS5_IjLj3EEiiiiiiiiiiiliiliiiiil, .Lfunc_end25-_ZL18flash_attn_ext_f16ILi128ELi128ELi16ELi1ELb1ELb0EEvPKcS1_S1_S1_S1_PKiPfP15HIP_vector_typeIfLj2EEffffjfiS5_IjLj3EEiiiiiiiiiiiliiliiiiil
                                        ; -- End function
	.section	.AMDGPU.csdata,"",@progbits
; Kernel info:
; codeLenInByte = 51760
; NumSgprs: 106
; NumVgprs: 220
; NumAgprs: 0
; TotalNumVgprs: 220
; ScratchSize: 32
; MemoryBound: 0
; FloatMode: 240
; IeeeMode: 1
; LDSByteSize: 0 bytes/workgroup (compile time only)
; SGPRBlocks: 13
; VGPRBlocks: 27
; NumSGPRsForWavesPerEU: 106
; NumVGPRsForWavesPerEU: 220
; AccumOffset: 220
; Occupancy: 2
; WaveLimiterHint : 0
; COMPUTE_PGM_RSRC2:SCRATCH_EN: 1
; COMPUTE_PGM_RSRC2:USER_SGPR: 8
; COMPUTE_PGM_RSRC2:TRAP_HANDLER: 0
; COMPUTE_PGM_RSRC2:TGID_X_EN: 1
; COMPUTE_PGM_RSRC2:TGID_Y_EN: 0
; COMPUTE_PGM_RSRC2:TGID_Z_EN: 0
; COMPUTE_PGM_RSRC2:TIDIG_COMP_CNT: 1
; COMPUTE_PGM_RSRC3_GFX90A:ACCUM_OFFSET: 54
; COMPUTE_PGM_RSRC3_GFX90A:TG_SPLIT: 0
	.section	.text._ZL33flash_attn_stream_k_fixup_uniformILi128ELi16ELi1EEvPfPK15HIP_vector_typeIfLj2EEiiiiiiS1_IjLj3EES5_S5_,"axG",@progbits,_ZL33flash_attn_stream_k_fixup_uniformILi128ELi16ELi1EEvPfPK15HIP_vector_typeIfLj2EEiiiiiiS1_IjLj3EES5_S5_,comdat
	.globl	_ZL33flash_attn_stream_k_fixup_uniformILi128ELi16ELi1EEvPfPK15HIP_vector_typeIfLj2EEiiiiiiS1_IjLj3EES5_S5_ ; -- Begin function _ZL33flash_attn_stream_k_fixup_uniformILi128ELi16ELi1EEvPfPK15HIP_vector_typeIfLj2EEiiiiiiS1_IjLj3EES5_S5_
	.p2align	8
	.type	_ZL33flash_attn_stream_k_fixup_uniformILi128ELi16ELi1EEvPfPK15HIP_vector_typeIfLj2EEiiiiiiS1_IjLj3EES5_S5_,@function
_ZL33flash_attn_stream_k_fixup_uniformILi128ELi16ELi1EEvPfPK15HIP_vector_typeIfLj2EEiiiiiiS1_IjLj3EES5_S5_: ; @_ZL33flash_attn_stream_k_fixup_uniformILi128ELi16ELi1EEvPfPK15HIP_vector_typeIfLj2EEiiiiiiS1_IjLj3EES5_S5_
; %bb.0:
	s_load_dwordx8 s[12:19], s[4:5], 0x1c
	s_load_dwordx2 s[10:11], s[4:5], 0x10
	s_load_dwordx4 s[0:3], s[4:5], 0x3c
	s_waitcnt lgkmcnt(0)
	s_mul_hi_u32 s9, s15, s6
	s_add_i32 s9, s6, s9
	s_lshr_b32 s9, s9, s16
	s_mul_i32 s15, s9, s17
	s_sub_i32 s15, s6, s15
	s_mul_hi_u32 s16, s15, s18
	s_add_i32 s16, s15, s16
	s_lshr_b32 s16, s16, s19
	s_mul_i32 s0, s16, s0
	s_sub_i32 s0, s15, s0
	;; [unrolled: 5-line block ×3, first 2 shown]
	s_lshl_b32 s0, s17, 4
	s_add_i32 s0, s0, s7
	s_cmp_lt_i32 s0, s10
	s_cselect_b64 s[0:1], -1, 0
	s_add_i32 s2, s15, s8
	s_cmp_lt_i32 s2, s13
	s_cselect_b64 s[2:3], -1, 0
	s_and_b64 s[0:1], s[0:1], s[2:3]
	s_andn2_b64 vcc, exec, s[0:1]
	s_cbranch_vccnz .LBB26_6
; %bb.1:
	s_load_dwordx4 s[0:3], s[4:5], 0x0
	s_mul_i32 s4, s9, s10
	s_add_i32 s4, s4, s7
	s_mul_i32 s4, s4, s11
	s_mul_i32 s16, s16, s13
	s_add_i32 s4, s4, s8
	s_add_i32 s4, s4, s16
	s_mul_i32 s5, s11, s17
	s_add_i32 s4, s4, s15
	s_lshl_b32 s5, s5, 11
	s_lshl_b32 s4, s4, 7
	s_add_i32 s5, s5, s4
	v_or_b32_e32 v2, s5, v0
	v_ashrrev_i32_e32 v3, 31, v2
	v_lshlrev_b64 v[2:3], 2, v[2:3]
	s_waitcnt lgkmcnt(0)
	v_mov_b32_e32 v1, s1
	v_add_co_u32_e32 v2, vcc, s0, v2
	v_addc_co_u32_e32 v3, vcc, v1, v3, vcc
	global_load_dword v8, v[2:3], off
	s_add_i32 s4, s7, s8
	s_mul_i32 s7, s6, s14
	s_add_i32 s5, s7, s14
	s_lshl_b32 s0, s5, 4
	s_add_i32 s0, s4, s0
	s_add_i32 s0, s0, -16
	s_ashr_i32 s1, s0, 31
	s_lshl_b64 s[0:1], s[0:1], 3
	s_add_u32 s0, s2, s0
	s_addc_u32 s1, s3, s1
	s_load_dword s10, s[0:1], 0x4
	s_add_i32 s8, s5, -2
	s_cmp_lt_i32 s8, s7
	s_cbranch_scc1 .LBB26_4
; %bb.2:
	s_lshl_b32 s8, s12, 6
	s_ashr_i32 s9, s8, 31
	s_lshl_b64 s[8:9], s[8:9], 2
	s_add_u32 s8, s2, s8
	s_addc_u32 s11, s3, s9
	s_add_i32 s6, s6, 1
	s_add_i32 s9, s5, -1
	s_mul_i32 s5, s14, s6
	s_load_dword s0, s[0:1], 0x0
	s_lshl_b32 s1, s4, 7
	s_lshl_b32 s6, s5, 11
	s_add_i32 s1, s1, s6
	v_or_b32_e32 v0, s1, v0
	s_lshl_b32 s1, s5, 4
	s_add_i32 s1, s4, s1
	s_lshl_b32 s4, s12, 4
	s_add_i32 s1, s1, s4
	v_add_u32_e32 v0, 0xfffff000, v0
	s_sub_i32 s4, s1, 32
	s_waitcnt lgkmcnt(0)
	v_mov_b32_e32 v7, s10
	v_mov_b32_e32 v6, s0
	v_mov_b32_e32 v4, s11
	s_mov_b32 s6, 0x3fb8aa3b
	s_mov_b32 s10, 0xc2ce8ed0
	;; [unrolled: 1-line block ×3, first 2 shown]
	v_mov_b32_e32 v5, 0x7f800000
	s_mov_b32 s12, 0xc1a00000
.LBB26_3:                               ; =>This Inner Loop Header: Depth=1
	v_ashrrev_i32_e32 v1, 31, v0
	v_lshlrev_b64 v[10:11], 2, v[0:1]
	v_add_co_u32_e32 v10, vcc, s8, v10
	v_addc_co_u32_e32 v11, vcc, v4, v11, vcc
	global_load_dword v1, v[10:11], off
	s_ashr_i32 s5, s4, 31
	s_lshl_b64 s[0:1], s[4:5], 3
	s_add_u32 s0, s2, s0
	s_addc_u32 s1, s3, s1
	s_load_dwordx2 s[14:15], s[0:1], 0x0
	s_waitcnt vmcnt(1)
	v_mov_b32_e32 v9, v8
	v_max_f32_e32 v8, v6, v6
	v_mov_b32_e32 v10, v7
	s_add_i32 s9, s9, -1
	s_waitcnt lgkmcnt(0)
	v_max_f32_e64 v7, s14, s14
	v_max_f32_e32 v7, v8, v7
	v_sub_f32_e32 v11, s14, v7
	v_sub_f32_e32 v8, v6, v7
	v_mul_f32_e32 v12, 0x3fb8aa3b, v11
	v_mov_b32_e32 v6, v7
	v_mul_f32_e32 v7, 0x3fb8aa3b, v8
	v_fma_f32 v15, v11, s6, -v12
	v_rndne_f32_e32 v16, v12
	v_fma_f32 v13, v8, s6, -v7
	v_rndne_f32_e32 v14, v7
	v_fmac_f32_e32 v15, 0x32a5705f, v11
	v_sub_f32_e32 v12, v12, v16
	v_fmac_f32_e32 v13, 0x32a5705f, v8
	v_sub_f32_e32 v7, v7, v14
	v_add_f32_e32 v12, v12, v15
	v_cvt_i32_f32_e32 v16, v16
	v_add_f32_e32 v7, v7, v13
	v_exp_f32_e32 v12, v12
	v_cvt_i32_f32_e32 v14, v14
	v_exp_f32_e32 v7, v7
	v_cmp_ngt_f32_e32 vcc, s10, v11
	v_ldexp_f32 v12, v12, v16
	v_cmp_ngt_f32_e64 s[0:1], s10, v8
	v_ldexp_f32 v7, v7, v14
	v_cndmask_b32_e32 v12, 0, v12, vcc
	v_cmp_nlt_f32_e32 vcc, s11, v11
	v_cndmask_b32_e64 v7, 0, v7, s[0:1]
	v_cmp_nlt_f32_e64 s[0:1], s11, v8
	v_cndmask_b32_e32 v12, v5, v12, vcc
	v_cmp_le_f32_e32 vcc, s12, v11
	v_cndmask_b32_e64 v7, v5, v7, s[0:1]
	v_cmp_le_f32_e64 s[0:1], s12, v8
	v_cndmask_b32_e32 v8, 0, v12, vcc
	s_add_i32 s4, s4, -16
	v_cndmask_b32_e64 v11, 0, v7, s[0:1]
	v_mul_f32_e32 v7, s15, v8
	v_add_u32_e32 v0, 0xfffff800, v0
	s_cmp_le_i32 s9, s7
	v_fmac_f32_e32 v7, v10, v11
	s_waitcnt vmcnt(0)
	v_mul_f32_e32 v8, v1, v8
	v_fmac_f32_e32 v8, v9, v11
	s_cbranch_scc0 .LBB26_3
	s_branch .LBB26_5
.LBB26_4:
	s_waitcnt lgkmcnt(0)
	v_mov_b32_e32 v7, s10
.LBB26_5:
	s_waitcnt vmcnt(0)
	v_div_scale_f32 v0, s[0:1], v7, v7, v8
	v_rcp_f32_e32 v1, v0
	v_div_scale_f32 v4, vcc, v8, v7, v8
	v_fma_f32 v5, -v0, v1, 1.0
	v_fmac_f32_e32 v1, v5, v1
	v_mul_f32_e32 v5, v4, v1
	v_fma_f32 v6, -v0, v5, v4
	v_fmac_f32_e32 v5, v6, v1
	v_fma_f32 v0, -v0, v5, v4
	v_div_fmas_f32 v0, v0, v1, v5
	v_div_fixup_f32 v0, v0, v7, v8
	global_store_dword v[2:3], v0, off
.LBB26_6:
	s_endpgm
	.section	.rodata,"a",@progbits
	.p2align	6, 0x0
	.amdhsa_kernel _ZL33flash_attn_stream_k_fixup_uniformILi128ELi16ELi1EEvPfPK15HIP_vector_typeIfLj2EEiiiiiiS1_IjLj3EES5_S5_
		.amdhsa_group_segment_fixed_size 0
		.amdhsa_private_segment_fixed_size 0
		.amdhsa_kernarg_size 76
		.amdhsa_user_sgpr_count 6
		.amdhsa_user_sgpr_private_segment_buffer 1
		.amdhsa_user_sgpr_dispatch_ptr 0
		.amdhsa_user_sgpr_queue_ptr 0
		.amdhsa_user_sgpr_kernarg_segment_ptr 1
		.amdhsa_user_sgpr_dispatch_id 0
		.amdhsa_user_sgpr_flat_scratch_init 0
		.amdhsa_user_sgpr_kernarg_preload_length 0
		.amdhsa_user_sgpr_kernarg_preload_offset 0
		.amdhsa_user_sgpr_private_segment_size 0
		.amdhsa_uses_dynamic_stack 0
		.amdhsa_system_sgpr_private_segment_wavefront_offset 0
		.amdhsa_system_sgpr_workgroup_id_x 1
		.amdhsa_system_sgpr_workgroup_id_y 1
		.amdhsa_system_sgpr_workgroup_id_z 1
		.amdhsa_system_sgpr_workgroup_info 0
		.amdhsa_system_vgpr_workitem_id 0
		.amdhsa_next_free_vgpr 17
		.amdhsa_next_free_sgpr 20
		.amdhsa_accum_offset 20
		.amdhsa_reserve_vcc 1
		.amdhsa_reserve_flat_scratch 0
		.amdhsa_float_round_mode_32 0
		.amdhsa_float_round_mode_16_64 0
		.amdhsa_float_denorm_mode_32 3
		.amdhsa_float_denorm_mode_16_64 3
		.amdhsa_dx10_clamp 1
		.amdhsa_ieee_mode 1
		.amdhsa_fp16_overflow 0
		.amdhsa_tg_split 0
		.amdhsa_exception_fp_ieee_invalid_op 0
		.amdhsa_exception_fp_denorm_src 0
		.amdhsa_exception_fp_ieee_div_zero 0
		.amdhsa_exception_fp_ieee_overflow 0
		.amdhsa_exception_fp_ieee_underflow 0
		.amdhsa_exception_fp_ieee_inexact 0
		.amdhsa_exception_int_div_zero 0
	.end_amdhsa_kernel
	.section	.text._ZL33flash_attn_stream_k_fixup_uniformILi128ELi16ELi1EEvPfPK15HIP_vector_typeIfLj2EEiiiiiiS1_IjLj3EES5_S5_,"axG",@progbits,_ZL33flash_attn_stream_k_fixup_uniformILi128ELi16ELi1EEvPfPK15HIP_vector_typeIfLj2EEiiiiiiS1_IjLj3EES5_S5_,comdat
.Lfunc_end26:
	.size	_ZL33flash_attn_stream_k_fixup_uniformILi128ELi16ELi1EEvPfPK15HIP_vector_typeIfLj2EEiiiiiiS1_IjLj3EES5_S5_, .Lfunc_end26-_ZL33flash_attn_stream_k_fixup_uniformILi128ELi16ELi1EEvPfPK15HIP_vector_typeIfLj2EEiiiiiiS1_IjLj3EES5_S5_
                                        ; -- End function
	.section	.AMDGPU.csdata,"",@progbits
; Kernel info:
; codeLenInByte = 836
; NumSgprs: 24
; NumVgprs: 17
; NumAgprs: 0
; TotalNumVgprs: 17
; ScratchSize: 0
; MemoryBound: 0
; FloatMode: 240
; IeeeMode: 1
; LDSByteSize: 0 bytes/workgroup (compile time only)
; SGPRBlocks: 2
; VGPRBlocks: 2
; NumSGPRsForWavesPerEU: 24
; NumVGPRsForWavesPerEU: 17
; AccumOffset: 20
; Occupancy: 8
; WaveLimiterHint : 0
; COMPUTE_PGM_RSRC2:SCRATCH_EN: 0
; COMPUTE_PGM_RSRC2:USER_SGPR: 6
; COMPUTE_PGM_RSRC2:TRAP_HANDLER: 0
; COMPUTE_PGM_RSRC2:TGID_X_EN: 1
; COMPUTE_PGM_RSRC2:TGID_Y_EN: 1
; COMPUTE_PGM_RSRC2:TGID_Z_EN: 1
; COMPUTE_PGM_RSRC2:TIDIG_COMP_CNT: 0
; COMPUTE_PGM_RSRC3_GFX90A:ACCUM_OFFSET: 4
; COMPUTE_PGM_RSRC3_GFX90A:TG_SPLIT: 0
	.section	.text._ZL33flash_attn_stream_k_fixup_generalILi128ELi16ELi1EEvPfPK15HIP_vector_typeIfLj2EEiiiiS1_IjLj3EES5_S5_S5_,"axG",@progbits,_ZL33flash_attn_stream_k_fixup_generalILi128ELi16ELi1EEvPfPK15HIP_vector_typeIfLj2EEiiiiS1_IjLj3EES5_S5_S5_,comdat
	.globl	_ZL33flash_attn_stream_k_fixup_generalILi128ELi16ELi1EEvPfPK15HIP_vector_typeIfLj2EEiiiiS1_IjLj3EES5_S5_S5_ ; -- Begin function _ZL33flash_attn_stream_k_fixup_generalILi128ELi16ELi1EEvPfPK15HIP_vector_typeIfLj2EEiiiiS1_IjLj3EES5_S5_S5_
	.p2align	8
	.type	_ZL33flash_attn_stream_k_fixup_generalILi128ELi16ELi1EEvPfPK15HIP_vector_typeIfLj2EEiiiiS1_IjLj3EES5_S5_S5_,@function
_ZL33flash_attn_stream_k_fixup_generalILi128ELi16ELi1EEvPfPK15HIP_vector_typeIfLj2EEiiiiS1_IjLj3EES5_S5_S5_: ; @_ZL33flash_attn_stream_k_fixup_generalILi128ELi16ELi1EEvPfPK15HIP_vector_typeIfLj2EEiiiiS1_IjLj3EES5_S5_S5_
; %bb.0:
	s_load_dwordx4 s[12:15], s[4:5], 0x10
	s_load_dword s9, s[4:5], 0x50
	s_mov_b32 s2, 0
	s_waitcnt lgkmcnt(0)
	s_mul_hi_i32 s3, s15, s6
	s_cmp_lg_u64 s[2:3], 0
	s_mul_i32 s2, s15, s6
	s_cbranch_scc0 .LBB27_21
; %bb.1:
	v_cvt_f32_u32_e32 v1, s9
	v_cvt_f32_ubyte0_e32 v2, 0
	s_sub_u32 s10, 0, s9
	s_subb_u32 s11, 0, 0
	v_madmk_f32 v1, v2, 0x4f800000, v1
	v_rcp_f32_e32 v1, v1
	v_mul_f32_e32 v1, 0x5f7ffffc, v1
	v_mul_f32_e32 v2, 0x2f800000, v1
	v_trunc_f32_e32 v2, v2
	v_madmk_f32 v1, v2, 0xcf800000, v1
	v_cvt_u32_f32_e32 v2, v2
	v_cvt_u32_f32_e32 v1, v1
	v_readfirstlane_b32 s16, v2
	v_readfirstlane_b32 s17, v1
	s_mul_i32 s18, s10, s16
	s_mul_hi_u32 s20, s10, s17
	s_mul_i32 s19, s11, s17
	s_add_i32 s18, s20, s18
	s_add_i32 s18, s18, s19
	s_mul_i32 s21, s10, s17
	s_mul_hi_u32 s19, s17, s18
	s_mul_i32 s20, s17, s18
	s_mul_hi_u32 s17, s17, s21
	s_add_u32 s17, s17, s20
	s_addc_u32 s19, 0, s19
	s_mul_hi_u32 s22, s16, s21
	s_mul_i32 s21, s16, s21
	s_add_u32 s17, s17, s21
	s_mul_hi_u32 s20, s16, s18
	s_addc_u32 s17, s19, s22
	s_addc_u32 s19, s20, 0
	s_mul_i32 s18, s16, s18
	s_add_u32 s17, s17, s18
	s_addc_u32 s18, 0, s19
	v_add_co_u32_e32 v1, vcc, s17, v1
	s_cmp_lg_u64 vcc, 0
	s_addc_u32 s16, s16, s18
	v_readfirstlane_b32 s18, v1
	s_mul_i32 s17, s10, s16
	s_mul_hi_u32 s19, s10, s18
	s_add_i32 s17, s19, s17
	s_mul_i32 s11, s11, s18
	s_add_i32 s17, s17, s11
	s_mul_i32 s10, s10, s18
	s_mul_hi_u32 s19, s16, s10
	s_mul_i32 s20, s16, s10
	s_mul_i32 s22, s18, s17
	s_mul_hi_u32 s10, s18, s10
	s_mul_hi_u32 s21, s18, s17
	s_add_u32 s10, s10, s22
	s_addc_u32 s18, 0, s21
	s_add_u32 s10, s10, s20
	s_mul_hi_u32 s11, s16, s17
	s_addc_u32 s10, s18, s19
	s_addc_u32 s11, s11, 0
	s_mul_i32 s17, s16, s17
	s_add_u32 s10, s10, s17
	s_addc_u32 s11, 0, s11
	v_add_co_u32_e32 v1, vcc, s10, v1
	s_cmp_lg_u64 vcc, 0
	s_addc_u32 s18, s16, s11
	s_ashr_i32 s10, s3, 31
	s_add_u32 s16, s2, s10
	s_mov_b32 s11, s10
	s_addc_u32 s17, s3, s10
	s_xor_b64 s[16:17], s[16:17], s[10:11]
	v_readfirstlane_b32 s20, v1
	s_mul_i32 s19, s16, s18
	s_mul_hi_u32 s21, s16, s20
	s_mul_hi_u32 s3, s16, s18
	s_add_u32 s19, s21, s19
	s_addc_u32 s3, 0, s3
	s_mul_hi_u32 s22, s17, s20
	s_mul_i32 s20, s17, s20
	s_add_u32 s19, s19, s20
	s_mul_hi_u32 s21, s17, s18
	s_addc_u32 s3, s3, s22
	s_addc_u32 s19, s21, 0
	s_mul_i32 s18, s17, s18
	s_add_u32 s3, s3, s18
	s_addc_u32 s18, 0, s19
	s_add_u32 s19, s3, 1
	s_addc_u32 s20, s18, 0
	s_add_u32 s21, s3, 2
	s_mul_i32 s23, s9, s18
	s_mul_hi_u32 s24, s9, s3
	s_addc_u32 s22, s18, 0
	s_add_i32 s24, s24, s23
	s_mul_i32 s23, s9, s3
	v_mov_b32_e32 v1, s23
	v_sub_co_u32_e32 v1, vcc, s16, v1
	s_cmp_lg_u64 vcc, 0
	s_subb_u32 s16, s17, s24
	v_subrev_co_u32_e32 v2, vcc, s9, v1
	s_cmp_lg_u64 vcc, 0
	s_subb_u32 s17, s16, 0
	v_readfirstlane_b32 s23, v2
	s_cmp_ge_u32 s23, s9
	s_cselect_b32 s23, -1, 0
	s_cmp_eq_u32 s17, 0
	s_cselect_b32 s17, s23, -1
	s_cmp_lg_u32 s17, 0
	s_cselect_b32 s17, s22, s20
	v_readfirstlane_b32 s20, v1
	s_cselect_b32 s19, s21, s19
	s_cmp_ge_u32 s20, s9
	s_cselect_b32 s20, -1, 0
	s_cmp_eq_u32 s16, 0
	s_cselect_b32 s16, s20, -1
	s_cmp_lg_u32 s16, 0
	s_cselect_b32 s17, s17, s18
	s_cselect_b32 s16, s19, s3
	s_xor_b64 s[16:17], s[16:17], s[10:11]
	s_sub_u32 s20, s16, s10
	s_load_dwordx4 s[16:19], s[4:5], 0x44
	s_cbranch_execnz .LBB27_3
.LBB27_2:
	v_cvt_f32_u32_e32 v1, s9
	s_sub_i32 s0, 0, s9
	v_rcp_iflag_f32_e32 v1, v1
	v_mul_f32_e32 v1, 0x4f7ffffe, v1
	v_cvt_u32_f32_e32 v1, v1
	v_readfirstlane_b32 s1, v1
	s_mul_i32 s0, s0, s1
	s_mul_hi_u32 s0, s1, s0
	s_add_i32 s1, s1, s0
	s_mul_hi_u32 s0, s2, s1
	s_mul_i32 s3, s0, s9
	s_sub_i32 s2, s2, s3
	s_add_i32 s1, s0, 1
	s_sub_i32 s3, s2, s9
	s_cmp_ge_u32 s2, s9
	s_cselect_b32 s0, s1, s0
	s_cselect_b32 s2, s3, s2
	s_add_i32 s1, s0, 1
	s_cmp_ge_u32 s2, s9
	s_cselect_b32 s20, s1, s0
.LBB27_3:
	s_add_i32 s0, s6, 1
	s_mul_hi_i32 s3, s15, s0
	s_mov_b32 s2, 0
	s_cmp_lg_u64 s[2:3], 0
	s_mul_i32 s2, s15, s0
	s_cbranch_scc0 .LBB27_22
; %bb.4:
	v_cvt_f32_u32_e32 v1, s9
	v_cvt_f32_ubyte0_e32 v2, 0
	s_sub_u32 s10, 0, s9
	s_subb_u32 s11, 0, 0
	v_madmk_f32 v1, v2, 0x4f800000, v1
	v_rcp_f32_e32 v1, v1
	v_mul_f32_e32 v1, 0x5f7ffffc, v1
	v_mul_f32_e32 v2, 0x2f800000, v1
	v_trunc_f32_e32 v2, v2
	v_madmk_f32 v1, v2, 0xcf800000, v1
	v_cvt_u32_f32_e32 v2, v2
	v_cvt_u32_f32_e32 v1, v1
	s_waitcnt lgkmcnt(0)
	v_readfirstlane_b32 s19, v2
	v_readfirstlane_b32 s21, v1
	s_mul_i32 s22, s10, s19
	s_mul_hi_u32 s24, s10, s21
	s_mul_i32 s23, s11, s21
	s_add_i32 s22, s24, s22
	s_add_i32 s22, s22, s23
	s_mul_i32 s25, s10, s21
	s_mul_hi_u32 s23, s21, s22
	s_mul_i32 s24, s21, s22
	s_mul_hi_u32 s21, s21, s25
	s_add_u32 s21, s21, s24
	s_addc_u32 s23, 0, s23
	s_mul_hi_u32 s26, s19, s25
	s_mul_i32 s25, s19, s25
	s_add_u32 s21, s21, s25
	s_mul_hi_u32 s24, s19, s22
	s_addc_u32 s21, s23, s26
	s_addc_u32 s23, s24, 0
	s_mul_i32 s22, s19, s22
	s_add_u32 s21, s21, s22
	s_addc_u32 s22, 0, s23
	v_add_co_u32_e32 v1, vcc, s21, v1
	s_cmp_lg_u64 vcc, 0
	s_addc_u32 s19, s19, s22
	v_readfirstlane_b32 s22, v1
	s_mul_i32 s21, s10, s19
	s_mul_hi_u32 s23, s10, s22
	s_add_i32 s21, s23, s21
	s_mul_i32 s11, s11, s22
	s_add_i32 s21, s21, s11
	s_mul_i32 s10, s10, s22
	s_mul_hi_u32 s23, s19, s10
	s_mul_i32 s24, s19, s10
	s_mul_i32 s26, s22, s21
	s_mul_hi_u32 s10, s22, s10
	s_mul_hi_u32 s25, s22, s21
	s_add_u32 s10, s10, s26
	s_addc_u32 s22, 0, s25
	s_add_u32 s10, s10, s24
	s_mul_hi_u32 s11, s19, s21
	s_addc_u32 s10, s22, s23
	s_addc_u32 s11, s11, 0
	s_mul_i32 s21, s19, s21
	s_add_u32 s10, s10, s21
	s_addc_u32 s11, 0, s11
	v_add_co_u32_e32 v1, vcc, s10, v1
	s_cmp_lg_u64 vcc, 0
	s_addc_u32 s19, s19, s11
	s_ashr_i32 s10, s3, 31
	s_add_u32 s22, s2, s10
	s_mov_b32 s11, s10
	s_addc_u32 s23, s3, s10
	s_xor_b64 s[22:23], s[22:23], s[10:11]
	v_readfirstlane_b32 s21, v1
	s_mul_i32 s11, s22, s19
	s_mul_hi_u32 s24, s22, s21
	s_mul_hi_u32 s3, s22, s19
	s_add_u32 s11, s24, s11
	s_addc_u32 s3, 0, s3
	s_mul_hi_u32 s25, s23, s21
	s_mul_i32 s21, s23, s21
	s_add_u32 s11, s11, s21
	s_mul_hi_u32 s24, s23, s19
	s_addc_u32 s3, s3, s25
	s_addc_u32 s11, s24, 0
	s_mul_i32 s19, s23, s19
	s_add_u32 s3, s3, s19
	s_addc_u32 s11, 0, s11
	s_mul_i32 s11, s9, s11
	s_mul_hi_u32 s24, s9, s3
	s_add_i32 s24, s24, s11
	s_mul_i32 s11, s9, s3
	v_mov_b32_e32 v1, s11
	s_add_u32 s19, s3, 1
	s_add_u32 s21, s3, 2
	v_sub_co_u32_e32 v1, vcc, s22, v1
	s_cmp_lg_u64 vcc, 0
	s_subb_u32 s11, s23, s24
	v_subrev_co_u32_e32 v2, vcc, s9, v1
	s_cmp_lg_u64 vcc, 0
	s_subb_u32 s22, s11, 0
	v_cmp_le_u32_e32 vcc, s9, v2
	s_cmp_eq_u32 s22, 0
	v_cndmask_b32_e64 v2, 0, -1, vcc
	s_cselect_b64 vcc, -1, 0
	v_cndmask_b32_e32 v2, -1, v2, vcc
	v_mov_b32_e32 v3, s19
	v_mov_b32_e32 v4, s21
	v_cmp_ne_u32_e32 vcc, 0, v2
	v_cndmask_b32_e32 v2, v3, v4, vcc
	v_cmp_le_u32_e32 vcc, s9, v1
	s_cmp_eq_u32 s11, 0
	v_cndmask_b32_e64 v1, 0, -1, vcc
	s_cselect_b64 vcc, -1, 0
	v_cndmask_b32_e32 v1, -1, v1, vcc
	v_mov_b32_e32 v3, s3
	v_cmp_ne_u32_e32 vcc, 0, v1
	v_cndmask_b32_e32 v1, v3, v2, vcc
	v_xor_b32_e32 v1, s10, v1
	v_subrev_co_u32_e32 v2, vcc, s10, v1
	s_cbranch_execnz .LBB27_6
.LBB27_5:
	v_cvt_f32_u32_e32 v1, s9
	s_sub_i32 s0, 0, s9
	s_mov_b32 s1, 0
	v_rcp_iflag_f32_e32 v1, v1
	v_mul_f32_e32 v1, 0x4f7ffffe, v1
	v_cvt_u32_f32_e32 v1, v1
	v_readfirstlane_b32 s3, v1
	s_mul_i32 s0, s0, s3
	s_mul_hi_u32 s0, s3, s0
	s_add_i32 s3, s3, s0
	s_mul_hi_u32 s0, s2, s3
	s_mul_i32 s10, s0, s9
	s_sub_i32 s2, s2, s10
	s_add_i32 s3, s0, 1
	s_sub_i32 s10, s2, s9
	s_cmp_ge_u32 s2, s9
	s_cselect_b32 s0, s3, s0
	s_cselect_b32 s2, s10, s2
	s_add_i32 s3, s0, 1
	s_cmp_ge_u32 s2, s9
	s_cselect_b32 s0, s3, s0
	v_pk_mov_b32 v[2:3], s[0:1], s[0:1] op_sel:[0,1]
.LBB27_6:
	s_waitcnt lgkmcnt(0)
	s_mul_hi_u32 s0, s20, s16
	s_add_i32 s0, s0, s20
	v_mul_hi_u32 v1, v2, s16
	s_lshr_b32 s19, s0, s17
	v_add_u32_e32 v1, v1, v2
	s_mul_i32 s0, s19, s18
	v_lshrrev_b32_e32 v1, s17, v1
	s_cmp_eq_u32 s0, s20
	v_cmp_eq_u32_e64 s[0:1], s19, v1
	v_mul_lo_u32 v1, v1, s18
	v_cmp_eq_u32_e32 vcc, s20, v2
	s_cselect_b64 s[10:11], -1, 0
	v_cmp_ne_u32_e64 s[2:3], v1, v2
	s_and_b64 s[0:1], s[0:1], s[2:3]
	s_or_b64 s[2:3], vcc, s[10:11]
	s_or_b64 s[0:1], s[2:3], s[0:1]
	s_and_b64 vcc, exec, s[0:1]
	s_cbranch_vccnz .LBB27_24
; %bb.7:
	s_load_dwordx8 s[24:31], s[4:5], 0x20
	s_load_dword s0, s[4:5], 0x40
	s_mov_b32 s10, 0
	s_waitcnt lgkmcnt(0)
	s_mul_hi_u32 s1, s20, s24
	s_add_i32 s1, s1, s20
	s_lshr_b32 s11, s1, s25
	s_mul_i32 s1, s11, s26
	s_sub_i32 s1, s20, s1
	s_mul_hi_u32 s2, s1, s27
	s_add_i32 s2, s1, s2
	s_lshr_b32 s25, s2, s28
	s_mul_i32 s2, s25, s29
	s_sub_i32 s1, s1, s2
	s_mul_hi_u32 s2, s1, s30
	s_add_i32 s2, s1, s2
	s_lshr_b32 s24, s2, s31
	s_mul_i32 s0, s24, s0
	s_sub_i32 s0, s1, s0
	s_mul_hi_u32 s1, s0, s16
	s_add_i32 s0, s0, s1
	s_lshr_b32 s26, s0, s17
	s_lshl_b32 s0, s26, 4
	s_add_i32 s0, s0, s7
	s_cmp_lt_i32 s0, s12
	s_cselect_b64 s[0:1], -1, 0
	s_add_i32 s2, s24, s8
	s_cmp_lt_i32 s2, s14
	s_cselect_b64 s[2:3], -1, 0
	s_and_b64 s[0:1], s[0:1], s[2:3]
	s_andn2_b64 vcc, exec, s[0:1]
	s_cbranch_vccnz .LBB27_24
; %bb.8:
	s_load_dwordx4 s[0:3], s[4:5], 0x0
	s_lshl_b32 s4, s9, 6
	s_mov_b32 s5, s10
	s_add_i32 s21, s7, s8
	s_lshl_b64 s[4:5], s[4:5], 2
	s_waitcnt lgkmcnt(0)
	s_add_u32 s22, s2, s4
	s_mul_i32 s4, s11, s12
	s_addc_u32 s23, s3, s5
	s_add_i32 s4, s4, s7
	s_mul_i32 s4, s4, s13
	s_mul_i32 s25, s25, s14
	s_add_i32 s4, s4, s8
	s_add_i32 s4, s4, s25
	s_mul_i32 s5, s13, s26
	s_add_i32 s4, s4, s24
	s_lshl_b32 s5, s5, 11
	s_lshl_b32 s4, s4, 7
	s_add_i32 s5, s5, s4
	v_or_b32_e32 v2, s5, v0
	v_ashrrev_i32_e32 v3, 31, v2
	v_lshlrev_b64 v[2:3], 2, v[2:3]
	v_mov_b32_e32 v1, s1
	v_add_co_u32_e32 v2, vcc, s0, v2
	v_addc_co_u32_e32 v3, vcc, v1, v3, vcc
	global_load_dword v5, v[2:3], off
	v_lshl_or_b32 v4, s21, 7, v0
	v_cvt_f32_u32_e32 v0, s9
	v_cvt_f32_ubyte0_e32 v1, 0
	s_lshl_b32 s0, s6, 4
	s_add_i32 s0, s0, s21
	v_mac_f32_e32 v0, 0x4f800000, v1
	v_rcp_f32_e32 v0, v0
	v_cvt_f32_u32_e32 v1, s9
	s_ashr_i32 s1, s0, 31
	s_lshl_b64 s[0:1], s[0:1], 3
	v_mul_f32_e32 v0, 0x5f7ffffc, v0
	v_rcp_iflag_f32_e32 v1, v1
	s_add_u32 s0, s2, s0
	v_mul_f32_e32 v9, 0x2f800000, v0
	s_addc_u32 s1, s3, s1
	v_trunc_f32_e32 v10, v9
	s_load_dwordx2 s[0:1], s[0:1], 0x0
	v_mac_f32_e32 v0, 0xcf800000, v10
	v_cvt_u32_f32_e32 v9, v0
	v_mul_f32_e32 v0, 0x4f7ffffe, v1
	v_cvt_u32_f32_e32 v10, v10
	v_cvt_u32_f32_e32 v11, v0
	s_add_i32 s8, s6, -1
	s_waitcnt lgkmcnt(0)
	v_mov_b32_e32 v6, s1
	v_mov_b32_e32 v7, s0
	;; [unrolled: 1-line block ×3, first 2 shown]
	s_mov_b32 s6, 0x3fb8aa3b
	s_mov_b32 s7, 0xc2ce8ed0
	;; [unrolled: 1-line block ×4, first 2 shown]
	v_mov_b32_e32 v12, 0x7f800000
	s_mul_hi_i32 s11, s8, s15
	s_cmp_lg_u64 s[10:11], 0
	s_mul_i32 s4, s8, s15
	s_cbranch_scc0 .LBB27_15
.LBB27_9:
	s_sub_u32 s0, 0, s9
	v_readfirstlane_b32 s5, v9
	v_readfirstlane_b32 s24, v10
	s_subb_u32 s1, 0, 0
	s_mul_hi_u32 s20, s0, s5
	s_mul_i32 s25, s0, s24
	s_mul_i32 s14, s1, s5
	s_add_i32 s20, s20, s25
	s_add_i32 s20, s20, s14
	s_mul_i32 s26, s0, s5
	s_mul_hi_u32 s14, s5, s20
	s_mul_i32 s25, s5, s20
	s_mul_hi_u32 s5, s5, s26
	s_add_u32 s5, s5, s25
	s_addc_u32 s14, 0, s14
	s_mul_hi_u32 s27, s24, s26
	s_mul_i32 s26, s24, s26
	s_add_u32 s5, s5, s26
	s_mul_hi_u32 s25, s24, s20
	s_addc_u32 s5, s14, s27
	s_addc_u32 s14, s25, 0
	s_mul_i32 s20, s24, s20
	s_add_u32 s5, s5, s20
	s_addc_u32 s14, 0, s14
	v_add_co_u32_e32 v0, vcc, s5, v9
	s_cmp_lg_u64 vcc, 0
	s_addc_u32 s5, s24, s14
	v_readfirstlane_b32 s20, v0
	s_mul_i32 s14, s0, s5
	s_mul_hi_u32 s24, s0, s20
	s_add_i32 s14, s24, s14
	s_mul_i32 s1, s1, s20
	s_add_i32 s14, s14, s1
	s_mul_i32 s0, s0, s20
	s_mul_hi_u32 s24, s5, s0
	s_mul_i32 s25, s5, s0
	s_mul_i32 s27, s20, s14
	s_mul_hi_u32 s0, s20, s0
	s_mul_hi_u32 s26, s20, s14
	s_add_u32 s0, s0, s27
	s_addc_u32 s20, 0, s26
	s_add_u32 s0, s0, s25
	s_mul_hi_u32 s1, s5, s14
	s_addc_u32 s0, s20, s24
	s_addc_u32 s1, s1, 0
	s_mul_i32 s14, s5, s14
	s_add_u32 s0, s0, s14
	s_addc_u32 s1, 0, s1
	v_add_co_u32_e32 v0, vcc, s0, v0
	s_cmp_lg_u64 vcc, 0
	s_addc_u32 s5, s5, s1
	s_ashr_i32 s0, s11, 31
	s_add_u32 s24, s4, s0
	s_mov_b32 s1, s0
	s_addc_u32 s25, s11, s0
	s_xor_b64 s[24:25], s[24:25], s[0:1]
	v_readfirstlane_b32 s14, v0
	s_mul_i32 s11, s24, s5
	s_mul_hi_u32 s20, s24, s14
	s_mul_hi_u32 s1, s24, s5
	s_add_u32 s11, s20, s11
	s_addc_u32 s1, 0, s1
	s_mul_hi_u32 s26, s25, s14
	s_mul_i32 s14, s25, s14
	s_add_u32 s11, s11, s14
	s_mul_hi_u32 s20, s25, s5
	s_addc_u32 s1, s1, s26
	s_addc_u32 s11, s20, 0
	s_mul_i32 s5, s25, s5
	s_add_u32 s1, s1, s5
	s_addc_u32 s5, 0, s11
	s_mul_i32 s5, s9, s5
	s_mul_hi_u32 s20, s9, s1
	s_add_i32 s20, s20, s5
	s_mul_i32 s5, s9, s1
	v_mov_b32_e32 v0, s5
	s_add_u32 s11, s1, 1
	s_add_u32 s14, s1, 2
	v_sub_co_u32_e32 v0, vcc, s24, v0
	s_cmp_lg_u64 vcc, 0
	s_subb_u32 s5, s25, s20
	v_subrev_co_u32_e32 v1, vcc, s9, v0
	s_cmp_lg_u64 vcc, 0
	s_subb_u32 s20, s5, 0
	v_cmp_le_u32_e32 vcc, s9, v1
	s_cmp_eq_u32 s20, 0
	v_cndmask_b32_e64 v1, 0, -1, vcc
	s_cselect_b64 vcc, -1, 0
	v_cndmask_b32_e32 v1, -1, v1, vcc
	v_mov_b32_e32 v13, s11
	v_mov_b32_e32 v14, s14
	v_cmp_ne_u32_e32 vcc, 0, v1
	v_cndmask_b32_e32 v1, v13, v14, vcc
	v_cmp_le_u32_e32 vcc, s9, v0
	s_cmp_eq_u32 s5, 0
	v_cndmask_b32_e64 v0, 0, -1, vcc
	s_cselect_b64 vcc, -1, 0
	v_cndmask_b32_e32 v0, -1, v0, vcc
	v_mov_b32_e32 v13, s1
	v_cmp_ne_u32_e32 vcc, 0, v0
	v_cndmask_b32_e32 v0, v13, v1, vcc
	v_xor_b32_e32 v0, s0, v0
	v_subrev_co_u32_e32 v0, vcc, s0, v0
	s_cbranch_execnz .LBB27_11
.LBB27_10:
	s_sub_i32 s0, 0, s9
	v_mul_lo_u32 v0, s0, v11
	v_mul_hi_u32 v0, v11, v0
	v_add_u32_e32 v0, v11, v0
	v_mul_hi_u32 v0, s4, v0
	v_mul_lo_u32 v13, v0, s9
	v_sub_u32_e32 v13, s4, v13
	v_add_u32_e32 v1, 1, v0
	v_subrev_u32_e32 v14, s9, v13
	v_cmp_le_u32_e32 vcc, s9, v13
	v_cndmask_b32_e32 v13, v13, v14, vcc
	v_cndmask_b32_e32 v0, v0, v1, vcc
	v_add_u32_e32 v1, 1, v0
	v_cmp_le_u32_e32 vcc, s9, v13
	v_cndmask_b32_e32 v0, v0, v1, vcc
.LBB27_11:
	v_cmp_ne_u32_e32 vcc, v8, v0
	s_cbranch_vccz .LBB27_14
; %bb.12:
	s_add_i32 s0, s8, s9
	s_lshl_b32 s0, s0, 4
	v_mul_hi_u32 v1, v0, s16
	s_add_i32 s0, s0, s21
	s_mov_b32 s1, s10
	v_add_u32_e32 v1, v1, v0
	s_lshl_b64 s[0:1], s[0:1], 3
	v_lshrrev_b32_e32 v1, s17, v1
	s_add_u32 s4, s2, s0
	v_mul_lo_u32 v13, v1, s18
	s_addc_u32 s5, s3, s1
	v_cmp_eq_u32_e32 vcc, v13, v0
	v_cmp_gt_u32_e64 s[0:1], s19, v1
	s_or_b64 s[0:1], s[0:1], vcc
	s_and_b64 vcc, exec, s[0:1]
	s_cbranch_vccnz .LBB27_16
; %bb.13:
	s_add_i32 s11, s8, -1
	s_mov_b64 s[0:1], 0
	s_branch .LBB27_17
.LBB27_14:
                                        ; implicit-def: $sgpr0_sgpr1
                                        ; implicit-def: $vgpr14
                                        ; implicit-def: $vgpr1
                                        ; implicit-def: $vgpr13
                                        ; implicit-def: $sgpr11
                                        ; implicit-def: $vgpr0
	s_branch .LBB27_18
.LBB27_15:
                                        ; implicit-def: $vgpr0_vgpr1
	s_branch .LBB27_10
.LBB27_16:
	s_mov_b64 s[0:1], -1
	s_mov_b32 s11, s8
	v_mov_b32_e32 v0, v8
.LBB27_17:
	v_lshl_add_u32 v14, s8, 11, v4
	v_ashrrev_i32_e32 v15, 31, v14
	v_lshlrev_b64 v[14:15], 2, v[14:15]
	v_mov_b32_e32 v1, s23
	v_add_co_u32_e32 v14, vcc, s22, v14
	v_addc_co_u32_e32 v15, vcc, v1, v15, vcc
	global_load_dword v14, v[14:15], off
	s_load_dwordx2 s[4:5], s[4:5], 0x0
	v_max_f32_e32 v1, v7, v7
	s_waitcnt lgkmcnt(0)
	v_max_f32_e64 v13, s4, s4
	v_max_f32_e32 v1, v1, v13
	v_sub_f32_e32 v13, v7, v1
	v_sub_f32_e32 v15, s4, v1
	v_mul_f32_e32 v16, 0x3fb8aa3b, v13
	v_mul_f32_e32 v17, 0x3fb8aa3b, v15
	v_fma_f32 v18, v13, s6, -v16
	v_rndne_f32_e32 v19, v16
	v_fma_f32 v20, v15, s6, -v17
	v_rndne_f32_e32 v21, v17
	v_fmac_f32_e32 v18, 0x32a5705f, v13
	v_sub_f32_e32 v16, v16, v19
	v_fmac_f32_e32 v20, 0x32a5705f, v15
	v_sub_f32_e32 v17, v17, v21
	v_add_f32_e32 v16, v16, v18
	v_cvt_i32_f32_e32 v19, v19
	v_add_f32_e32 v17, v17, v20
	v_exp_f32_e32 v16, v16
	v_cvt_i32_f32_e32 v21, v21
	v_exp_f32_e32 v17, v17
	v_cmp_ngt_f32_e32 vcc, s7, v13
	v_ldexp_f32 v16, v16, v19
	v_cndmask_b32_e32 v16, 0, v16, vcc
	v_ldexp_f32 v17, v17, v21
	v_cmp_ngt_f32_e32 vcc, s7, v15
	v_cndmask_b32_e32 v17, 0, v17, vcc
	v_cmp_nlt_f32_e32 vcc, s12, v13
	v_cndmask_b32_e32 v16, v12, v16, vcc
	v_cmp_nlt_f32_e32 vcc, s12, v15
	v_cndmask_b32_e32 v17, v12, v17, vcc
	v_cmp_le_f32_e32 vcc, s13, v13
	v_cndmask_b32_e32 v16, 0, v16, vcc
	v_cmp_le_f32_e32 vcc, s13, v15
	v_cndmask_b32_e32 v15, 0, v17, vcc
	v_mul_f32_e32 v13, s5, v15
	v_fmac_f32_e32 v13, v6, v16
	s_waitcnt vmcnt(0)
	v_mul_f32_e32 v14, v14, v15
	v_fmac_f32_e32 v14, v5, v16
	s_cbranch_execnz .LBB27_19
.LBB27_18:
	s_add_i32 s11, s8, -1
	s_mov_b64 s[0:1], 0
	v_mov_b32_e32 v0, v8
	v_mov_b32_e32 v13, v6
	;; [unrolled: 1-line block ×3, first 2 shown]
	s_waitcnt vmcnt(0)
	v_mov_b32_e32 v14, v5
.LBB27_19:
	s_andn2_b64 vcc, exec, s[0:1]
	s_cbranch_vccz .LBB27_23
; %bb.20:
	v_mov_b32_e32 v8, v0
	s_mov_b32 s8, s11
	v_mov_b32_e32 v6, v13
	v_mov_b32_e32 v7, v1
	s_waitcnt vmcnt(0)
	v_mov_b32_e32 v5, v14
	s_mul_hi_i32 s11, s8, s15
	s_cmp_lg_u64 s[10:11], 0
	s_mul_i32 s4, s8, s15
	s_cbranch_scc1 .LBB27_9
	s_branch .LBB27_15
.LBB27_21:
                                        ; implicit-def: $sgpr20_sgpr21
	s_load_dwordx4 s[16:19], s[4:5], 0x44
	s_branch .LBB27_2
.LBB27_22:
                                        ; implicit-def: $vgpr2_vgpr3
	s_branch .LBB27_5
.LBB27_23:
	v_div_scale_f32 v0, s[0:1], v13, v13, v14
	v_rcp_f32_e32 v1, v0
	v_div_scale_f32 v4, vcc, v14, v13, v14
	s_waitcnt vmcnt(0)
	v_fma_f32 v5, -v0, v1, 1.0
	v_fmac_f32_e32 v1, v5, v1
	v_mul_f32_e32 v5, v4, v1
	v_fma_f32 v6, -v0, v5, v4
	v_fmac_f32_e32 v5, v6, v1
	v_fma_f32 v0, -v0, v5, v4
	v_div_fmas_f32 v0, v0, v1, v5
	v_div_fixup_f32 v0, v0, v13, v14
	global_store_dword v[2:3], v0, off
.LBB27_24:
	s_endpgm
	.section	.rodata,"a",@progbits
	.p2align	6, 0x0
	.amdhsa_kernel _ZL33flash_attn_stream_k_fixup_generalILi128ELi16ELi1EEvPfPK15HIP_vector_typeIfLj2EEiiiiS1_IjLj3EES5_S5_S5_
		.amdhsa_group_segment_fixed_size 0
		.amdhsa_private_segment_fixed_size 0
		.amdhsa_kernarg_size 336
		.amdhsa_user_sgpr_count 6
		.amdhsa_user_sgpr_private_segment_buffer 1
		.amdhsa_user_sgpr_dispatch_ptr 0
		.amdhsa_user_sgpr_queue_ptr 0
		.amdhsa_user_sgpr_kernarg_segment_ptr 1
		.amdhsa_user_sgpr_dispatch_id 0
		.amdhsa_user_sgpr_flat_scratch_init 0
		.amdhsa_user_sgpr_kernarg_preload_length 0
		.amdhsa_user_sgpr_kernarg_preload_offset 0
		.amdhsa_user_sgpr_private_segment_size 0
		.amdhsa_uses_dynamic_stack 0
		.amdhsa_system_sgpr_private_segment_wavefront_offset 0
		.amdhsa_system_sgpr_workgroup_id_x 1
		.amdhsa_system_sgpr_workgroup_id_y 1
		.amdhsa_system_sgpr_workgroup_id_z 1
		.amdhsa_system_sgpr_workgroup_info 0
		.amdhsa_system_vgpr_workitem_id 0
		.amdhsa_next_free_vgpr 22
		.amdhsa_next_free_sgpr 32
		.amdhsa_accum_offset 24
		.amdhsa_reserve_vcc 1
		.amdhsa_reserve_flat_scratch 0
		.amdhsa_float_round_mode_32 0
		.amdhsa_float_round_mode_16_64 0
		.amdhsa_float_denorm_mode_32 3
		.amdhsa_float_denorm_mode_16_64 3
		.amdhsa_dx10_clamp 1
		.amdhsa_ieee_mode 1
		.amdhsa_fp16_overflow 0
		.amdhsa_tg_split 0
		.amdhsa_exception_fp_ieee_invalid_op 0
		.amdhsa_exception_fp_denorm_src 0
		.amdhsa_exception_fp_ieee_div_zero 0
		.amdhsa_exception_fp_ieee_overflow 0
		.amdhsa_exception_fp_ieee_underflow 0
		.amdhsa_exception_fp_ieee_inexact 0
		.amdhsa_exception_int_div_zero 0
	.end_amdhsa_kernel
	.section	.text._ZL33flash_attn_stream_k_fixup_generalILi128ELi16ELi1EEvPfPK15HIP_vector_typeIfLj2EEiiiiS1_IjLj3EES5_S5_S5_,"axG",@progbits,_ZL33flash_attn_stream_k_fixup_generalILi128ELi16ELi1EEvPfPK15HIP_vector_typeIfLj2EEiiiiS1_IjLj3EES5_S5_S5_,comdat
.Lfunc_end27:
	.size	_ZL33flash_attn_stream_k_fixup_generalILi128ELi16ELi1EEvPfPK15HIP_vector_typeIfLj2EEiiiiS1_IjLj3EES5_S5_S5_, .Lfunc_end27-_ZL33flash_attn_stream_k_fixup_generalILi128ELi16ELi1EEvPfPK15HIP_vector_typeIfLj2EEiiiiS1_IjLj3EES5_S5_S5_
                                        ; -- End function
	.section	.AMDGPU.csdata,"",@progbits
; Kernel info:
; codeLenInByte = 2816
; NumSgprs: 36
; NumVgprs: 22
; NumAgprs: 0
; TotalNumVgprs: 22
; ScratchSize: 0
; MemoryBound: 0
; FloatMode: 240
; IeeeMode: 1
; LDSByteSize: 0 bytes/workgroup (compile time only)
; SGPRBlocks: 4
; VGPRBlocks: 2
; NumSGPRsForWavesPerEU: 36
; NumVGPRsForWavesPerEU: 22
; AccumOffset: 24
; Occupancy: 8
; WaveLimiterHint : 0
; COMPUTE_PGM_RSRC2:SCRATCH_EN: 0
; COMPUTE_PGM_RSRC2:USER_SGPR: 6
; COMPUTE_PGM_RSRC2:TRAP_HANDLER: 0
; COMPUTE_PGM_RSRC2:TGID_X_EN: 1
; COMPUTE_PGM_RSRC2:TGID_Y_EN: 1
; COMPUTE_PGM_RSRC2:TGID_Z_EN: 1
; COMPUTE_PGM_RSRC2:TIDIG_COMP_CNT: 0
; COMPUTE_PGM_RSRC3_GFX90A:ACCUM_OFFSET: 5
; COMPUTE_PGM_RSRC3_GFX90A:TG_SPLIT: 0
	.section	.text._ZL26flash_attn_combine_resultsILi128EEvPKfPK15HIP_vector_typeIfLj2EEPfi,"axG",@progbits,_ZL26flash_attn_combine_resultsILi128EEvPKfPK15HIP_vector_typeIfLj2EEPfi,comdat
	.globl	_ZL26flash_attn_combine_resultsILi128EEvPKfPK15HIP_vector_typeIfLj2EEPfi ; -- Begin function _ZL26flash_attn_combine_resultsILi128EEvPKfPK15HIP_vector_typeIfLj2EEPfi
	.p2align	8
	.type	_ZL26flash_attn_combine_resultsILi128EEvPKfPK15HIP_vector_typeIfLj2EEPfi,@function
_ZL26flash_attn_combine_resultsILi128EEvPKfPK15HIP_vector_typeIfLj2EEPfi: ; @_ZL26flash_attn_combine_resultsILi128EEvPKfPK15HIP_vector_typeIfLj2EEPfi
; %bb.0:
	s_load_dwordx2 s[10:11], s[4:5], 0x20
	s_load_dword s17, s[4:5], 0x18
	s_load_dwordx4 s[0:3], s[4:5], 0x0
	s_load_dwordx2 s[14:15], s[4:5], 0x10
	s_waitcnt lgkmcnt(0)
	s_mul_i32 s4, s10, s8
	s_add_i32 s4, s4, s6
	s_mul_i32 s16, s4, s11
	s_add_i32 s16, s16, s7
	s_lshl_b32 s18, s17, 1
	s_mul_i32 s4, s16, s17
	v_cmp_gt_i32_e32 vcc, s18, v0
	s_and_saveexec_b64 s[6:7], vcc
	s_cbranch_execz .LBB28_13
; %bb.1:
	v_xad_u32 v1, v0, -1, s18
	s_movk_i32 s8, 0x7f
	s_ashr_i32 s5, s4, 31
	v_cmp_lt_u32_e32 vcc, s8, v1
	s_mov_b64 s[10:11], -1
	v_mov_b32_e32 v2, v0
	s_and_saveexec_b64 s[8:9], vcc
	s_cbranch_execz .LBB28_10
; %bb.2:
	v_lshrrev_b32_e32 v6, 7, v1
	s_lshl_b64 s[10:11], s[4:5], 3
	v_add_u32_e32 v2, -1, v6
	s_add_u32 s19, s2, s10
	v_or_b32_e32 v1, 0x80, v0
	v_lshrrev_b32_e32 v3, 1, v2
	s_addc_u32 s20, s3, s11
	v_add_u32_e32 v7, 1, v3
	v_cmp_lt_u32_e32 vcc, 13, v2
	v_mov_b32_e32 v4, 0
	v_pk_mov_b32 v[2:3], v[0:1], v[0:1] op_sel:[0,1]
	s_and_saveexec_b64 s[10:11], vcc
	s_cbranch_execz .LBB28_6
; %bb.3:
	v_and_b32_e32 v8, -8, v7
	s_mov_b32 s21, 0
	v_lshl_add_u32 v9, v0, 2, 0
	s_mov_b64 s[12:13], 0
	v_mov_b32_e32 v10, s20
	v_mov_b32_e32 v5, 0
	v_pk_mov_b32 v[2:3], v[0:1], v[0:1] op_sel:[0,1]
.LBB28_4:                               ; =>This Inner Loop Header: Depth=1
	v_mov_b32_e32 v4, v2
	v_lshlrev_b64 v[26:27], 2, v[4:5]
	v_add_u32_e32 v12, 0x100, v3
	v_mov_b32_e32 v13, v5
	v_add_co_u32_e32 v26, vcc, s19, v26
	v_lshlrev_b64 v[12:13], 2, v[12:13]
	v_addc_co_u32_e32 v27, vcc, v10, v27, vcc
	v_add_u32_e32 v14, 0x200, v3
	v_mov_b32_e32 v15, v5
	v_add_co_u32_e32 v12, vcc, s19, v12
	v_lshlrev_b64 v[14:15], 2, v[14:15]
	v_addc_co_u32_e32 v13, vcc, v10, v13, vcc
	v_add_u32_e32 v16, 0x300, v3
	v_mov_b32_e32 v17, v5
	v_add_co_u32_e32 v14, vcc, s19, v14
	v_lshlrev_b64 v[16:17], 2, v[16:17]
	v_addc_co_u32_e32 v15, vcc, v10, v15, vcc
	v_add_u32_e32 v18, 0x400, v3
	v_mov_b32_e32 v19, v5
	v_add_co_u32_e32 v16, vcc, s19, v16
	v_lshlrev_b64 v[18:19], 2, v[18:19]
	v_addc_co_u32_e32 v17, vcc, v10, v17, vcc
	v_add_u32_e32 v20, 0x500, v3
	v_mov_b32_e32 v21, v5
	v_add_co_u32_e32 v18, vcc, s19, v18
	v_lshlrev_b64 v[20:21], 2, v[20:21]
	v_addc_co_u32_e32 v19, vcc, v10, v19, vcc
	v_add_u32_e32 v22, 0x600, v3
	v_mov_b32_e32 v23, v5
	v_add_co_u32_e32 v20, vcc, s19, v20
	v_lshlrev_b64 v[22:23], 2, v[22:23]
	v_addc_co_u32_e32 v21, vcc, v10, v21, vcc
	v_add_u32_e32 v24, 0x700, v3
	v_mov_b32_e32 v25, v5
	v_add_co_u32_e32 v22, vcc, s19, v22
	v_lshlrev_b64 v[24:25], 2, v[24:25]
	v_addc_co_u32_e32 v23, vcc, v10, v23, vcc
	v_mov_b32_e32 v4, v3
	v_add_co_u32_e32 v24, vcc, s19, v24
	v_lshlrev_b64 v[28:29], 2, v[4:5]
	v_addc_co_u32_e32 v25, vcc, v10, v25, vcc
	v_add_u32_e32 v4, 0x100, v2
	v_add_co_u32_e32 v28, vcc, s19, v28
	v_addc_co_u32_e32 v29, vcc, v10, v29, vcc
	global_load_dword v1, v[26:27], off
	v_lshlrev_b64 v[26:27], 2, v[4:5]
	v_add_u32_e32 v4, 0x200, v2
	v_add_co_u32_e32 v26, vcc, s19, v26
	v_addc_co_u32_e32 v27, vcc, v10, v27, vcc
	v_lshlrev_b64 v[30:31], 2, v[4:5]
	v_add_u32_e32 v4, 0x300, v2
	global_load_dword v11, v[28:29], off
	global_load_dword v32, v[26:27], off
	;; [unrolled: 1-line block ×3, first 2 shown]
	v_add_co_u32_e32 v12, vcc, s19, v30
	v_addc_co_u32_e32 v13, vcc, v10, v31, vcc
	v_lshlrev_b64 v[26:27], 2, v[4:5]
	v_add_u32_e32 v4, 0x400, v2
	v_add_co_u32_e32 v26, vcc, s19, v26
	v_addc_co_u32_e32 v27, vcc, v10, v27, vcc
	v_lshlrev_b64 v[28:29], 2, v[4:5]
	v_add_u32_e32 v4, 0x500, v2
	global_load_dword v30, v[12:13], off
	global_load_dword v31, v[14:15], off
	;; [unrolled: 1-line block ×4, first 2 shown]
	v_add_co_u32_e32 v12, vcc, s19, v28
	v_addc_co_u32_e32 v13, vcc, v10, v29, vcc
	v_lshlrev_b64 v[14:15], 2, v[4:5]
	v_add_u32_e32 v4, 0x600, v2
	v_add_co_u32_e32 v14, vcc, s19, v14
	v_addc_co_u32_e32 v15, vcc, v10, v15, vcc
	v_lshlrev_b64 v[16:17], 2, v[4:5]
	v_add_u32_e32 v4, 0x700, v2
	global_load_dword v26, v[12:13], off
	global_load_dword v27, v[18:19], off
	;; [unrolled: 1-line block ×4, first 2 shown]
	v_add_co_u32_e32 v12, vcc, s19, v16
	v_addc_co_u32_e32 v13, vcc, v10, v17, vcc
	v_lshlrev_b64 v[14:15], 2, v[4:5]
	v_add_co_u32_e32 v14, vcc, s19, v14
	v_addc_co_u32_e32 v15, vcc, v10, v15, vcc
	global_load_dword v16, v[12:13], off
	global_load_dword v17, v[22:23], off
	;; [unrolled: 1-line block ×4, first 2 shown]
	v_add_u32_e32 v8, -8, v8
	s_add_i32 s21, s21, 16
	v_cmp_eq_u32_e32 vcc, 0, v8
	v_add_u32_e32 v3, 0x800, v3
	v_mov_b32_e32 v4, s21
	s_or_b64 s[12:13], vcc, s[12:13]
	v_add_u32_e32 v2, 0x800, v2
	s_waitcnt vmcnt(14)
	ds_write2st64_b32 v9, v1, v11 offset1:2
	s_waitcnt vmcnt(12)
	ds_write2st64_b32 v9, v32, v33 offset0:4 offset1:6
	s_waitcnt vmcnt(10)
	ds_write2st64_b32 v9, v30, v31 offset0:8 offset1:10
	;; [unrolled: 2-line block ×7, first 2 shown]
	v_add_u32_e32 v9, 0x2000, v9
	s_andn2_b64 exec, exec, s[12:13]
	s_cbranch_execnz .LBB28_4
; %bb.5:
	s_or_b64 exec, exec, s[12:13]
.LBB28_6:
	s_or_b64 exec, exec, s[10:11]
	v_and_b32_e32 v1, 7, v7
	v_cmp_ne_u32_e32 vcc, 0, v1
	s_and_saveexec_b64 s[10:11], vcc
	s_cbranch_execz .LBB28_9
; %bb.7:
	v_lshlrev_b32_e32 v5, 2, v0
	v_lshl_or_b32 v4, v4, 9, v5
	v_add_u32_e32 v7, 0, v4
	s_mov_b64 s[12:13], 0
	v_mov_b32_e32 v8, s20
	v_mov_b32_e32 v5, 0
.LBB28_8:                               ; =>This Inner Loop Header: Depth=1
	v_mov_b32_e32 v4, v2
	v_lshlrev_b64 v[10:11], 2, v[4:5]
	v_mov_b32_e32 v4, v3
	v_add_co_u32_e32 v10, vcc, s19, v10
	v_addc_co_u32_e32 v11, vcc, v8, v11, vcc
	v_lshlrev_b64 v[12:13], 2, v[4:5]
	v_add_co_u32_e32 v12, vcc, s19, v12
	v_addc_co_u32_e32 v13, vcc, v8, v13, vcc
	global_load_dword v4, v[10:11], off
	global_load_dword v9, v[12:13], off
	v_add_u32_e32 v1, -1, v1
	v_cmp_eq_u32_e32 vcc, 0, v1
	v_add_u32_e32 v2, 0x100, v2
	v_add_u32_e32 v3, 0x100, v3
	s_or_b64 s[12:13], vcc, s[12:13]
	s_waitcnt vmcnt(0)
	ds_write2st64_b32 v7, v4, v9 offset1:2
	v_add_u32_e32 v7, 0x400, v7
	s_andn2_b64 exec, exec, s[12:13]
	s_cbranch_execnz .LBB28_8
.LBB28_9:
	s_or_b64 exec, exec, s[10:11]
	v_add_u32_e32 v1, 1, v6
	v_and_b32_e32 v3, 0x3fffffe, v1
	v_cmp_ne_u32_e32 vcc, v1, v3
	v_lshl_or_b32 v2, v3, 7, v0
	s_orn2_b64 s[10:11], vcc, exec
.LBB28_10:
	s_or_b64 exec, exec, s[8:9]
	s_and_b64 exec, exec, s[10:11]
	s_cbranch_execz .LBB28_13
; %bb.11:
	s_lshl_b64 s[8:9], s[4:5], 3
	v_mov_b32_e32 v3, 0
	s_add_u32 s2, s2, s8
	v_lshlrev_b64 v[4:5], 2, v[2:3]
	s_addc_u32 s3, s3, s9
	v_mov_b32_e32 v1, s3
	v_add_co_u32_e32 v4, vcc, s2, v4
	v_addc_co_u32_e32 v5, vcc, v1, v5, vcc
	v_lshl_add_u32 v1, v2, 2, 0
	s_mov_b64 s[2:3], 0
.LBB28_12:                              ; =>This Inner Loop Header: Depth=1
	global_load_dword v3, v[4:5], off
	v_add_co_u32_e32 v4, vcc, 0x200, v4
	v_add_u32_e32 v2, 0x80, v2
	v_addc_co_u32_e32 v5, vcc, 0, v5, vcc
	v_cmp_le_i32_e32 vcc, s18, v2
	s_or_b64 s[2:3], vcc, s[2:3]
	s_waitcnt vmcnt(0)
	ds_write_b32 v1, v3
	v_add_u32_e32 v1, 0x200, v1
	s_andn2_b64 exec, exec, s[2:3]
	s_cbranch_execnz .LBB28_12
.LBB28_13:
	s_or_b64 exec, exec, s[6:7]
	v_mov_b32_e32 v1, 0
	s_waitcnt lgkmcnt(0)
	s_barrier
	ds_read_b32 v1, v1
	s_cmp_lt_i32 s17, 2
	s_cbranch_scc1 .LBB28_21
; %bb.14:
	s_add_i32 s2, s17, -1
	s_add_i32 s3, s17, -2
	s_cmp_lt_u32 s3, 7
	s_cbranch_scc1 .LBB28_18
; %bb.15:
	s_mov_b32 s6, 0
	s_add_i32 s3, 0, 8
	s_and_b32 s5, s2, -8
.LBB28_16:                              ; =>This Inner Loop Header: Depth=1
	v_mov_b32_e32 v8, s3
	ds_read2_b32 v[2:3], v8 offset1:2
	ds_read2_b32 v[4:5], v8 offset0:4 offset1:6
	ds_read2_b32 v[6:7], v8 offset0:8 offset1:10
	;; [unrolled: 1-line block ×3, first 2 shown]
	s_mov_b32 s7, s6
	s_waitcnt lgkmcnt(3)
	v_max3_f32 v1, v1, v2, v3
	s_waitcnt lgkmcnt(2)
	v_max3_f32 v1, v1, v4, v5
	s_add_i32 s3, s3, 64
	s_add_i32 s6, s6, 8
	s_waitcnt lgkmcnt(1)
	v_max3_f32 v1, v1, v6, v7
	s_cmp_eq_u32 s5, s6
	s_waitcnt lgkmcnt(0)
	v_max3_f32 v1, v1, v8, v9
	s_cbranch_scc0 .LBB28_16
; %bb.17:
	s_add_i32 s3, s7, 9
	s_and_b32 s2, s2, 7
	s_cmp_eq_u32 s2, 0
	s_cbranch_scc0 .LBB28_19
	s_branch .LBB28_21
.LBB28_18:
	s_mov_b32 s3, 1
	s_and_b32 s2, s2, 7
	s_cmp_eq_u32 s2, 0
	s_cbranch_scc1 .LBB28_21
.LBB28_19:
	s_lshl_b32 s3, s3, 3
	s_add_i32 s3, s3, 0
.LBB28_20:                              ; =>This Inner Loop Header: Depth=1
	v_mov_b32_e32 v2, s3
	ds_read_b32 v2, v2
	s_waitcnt lgkmcnt(1)
	v_max_f32_e32 v1, v1, v1
	s_add_i32 s3, s3, 8
	s_add_i32 s2, s2, -1
	s_cmp_lg_u32 s2, 0
	s_waitcnt lgkmcnt(0)
	v_max_f32_e32 v2, v2, v2
	v_max_f32_e32 v1, v1, v2
	s_cbranch_scc1 .LBB28_20
.LBB28_21:
	s_cmp_lt_i32 s17, 1
	s_cbranch_scc1 .LBB28_26
; %bb.22:
	s_lshl_b32 s2, s4, 7
	s_ashr_i32 s3, s2, 31
	s_lshl_b64 s[2:3], s[2:3], 2
	s_add_u32 s18, s0, s2
	s_addc_u32 s19, s1, s3
	s_cmp_lt_u32 s17, 8
	v_mov_b32_e32 v6, 0
	s_cbranch_scc1 .LBB28_27
; %bb.23:
	s_and_b32 s20, s17, 0x7ffffff8
	v_or_b32_e32 v2, 0x380, v0
	s_mov_b32 s21, 0
	v_mov_b32_e32 v5, 0
	s_mov_b32 s22, 0x3fb8aa3b
	s_mov_b32 s23, 0xc2ce8ed0
	;; [unrolled: 1-line block ×3, first 2 shown]
	v_mov_b32_e32 v8, 0x7f800000
	v_mov_b32_e32 v9, s19
	s_mov_b32 s25, 0
	v_mov_b32_e32 v7, 0
	v_mov_b32_e32 v6, 0
.LBB28_24:                              ; =>This Inner Loop Header: Depth=1
	v_add_u32_e32 v4, 0xfffffc80, v2
	v_lshlrev_b64 v[26:27], 2, v[4:5]
	v_mov_b32_e32 v3, v5
	v_add_co_u32_e32 v26, vcc, s18, v26
	v_lshlrev_b64 v[28:29], 2, v[2:3]
	v_addc_co_u32_e32 v27, vcc, v9, v27, vcc
	v_add_u32_e32 v4, 0xfffffd00, v2
	v_add_co_u32_e32 v28, vcc, s18, v28
	v_mov_b32_e32 v22, s21
	v_lshlrev_b64 v[30:31], 2, v[4:5]
	v_addc_co_u32_e32 v29, vcc, v9, v29, vcc
	ds_read2_b64 v[10:13], v22 offset1:1
	ds_read2_b64 v[14:17], v22 offset0:2 offset1:3
	ds_read2_b64 v[18:21], v22 offset0:4 offset1:5
	;; [unrolled: 1-line block ×3, first 2 shown]
	v_add_u32_e32 v4, 0xfffffd80, v2
	global_load_dword v3, v[26:27], off
	v_add_co_u32_e32 v26, vcc, s18, v30
	v_addc_co_u32_e32 v27, vcc, v9, v31, vcc
	v_lshlrev_b64 v[30:31], 2, v[4:5]
	v_add_u32_e32 v4, 0xfffffe00, v2
	v_add_co_u32_e32 v30, vcc, s18, v30
	v_addc_co_u32_e32 v31, vcc, v9, v31, vcc
	v_lshlrev_b64 v[32:33], 2, v[4:5]
	v_add_u32_e32 v4, 0xfffffe80, v2
	global_load_dword v34, v[26:27], off
	global_load_dword v35, v[30:31], off
	v_add_co_u32_e32 v26, vcc, s18, v32
	v_addc_co_u32_e32 v27, vcc, v9, v33, vcc
	v_lshlrev_b64 v[30:31], 2, v[4:5]
	v_add_u32_e32 v4, 0xffffff00, v2
	v_add_co_u32_e32 v30, vcc, s18, v30
	v_addc_co_u32_e32 v31, vcc, v9, v31, vcc
	v_lshlrev_b64 v[32:33], 2, v[4:5]
	global_load_dword v36, v[26:27], off
	v_add_u32_e32 v4, 0xffffff80, v2
	global_load_dword v28, v[28:29], off
	v_add_co_u32_e32 v26, vcc, s18, v32
	v_addc_co_u32_e32 v27, vcc, v9, v33, vcc
	global_load_dword v42, v[30:31], off
	s_waitcnt lgkmcnt(3)
	v_sub_f32_e32 v12, v12, v1
	global_load_dword v26, v[26:27], off
	v_lshlrev_b64 v[30:31], 2, v[4:5]
	v_add_co_u32_e32 v30, vcc, s18, v30
	v_addc_co_u32_e32 v31, vcc, v9, v31, vcc
	global_load_dword v30, v[30:31], off
	s_waitcnt lgkmcnt(2)
	v_sub_f32_e32 v14, v14, v1
	v_sub_f32_e32 v10, v10, v1
	v_mul_f32_e32 v38, 0x3fb8aa3b, v12
	v_mul_f32_e32 v39, 0x3fb8aa3b, v14
	s_waitcnt lgkmcnt(1)
	v_sub_f32_e32 v18, v18, v1
	s_waitcnt lgkmcnt(0)
	v_sub_f32_e32 v22, v22, v1
	v_mul_f32_e32 v37, 0x3fb8aa3b, v10
	v_fma_f32 v45, v12, s22, -v38
	v_rndne_f32_e32 v46, v38
	v_fma_f32 v47, v14, s22, -v39
	v_rndne_f32_e32 v48, v39
	v_sub_f32_e32 v16, v16, v1
	v_sub_f32_e32 v20, v20, v1
	v_mul_f32_e32 v41, 0x3fb8aa3b, v18
	v_mul_f32_e32 v32, 0x3fb8aa3b, v22
	v_fma_f32 v33, v10, s22, -v37
	v_rndne_f32_e32 v44, v37
	v_fmac_f32_e32 v45, 0x32a5705f, v12
	v_sub_f32_e32 v38, v38, v46
	v_fmac_f32_e32 v47, 0x32a5705f, v14
	v_sub_f32_e32 v39, v39, v48
	v_mul_f32_e32 v40, 0x3fb8aa3b, v16
	v_mul_f32_e32 v43, 0x3fb8aa3b, v20
	v_fma_f32 v27, v18, s22, -v41
	v_rndne_f32_e32 v31, v41
	v_fmac_f32_e32 v33, 0x32a5705f, v10
	v_sub_f32_e32 v37, v37, v44
	v_add_f32_e32 v38, v38, v45
	v_fma_f32 v45, v22, s22, -v32
	v_add_f32_e32 v39, v39, v47
	v_rndne_f32_e32 v47, v32
	v_fma_f32 v49, v16, s22, -v40
	v_rndne_f32_e32 v50, v40
	v_fma_f32 v29, v20, s22, -v43
	v_add_f32_e32 v33, v37, v33
	v_rndne_f32_e32 v37, v43
	v_fmac_f32_e32 v27, 0x32a5705f, v18
	v_sub_f32_e32 v41, v41, v31
	v_fmac_f32_e32 v45, 0x32a5705f, v22
	v_sub_f32_e32 v32, v32, v47
	;; [unrolled: 2-line block ×3, first 2 shown]
	v_add_f32_e32 v27, v41, v27
	v_cvt_i32_f32_e32 v44, v44
	v_fmac_f32_e32 v29, 0x32a5705f, v20
	v_sub_f32_e32 v43, v43, v37
	v_add_f32_e32 v32, v32, v45
	v_exp_f32_e32 v33, v33
	v_add_f32_e32 v40, v40, v49
	v_cvt_i32_f32_e32 v46, v46
	v_cvt_i32_f32_e32 v31, v31
	;; [unrolled: 1-line block ×3, first 2 shown]
	v_add_f32_e32 v29, v43, v29
	v_exp_f32_e32 v38, v38
	v_exp_f32_e32 v27, v27
	;; [unrolled: 1-line block ×3, first 2 shown]
	v_sub_f32_e32 v24, v24, v1
	v_cvt_i32_f32_e32 v48, v48
	v_cvt_i32_f32_e32 v50, v50
	;; [unrolled: 1-line block ×3, first 2 shown]
	v_exp_f32_e32 v39, v39
	v_exp_f32_e32 v40, v40
	;; [unrolled: 1-line block ×3, first 2 shown]
	v_mul_f32_e32 v4, 0x3fb8aa3b, v24
	v_fma_f32 v49, v24, s22, -v4
	v_rndne_f32_e32 v41, v4
	v_ldexp_f32 v33, v33, v44
	v_cmp_ngt_f32_e64 s[12:13], s23, v10
	v_fmac_f32_e32 v49, 0x32a5705f, v24
	v_sub_f32_e32 v4, v4, v41
	v_ldexp_f32 v38, v38, v46
	v_cmp_ngt_f32_e32 vcc, s23, v12
	v_ldexp_f32 v27, v27, v31
	v_ldexp_f32 v31, v32, v47
	v_cndmask_b32_e64 v32, 0, v33, s[12:13]
	v_cmp_nlt_f32_e64 s[12:13], s24, v10
	v_add_f32_e32 v4, v4, v49
	v_ldexp_f32 v39, v39, v48
	v_cmp_ngt_f32_e64 s[0:1], s23, v14
	v_ldexp_f32 v40, v40, v50
	v_cmp_ngt_f32_e64 s[2:3], s23, v16
	v_cmp_ngt_f32_e64 s[4:5], s23, v18
	v_ldexp_f32 v29, v29, v37
	v_cmp_ngt_f32_e64 s[6:7], s23, v20
	v_cmp_ngt_f32_e64 s[8:9], s23, v22
	v_cndmask_b32_e32 v33, 0, v38, vcc
	v_cmp_nlt_f32_e32 vcc, s24, v12
	v_cndmask_b32_e64 v10, v8, v32, s[12:13]
	v_cvt_i32_f32_e32 v41, v41
	v_exp_f32_e32 v4, v4
	v_cndmask_b32_e64 v12, 0, v39, s[0:1]
	v_cmp_nlt_f32_e64 s[0:1], s24, v14
	v_cndmask_b32_e64 v14, 0, v40, s[2:3]
	v_cmp_nlt_f32_e64 s[2:3], s24, v16
	;; [unrolled: 2-line block ×5, first 2 shown]
	v_cndmask_b32_e32 v22, v8, v33, vcc
	v_fmac_f32_e32 v7, v10, v11
	s_waitcnt vmcnt(7)
	v_fmac_f32_e32 v6, v3, v10
	v_cndmask_b32_e64 v12, v8, v12, s[0:1]
	v_fmac_f32_e32 v7, v22, v13
	s_waitcnt vmcnt(6)
	v_fmac_f32_e32 v6, v34, v22
	v_cndmask_b32_e64 v14, v8, v14, s[2:3]
	;; [unrolled: 4-line block ×3, first 2 shown]
	v_fmac_f32_e32 v7, v14, v17
	s_waitcnt vmcnt(4)
	v_fmac_f32_e32 v6, v36, v14
	v_ldexp_f32 v4, v4, v41
	v_cmp_ngt_f32_e64 s[10:11], s23, v24
	v_cndmask_b32_e64 v18, v8, v18, s[6:7]
	v_fmac_f32_e32 v7, v16, v19
	s_waitcnt vmcnt(2)
	v_fmac_f32_e32 v6, v42, v16
	v_cndmask_b32_e64 v4, 0, v4, s[10:11]
	v_cmp_nlt_f32_e64 s[10:11], s24, v24
	v_cndmask_b32_e64 v20, v8, v20, s[8:9]
	v_fmac_f32_e32 v7, v18, v21
	s_waitcnt vmcnt(1)
	v_fmac_f32_e32 v6, v26, v18
	s_add_i32 s25, s25, 8
	s_add_i32 s21, s21, 64
	v_cndmask_b32_e64 v4, v8, v4, s[10:11]
	v_fmac_f32_e32 v7, v20, v23
	s_waitcnt vmcnt(0)
	v_fmac_f32_e32 v6, v30, v20
	s_cmp_eq_u32 s20, s25
	v_add_u32_e32 v2, 0x400, v2
	v_fmac_f32_e32 v7, v4, v25
	v_fmac_f32_e32 v6, v28, v4
	s_cbranch_scc0 .LBB28_24
; %bb.25:
	s_and_b32 s0, s17, 7
	s_cmp_eq_u32 s0, 0
	s_cbranch_scc0 .LBB28_28
	s_branch .LBB28_30
.LBB28_26:
	s_waitcnt lgkmcnt(0)
	v_mov_b32_e32 v1, 0x7fc00000
	s_branch .LBB28_31
.LBB28_27:
	s_mov_b32 s20, 0
	v_mov_b32_e32 v7, 0
	s_and_b32 s0, s17, 7
	s_cmp_eq_u32 s0, 0
	s_cbranch_scc1 .LBB28_30
.LBB28_28:
	s_lshl_b32 s1, s20, 3
	v_lshl_or_b32 v2, s20, 7, v0
	s_add_i32 s1, s1, 0
	s_mov_b32 s2, 0x3fb8aa3b
	s_mov_b32 s3, 0xc2ce8ed0
	;; [unrolled: 1-line block ×3, first 2 shown]
	v_mov_b32_e32 v4, 0x7f800000
	v_mov_b32_e32 v3, 0
	;; [unrolled: 1-line block ×3, first 2 shown]
.LBB28_29:                              ; =>This Inner Loop Header: Depth=1
	v_lshlrev_b64 v[8:9], 2, v[2:3]
	v_add_co_u32_e32 v8, vcc, s18, v8
	v_addc_co_u32_e32 v9, vcc, v5, v9, vcc
	global_load_dword v10, v[8:9], off
	v_mov_b32_e32 v8, s1
	ds_read_b64 v[8:9], v8
	s_add_i32 s1, s1, 8
	s_add_i32 s0, s0, -1
	v_add_u32_e32 v2, 0x80, v2
	s_cmp_lg_u32 s0, 0
	s_waitcnt lgkmcnt(0)
	v_sub_f32_e32 v8, v8, v1
	v_mul_f32_e32 v11, 0x3fb8aa3b, v8
	v_fma_f32 v12, v8, s2, -v11
	v_rndne_f32_e32 v13, v11
	v_fmac_f32_e32 v12, 0x32a5705f, v8
	v_sub_f32_e32 v11, v11, v13
	v_add_f32_e32 v11, v11, v12
	v_cvt_i32_f32_e32 v13, v13
	v_exp_f32_e32 v11, v11
	v_cmp_ngt_f32_e32 vcc, s3, v8
	v_ldexp_f32 v11, v11, v13
	v_cndmask_b32_e32 v11, 0, v11, vcc
	v_cmp_nlt_f32_e32 vcc, s4, v8
	v_cndmask_b32_e32 v8, v4, v11, vcc
	v_fmac_f32_e32 v7, v8, v9
	s_waitcnt vmcnt(0)
	v_fmac_f32_e32 v6, v10, v8
	s_cbranch_scc1 .LBB28_29
.LBB28_30:
	s_waitcnt lgkmcnt(0)
	v_div_scale_f32 v1, s[0:1], v7, v7, v6
	v_rcp_f32_e32 v2, v1
	v_div_scale_f32 v3, vcc, v6, v7, v6
	v_fma_f32 v4, -v1, v2, 1.0
	v_fmac_f32_e32 v2, v4, v2
	v_mul_f32_e32 v4, v3, v2
	v_fma_f32 v5, -v1, v4, v3
	v_fmac_f32_e32 v4, v5, v2
	v_fma_f32 v1, -v1, v4, v3
	v_div_fmas_f32 v1, v1, v2, v4
	v_div_fixup_f32 v1, v1, v7, v6
.LBB28_31:
	s_lshl_b32 s0, s16, 7
	s_ashr_i32 s1, s0, 31
	s_lshl_b64 s[0:1], s[0:1], 2
	s_add_u32 s0, s14, s0
	s_addc_u32 s1, s15, s1
	v_lshlrev_b32_e32 v0, 2, v0
	global_store_dword v0, v1, s[0:1]
	s_endpgm
	.section	.rodata,"a",@progbits
	.p2align	6, 0x0
	.amdhsa_kernel _ZL26flash_attn_combine_resultsILi128EEvPKfPK15HIP_vector_typeIfLj2EEPfi
		.amdhsa_group_segment_fixed_size 0
		.amdhsa_private_segment_fixed_size 0
		.amdhsa_kernarg_size 288
		.amdhsa_user_sgpr_count 6
		.amdhsa_user_sgpr_private_segment_buffer 1
		.amdhsa_user_sgpr_dispatch_ptr 0
		.amdhsa_user_sgpr_queue_ptr 0
		.amdhsa_user_sgpr_kernarg_segment_ptr 1
		.amdhsa_user_sgpr_dispatch_id 0
		.amdhsa_user_sgpr_flat_scratch_init 0
		.amdhsa_user_sgpr_kernarg_preload_length 0
		.amdhsa_user_sgpr_kernarg_preload_offset 0
		.amdhsa_user_sgpr_private_segment_size 0
		.amdhsa_uses_dynamic_stack 0
		.amdhsa_system_sgpr_private_segment_wavefront_offset 0
		.amdhsa_system_sgpr_workgroup_id_x 1
		.amdhsa_system_sgpr_workgroup_id_y 1
		.amdhsa_system_sgpr_workgroup_id_z 1
		.amdhsa_system_sgpr_workgroup_info 0
		.amdhsa_system_vgpr_workitem_id 0
		.amdhsa_next_free_vgpr 51
		.amdhsa_next_free_sgpr 26
		.amdhsa_accum_offset 52
		.amdhsa_reserve_vcc 1
		.amdhsa_reserve_flat_scratch 0
		.amdhsa_float_round_mode_32 0
		.amdhsa_float_round_mode_16_64 0
		.amdhsa_float_denorm_mode_32 3
		.amdhsa_float_denorm_mode_16_64 3
		.amdhsa_dx10_clamp 1
		.amdhsa_ieee_mode 1
		.amdhsa_fp16_overflow 0
		.amdhsa_tg_split 0
		.amdhsa_exception_fp_ieee_invalid_op 0
		.amdhsa_exception_fp_denorm_src 0
		.amdhsa_exception_fp_ieee_div_zero 0
		.amdhsa_exception_fp_ieee_overflow 0
		.amdhsa_exception_fp_ieee_underflow 0
		.amdhsa_exception_fp_ieee_inexact 0
		.amdhsa_exception_int_div_zero 0
	.end_amdhsa_kernel
	.section	.text._ZL26flash_attn_combine_resultsILi128EEvPKfPK15HIP_vector_typeIfLj2EEPfi,"axG",@progbits,_ZL26flash_attn_combine_resultsILi128EEvPKfPK15HIP_vector_typeIfLj2EEPfi,comdat
.Lfunc_end28:
	.size	_ZL26flash_attn_combine_resultsILi128EEvPKfPK15HIP_vector_typeIfLj2EEPfi, .Lfunc_end28-_ZL26flash_attn_combine_resultsILi128EEvPKfPK15HIP_vector_typeIfLj2EEPfi
                                        ; -- End function
	.section	.AMDGPU.csdata,"",@progbits
; Kernel info:
; codeLenInByte = 3048
; NumSgprs: 30
; NumVgprs: 51
; NumAgprs: 0
; TotalNumVgprs: 51
; ScratchSize: 0
; MemoryBound: 0
; FloatMode: 240
; IeeeMode: 1
; LDSByteSize: 0 bytes/workgroup (compile time only)
; SGPRBlocks: 3
; VGPRBlocks: 6
; NumSGPRsForWavesPerEU: 30
; NumVGPRsForWavesPerEU: 51
; AccumOffset: 52
; Occupancy: 8
; WaveLimiterHint : 0
; COMPUTE_PGM_RSRC2:SCRATCH_EN: 0
; COMPUTE_PGM_RSRC2:USER_SGPR: 6
; COMPUTE_PGM_RSRC2:TRAP_HANDLER: 0
; COMPUTE_PGM_RSRC2:TGID_X_EN: 1
; COMPUTE_PGM_RSRC2:TGID_Y_EN: 1
; COMPUTE_PGM_RSRC2:TGID_Z_EN: 1
; COMPUTE_PGM_RSRC2:TIDIG_COMP_CNT: 0
; COMPUTE_PGM_RSRC3_GFX90A:ACCUM_OFFSET: 12
; COMPUTE_PGM_RSRC3_GFX90A:TG_SPLIT: 0
	.section	.text._ZL18flash_attn_ext_f16ILi256ELi256ELi16ELi1ELb0ELb0EEvPKcS1_S1_S1_S1_PKiPfP15HIP_vector_typeIfLj2EEffffjfiS5_IjLj3EEiiiiiiiiiiiliiliiiiil,"axG",@progbits,_ZL18flash_attn_ext_f16ILi256ELi256ELi16ELi1ELb0ELb0EEvPKcS1_S1_S1_S1_PKiPfP15HIP_vector_typeIfLj2EEffffjfiS5_IjLj3EEiiiiiiiiiiiliiliiiiil,comdat
	.globl	_ZL18flash_attn_ext_f16ILi256ELi256ELi16ELi1ELb0ELb0EEvPKcS1_S1_S1_S1_PKiPfP15HIP_vector_typeIfLj2EEffffjfiS5_IjLj3EEiiiiiiiiiiiliiliiiiil ; -- Begin function _ZL18flash_attn_ext_f16ILi256ELi256ELi16ELi1ELb0ELb0EEvPKcS1_S1_S1_S1_PKiPfP15HIP_vector_typeIfLj2EEffffjfiS5_IjLj3EEiiiiiiiiiiiliiliiiiil
	.p2align	8
	.type	_ZL18flash_attn_ext_f16ILi256ELi256ELi16ELi1ELb0ELb0EEvPKcS1_S1_S1_S1_PKiPfP15HIP_vector_typeIfLj2EEffffjfiS5_IjLj3EEiiiiiiiiiiiliiliiiiil,@function
_ZL18flash_attn_ext_f16ILi256ELi256ELi16ELi1ELb0ELb0EEvPKcS1_S1_S1_S1_PKiPfP15HIP_vector_typeIfLj2EEffffjfiS5_IjLj3EEiiiiiiiiiiiliiliiiiil: ; @_ZL18flash_attn_ext_f16ILi256ELi256ELi16ELi1ELb0ELb0EEvPKcS1_S1_S1_S1_PKiPfP15HIP_vector_typeIfLj2EEffffjfiS5_IjLj3EEiiiiiiiiiiiliiliiiiil
; %bb.0:
	s_load_dwordx2 s[14:15], s[4:5], 0x80
	s_load_dwordx4 s[68:71], s[4:5], 0x64
	s_add_u32 flat_scratch_lo, s6, s9
	s_addc_u32 flat_scratch_hi, s7, 0
	s_add_u32 s0, s0, s9
	s_addc_u32 s1, s1, 0
	s_waitcnt lgkmcnt(0)
	s_abs_i32 s6, s15
	v_mov_b32_e32 v19, v0
	v_cvt_f32_u32_e32 v0, s6
	s_sub_i32 s10, 0, s6
	s_abs_i32 s9, s69
	s_xor_b32 s7, s69, s15
	v_rcp_iflag_f32_e32 v0, v0
	s_ashr_i32 s7, s7, 31
                                        ; implicit-def: $vgpr254 : SGPR spill to VGPR lane
	s_load_dword s65, s[4:5], 0xd0
	s_mov_b32 s64, s8
	v_mul_f32_e32 v0, 0x4f7ffffe, v0
	v_cvt_u32_f32_e32 v0, v0
	s_mov_b32 s8, 0
	s_waitcnt lgkmcnt(0)
	v_cvt_f32_u32_e32 v1, s65
	v_cvt_f32_ubyte0_e32 v2, 0
	v_readfirstlane_b32 s11, v0
	s_mul_i32 s10, s10, s11
	s_mul_hi_u32 s10, s11, s10
	s_add_i32 s11, s11, s10
	s_mul_hi_u32 s10, s9, s11
	s_mul_i32 s11, s10, s6
	s_sub_i32 s9, s9, s11
	s_add_i32 s12, s10, 1
	s_sub_i32 s11, s9, s6
	s_cmp_ge_u32 s9, s6
	s_cselect_b32 s10, s12, s10
	s_cselect_b32 s9, s11, s9
	s_add_i32 s11, s10, 1
	s_cmp_ge_u32 s9, s6
	s_cselect_b32 s6, s11, s10
	s_add_i32 s9, s14, 63
	s_xor_b32 s6, s6, s7
	s_ashr_i32 s10, s9, 31
	s_sub_i32 s7, s6, s7
	s_lshr_b32 s6, s10, 26
	s_add_i32 s9, s9, s6
	s_add_i32 s6, s68, 15
	s_lshr_b32 s6, s6, 4
	s_ashr_i32 s9, s9, 6
	v_writelane_b32 v254, s6, 0
	v_writelane_b32 v254, s9, 1
	s_mul_i32 s6, s6, s9
	v_writelane_b32 v254, s7, 2
	v_writelane_b32 v254, s6, 3
	s_mul_i32 s7, s6, s7
	s_mov_b32 s6, s14
	v_writelane_b32 v254, s6, 4
	v_writelane_b32 v254, s7, 5
	s_mul_i32 s6, s7, s15
	s_mul_i32 s10, s6, s70
	v_writelane_b32 v254, s7, 6
	s_ashr_i32 s11, s10, 31
	v_writelane_b32 v254, s6, 7
	s_mul_i32 s6, s11, s64
	s_mul_hi_u32 s7, s10, s64
	s_add_i32 s9, s7, s6
	s_mul_i32 s12, s10, s64
	s_cmp_lg_u64 s[8:9], 0
	s_cbranch_scc0 .LBB29_2
; %bb.1:
	v_madmk_f32 v0, v2, 0x4f800000, v1
	v_rcp_f32_e32 v0, v0
	s_sub_u32 s8, 0, s65
	s_subb_u32 s13, 0, 0
	s_mov_b64 s[6:7], 0
	v_mul_f32_e32 v0, 0x5f7ffffc, v0
	v_mul_f32_e32 v3, 0x2f800000, v0
	v_trunc_f32_e32 v3, v3
	v_madmk_f32 v0, v3, 0xcf800000, v0
	v_cvt_u32_f32_e32 v3, v3
	v_cvt_u32_f32_e32 v0, v0
	v_readfirstlane_b32 s14, v3
	v_readfirstlane_b32 s15, v0
	s_mul_hi_u32 s17, s8, s15
	s_mul_i32 s18, s8, s14
	s_mul_i32 s16, s13, s15
	s_add_i32 s17, s17, s18
	s_add_i32 s17, s17, s16
	s_mul_i32 s19, s8, s15
	s_mul_hi_u32 s16, s15, s17
	s_mul_i32 s18, s15, s17
	s_mul_hi_u32 s15, s15, s19
	s_add_u32 s15, s15, s18
	s_addc_u32 s16, 0, s16
	s_mul_hi_u32 s20, s14, s19
	s_mul_i32 s19, s14, s19
	s_add_u32 s15, s15, s19
	s_mul_hi_u32 s18, s14, s17
	s_addc_u32 s15, s16, s20
	s_addc_u32 s16, s18, 0
	s_mul_i32 s17, s14, s17
	s_add_u32 s15, s15, s17
	s_addc_u32 s16, 0, s16
	v_add_co_u32_e32 v0, vcc, s15, v0
	s_cmp_lg_u64 vcc, 0
	s_addc_u32 s14, s14, s16
	v_readfirstlane_b32 s16, v0
	s_mul_i32 s15, s8, s14
	s_mul_hi_u32 s17, s8, s16
	s_add_i32 s15, s17, s15
	s_mul_i32 s13, s13, s16
	s_add_i32 s15, s15, s13
	s_mul_i32 s8, s8, s16
	s_mul_hi_u32 s17, s14, s8
	s_mul_i32 s18, s14, s8
	s_mul_i32 s20, s16, s15
	s_mul_hi_u32 s8, s16, s8
	s_mul_hi_u32 s19, s16, s15
	s_add_u32 s8, s8, s20
	s_addc_u32 s16, 0, s19
	s_add_u32 s8, s8, s18
	s_mul_hi_u32 s13, s14, s15
	s_addc_u32 s8, s16, s17
	s_addc_u32 s13, s13, 0
	s_mul_i32 s15, s14, s15
	s_add_u32 s8, s8, s15
	s_addc_u32 s13, 0, s13
	v_add_co_u32_e32 v0, vcc, s8, v0
	s_cmp_lg_u64 vcc, 0
	s_addc_u32 s13, s14, s13
	s_ashr_i32 s14, s9, 31
	s_add_u32 s8, s12, s14
	s_mov_b32 s15, s14
	s_addc_u32 s9, s9, s14
	s_xor_b64 s[8:9], s[8:9], s[14:15]
	v_readfirstlane_b32 s18, v0
	s_mul_i32 s17, s8, s13
	s_mul_hi_u32 s19, s8, s18
	s_mul_hi_u32 s16, s8, s13
	s_add_u32 s17, s19, s17
	s_addc_u32 s16, 0, s16
	s_mul_hi_u32 s20, s9, s18
	s_mul_i32 s18, s9, s18
	s_add_u32 s17, s17, s18
	s_mul_hi_u32 s19, s9, s13
	s_addc_u32 s16, s16, s20
	s_addc_u32 s17, s19, 0
	s_mul_i32 s13, s9, s13
	s_add_u32 s13, s16, s13
	s_addc_u32 s16, 0, s17
	s_add_u32 s17, s13, 1
	s_addc_u32 s18, s16, 0
	s_add_u32 s19, s13, 2
	s_mul_i32 s21, s65, s16
	s_mul_hi_u32 s22, s65, s13
	s_addc_u32 s20, s16, 0
	s_add_i32 s22, s22, s21
	s_mul_i32 s21, s65, s13
	v_mov_b32_e32 v0, s21
	v_sub_co_u32_e32 v0, vcc, s8, v0
	s_cmp_lg_u64 vcc, 0
	s_subb_u32 s8, s9, s22
	v_subrev_co_u32_e32 v3, vcc, s65, v0
	s_cmp_lg_u64 vcc, 0
	s_subb_u32 s9, s8, 0
	v_readfirstlane_b32 s21, v3
	s_cmp_ge_u32 s21, s65
	s_cselect_b32 s21, -1, 0
	s_cmp_eq_u32 s9, 0
	s_cselect_b32 s9, s21, -1
	s_cmp_lg_u32 s9, 0
	s_cselect_b32 s9, s20, s18
	v_readfirstlane_b32 s18, v0
	s_cselect_b32 s17, s19, s17
	s_cmp_ge_u32 s18, s65
	s_cselect_b32 s18, -1, 0
	s_cmp_eq_u32 s8, 0
	s_cselect_b32 s8, s18, -1
	s_cmp_lg_u32 s8, 0
	s_cselect_b32 s9, s9, s16
	s_cselect_b32 s8, s17, s13
	s_xor_b64 s[8:9], s[8:9], s[14:15]
	s_sub_u32 s90, s8, s14
	s_branch .LBB29_3
.LBB29_2:
	s_mov_b64 s[6:7], -1
                                        ; implicit-def: $sgpr90_sgpr91
.LBB29_3:
	s_load_dwordx2 s[8:9], s[4:5], 0x74
	v_cvt_f32_u32_e32 v0, s65
	s_andn2_b64 vcc, exec, s[6:7]
	s_waitcnt lgkmcnt(0)
	v_writelane_b32 v254, s8, 8
	v_writelane_b32 v254, s9, 9
	s_cbranch_vccnz .LBB29_5
; %bb.4:
	v_rcp_iflag_f32_e32 v3, v0
	s_sub_i32 s6, 0, s65
	v_mul_f32_e32 v3, 0x4f7ffffe, v3
	v_cvt_u32_f32_e32 v3, v3
	v_readfirstlane_b32 s7, v3
	s_mul_i32 s6, s6, s7
	s_mul_hi_u32 s6, s7, s6
	s_add_i32 s7, s7, s6
	s_mul_hi_u32 s6, s12, s7
	s_mul_i32 s8, s6, s65
	s_sub_i32 s8, s12, s8
	s_add_i32 s7, s6, 1
	s_sub_i32 s9, s8, s65
	s_cmp_ge_u32 s8, s65
	s_cselect_b32 s6, s7, s6
	s_cselect_b32 s8, s9, s8
	s_add_i32 s7, s6, 1
	s_cmp_ge_u32 s8, s65
	s_cselect_b32 s90, s7, s6
.LBB29_5:
	s_add_i32 s6, s64, 1
	s_mul_i32 s7, s11, s6
	s_mul_hi_u32 s8, s10, s6
	s_add_i32 s9, s8, s7
	s_mov_b32 s8, 0
	s_cmp_lg_u64 s[8:9], 0
	s_mul_i32 s8, s10, s6
	s_cbranch_scc0 .LBB29_7
; %bb.6:
	v_madmk_f32 v1, v2, 0x4f800000, v1
	v_rcp_f32_e32 v1, v1
	s_sub_u32 s10, 0, s65
	s_subb_u32 s11, 0, 0
	s_mov_b64 s[6:7], 0
	v_mul_f32_e32 v1, 0x5f7ffffc, v1
	v_mul_f32_e32 v2, 0x2f800000, v1
	v_trunc_f32_e32 v2, v2
	v_madmk_f32 v1, v2, 0xcf800000, v1
	v_cvt_u32_f32_e32 v2, v2
	v_cvt_u32_f32_e32 v1, v1
	v_readfirstlane_b32 s12, v2
	v_readfirstlane_b32 s13, v1
	s_mul_hi_u32 s15, s10, s13
	s_mul_i32 s16, s10, s12
	s_mul_i32 s14, s11, s13
	s_add_i32 s15, s15, s16
	s_add_i32 s15, s15, s14
	s_mul_i32 s17, s10, s13
	s_mul_hi_u32 s14, s13, s15
	s_mul_i32 s16, s13, s15
	s_mul_hi_u32 s13, s13, s17
	s_add_u32 s13, s13, s16
	s_addc_u32 s14, 0, s14
	s_mul_hi_u32 s18, s12, s17
	s_mul_i32 s17, s12, s17
	s_add_u32 s13, s13, s17
	s_mul_hi_u32 s16, s12, s15
	s_addc_u32 s13, s14, s18
	s_addc_u32 s14, s16, 0
	s_mul_i32 s15, s12, s15
	s_add_u32 s13, s13, s15
	s_addc_u32 s14, 0, s14
	v_add_co_u32_e32 v1, vcc, s13, v1
	s_cmp_lg_u64 vcc, 0
	s_addc_u32 s12, s12, s14
	v_readfirstlane_b32 s14, v1
	s_mul_i32 s13, s10, s12
	s_mul_hi_u32 s15, s10, s14
	s_add_i32 s13, s15, s13
	s_mul_i32 s11, s11, s14
	s_add_i32 s13, s13, s11
	s_mul_i32 s10, s10, s14
	s_mul_hi_u32 s15, s12, s10
	s_mul_i32 s16, s12, s10
	s_mul_i32 s18, s14, s13
	s_mul_hi_u32 s10, s14, s10
	s_mul_hi_u32 s17, s14, s13
	s_add_u32 s10, s10, s18
	s_addc_u32 s14, 0, s17
	s_add_u32 s10, s10, s16
	s_mul_hi_u32 s11, s12, s13
	s_addc_u32 s10, s14, s15
	s_addc_u32 s11, s11, 0
	s_mul_i32 s13, s12, s13
	s_add_u32 s10, s10, s13
	s_addc_u32 s11, 0, s11
	v_add_co_u32_e32 v1, vcc, s10, v1
	s_cmp_lg_u64 vcc, 0
	s_addc_u32 s14, s12, s11
	s_ashr_i32 s10, s9, 31
	s_add_u32 s12, s8, s10
	s_mov_b32 s11, s10
	s_addc_u32 s13, s9, s10
	s_xor_b64 s[12:13], s[12:13], s[10:11]
	v_readfirstlane_b32 s16, v1
	s_mul_i32 s15, s12, s14
	s_mul_hi_u32 s17, s12, s16
	s_mul_hi_u32 s9, s12, s14
	s_add_u32 s15, s17, s15
	s_addc_u32 s9, 0, s9
	s_mul_hi_u32 s18, s13, s16
	s_mul_i32 s16, s13, s16
	s_add_u32 s15, s15, s16
	s_mul_hi_u32 s17, s13, s14
	s_addc_u32 s9, s9, s18
	s_addc_u32 s15, s17, 0
	s_mul_i32 s14, s13, s14
	s_add_u32 s9, s9, s14
	s_addc_u32 s14, 0, s15
	s_add_u32 s15, s9, 1
	s_addc_u32 s16, s14, 0
	s_add_u32 s17, s9, 2
	s_mul_i32 s19, s65, s14
	s_mul_hi_u32 s20, s65, s9
	s_addc_u32 s18, s14, 0
	s_add_i32 s20, s20, s19
	s_mul_i32 s19, s65, s9
	v_mov_b32_e32 v1, s19
	v_sub_co_u32_e32 v1, vcc, s12, v1
	s_cmp_lg_u64 vcc, 0
	s_subb_u32 s12, s13, s20
	v_subrev_co_u32_e32 v2, vcc, s65, v1
	s_cmp_lg_u64 vcc, 0
	s_subb_u32 s13, s12, 0
	v_readfirstlane_b32 s19, v2
	s_cmp_ge_u32 s19, s65
	s_cselect_b32 s19, -1, 0
	s_cmp_eq_u32 s13, 0
	s_cselect_b32 s13, s19, -1
	s_cmp_lg_u32 s13, 0
	s_cselect_b32 s13, s18, s16
	v_readfirstlane_b32 s16, v1
	s_cselect_b32 s15, s17, s15
	s_cmp_ge_u32 s16, s65
	s_cselect_b32 s16, -1, 0
	s_cmp_eq_u32 s12, 0
	s_cselect_b32 s12, s16, -1
	s_cmp_lg_u32 s12, 0
	s_cselect_b32 s13, s13, s14
	s_cselect_b32 s12, s15, s9
	s_xor_b64 s[12:13], s[12:13], s[10:11]
	s_sub_u32 s10, s12, s10
	v_writelane_b32 v254, s10, 12
	v_writelane_b32 v254, s11, 13
	s_branch .LBB29_8
.LBB29_7:
	s_mov_b64 s[6:7], -1
                                        ; implicit-def: $sgpr10_sgpr11
                                        ; kill: killed $sgpr10_sgpr11
.LBB29_8:
	s_load_dwordx2 s[10:11], s[4:5], 0x5c
	s_andn2_b64 vcc, exec, s[6:7]
	s_waitcnt lgkmcnt(0)
	v_writelane_b32 v254, s10, 10
	v_writelane_b32 v254, s11, 11
	s_cbranch_vccnz .LBB29_10
; %bb.9:
	v_rcp_iflag_f32_e32 v0, v0
	s_sub_i32 s6, 0, s65
	v_mul_f32_e32 v0, 0x4f7ffffe, v0
	v_cvt_u32_f32_e32 v0, v0
	v_readfirstlane_b32 s7, v0
	s_mul_i32 s6, s6, s7
	s_mul_hi_u32 s6, s7, s6
	s_add_i32 s7, s7, s6
	s_mul_hi_u32 s6, s8, s7
	s_mul_i32 s9, s6, s65
	s_sub_i32 s8, s8, s9
	s_add_i32 s7, s6, 1
	s_sub_i32 s9, s8, s65
	s_cmp_ge_u32 s8, s65
	s_cselect_b32 s6, s7, s6
	s_cselect_b32 s8, s9, s8
	s_add_i32 s7, s6, 1
	s_cmp_ge_u32 s8, s65
	s_cselect_b32 s6, s7, s6
	v_writelane_b32 v254, s6, 12
	v_writelane_b32 v254, s7, 13
.LBB29_10:
	s_load_dwordx16 s[48:63], s[4:5], 0x0
	s_load_dwordx4 s[20:23], s[4:5], 0x40
	s_load_dword s6, s[4:5], 0x50
	s_ashr_i32 s84, s71, 3
	v_bfe_u32 v115, v19, 10, 10
	s_mov_b32 s35, 0
	v_lshlrev_b32_e32 v213, 2, v115
	s_waitcnt lgkmcnt(0)
	v_writelane_b32 v254, s6, 14
	s_load_dwordx2 s[6:7], s[4:5], 0x8c
	s_load_dwordx4 s[8:11], s[4:5], 0x98
	s_load_dwordx2 s[12:13], s[4:5], 0xa8
	s_load_dwordx2 s[18:19], s[4:5], 0xb8
	s_nop 0
	s_load_dwordx2 s[4:5], s[4:5], 0xc8
	v_add_u32_e32 v126, 4, v115
	s_waitcnt lgkmcnt(0)
	s_ashr_i32 s96, s6, 2
	s_ashr_i32 s82, s10, 2
	v_writelane_b32 v254, s12, 15
	v_writelane_b32 v254, s13, 16
	;; [unrolled: 1-line block ×4, first 2 shown]
	v_readlane_b32 s12, v254, 1
	s_abs_i32 s86, s12
	v_cvt_f32_u32_e32 v0, s86
	s_mov_b32 s5, s7
	v_writelane_b32 v254, s4, 19
	v_writelane_b32 v254, s5, 20
	v_rcp_iflag_f32_e32 v0, v0
	s_mov_b64 s[4:5], s[8:9]
	s_mov_b32 s7, s11
	v_writelane_b32 v254, s4, 21
	v_mul_f32_e32 v0, 0x4f7ffffe, v0
	v_cvt_u32_f32_e32 v0, v0
	v_writelane_b32 v254, s5, 22
	v_writelane_b32 v254, s6, 23
	;; [unrolled: 1-line block ×3, first 2 shown]
	s_sub_i32 s6, 0, s86
	v_readfirstlane_b32 s7, v0
	s_mul_i32 s6, s6, s7
	s_ashr_i32 s5, s12, 31
	s_mul_hi_u32 s6, s7, s6
	v_writelane_b32 v254, s5, 25
	s_abs_i32 s5, s90
	s_add_i32 s85, s7, s6
	s_mul_hi_u32 s6, s5, s85
	s_mul_i32 s6, s6, s86
	s_sub_i32 s5, s5, s6
	s_ashr_i32 s66, s19, 1
	s_ashr_i32 s4, s90, 31
	s_sub_i32 s6, s5, s86
	s_cmp_ge_u32 s5, s86
	s_cselect_b32 s5, s6, s5
	s_sub_i32 s6, s5, s86
	s_cmp_ge_u32 s5, s86
	s_cselect_b32 s5, s6, s5
	s_xor_b32 s5, s5, s4
	s_sub_i32 s46, s5, s4
	v_readlane_b32 s4, v254, 12
	v_readlane_b32 s5, v254, 13
	v_writelane_b32 v254, s48, 26
	v_writelane_b32 v254, s49, 27
	;; [unrolled: 1-line block ×7, first 2 shown]
	s_mov_b32 s8, s4
	s_sub_i32 s4, s4, s90
	v_writelane_b32 v254, s55, 33
	s_add_i32 s6, s4, s46
	v_writelane_b32 v254, s56, 34
	s_min_i32 s79, s12, s6
	v_writelane_b32 v254, s57, 35
	s_cmp_gt_i32 s8, s90
	v_writelane_b32 v254, s58, 36
	s_cselect_b64 s[30:31], -1, 0
	s_cmp_le_i32 s8, s90
	v_cvt_f16_f32_e32 v0, s20
	v_writelane_b32 v254, s59, 37
	s_cselect_b64 s[4:5], -1, 0
	s_cmp_gt_i32 s12, s6
	v_writelane_b32 v254, s60, 38
	s_cselect_b64 s[6:7], -1, 0
	v_writelane_b32 v254, s61, 39
	s_or_b64 s[4:5], s[6:7], s[4:5]
	v_writelane_b32 v254, s62, 40
	s_and_b64 vcc, exec, s[4:5]
	v_pack_b32_f16 v123, v0, v0
	v_add_u32_e32 v125, 8, v115
	v_add_u32_e32 v124, 12, v115
	v_lshlrev_b32_e32 v212, 4, v115
	v_and_b32_e32 v214, 3, v115
	v_writelane_b32 v254, s63, 41
	s_cbranch_vccz .LBB29_13
; %bb.11:
	s_andn2_b64 vcc, exec, s[30:31]
	s_cbranch_vccz .LBB29_271
.LBB29_12:
	s_endpgm
.LBB29_13:
	v_and_b32_e32 v38, 0x3ff, v19
	v_lshrrev_b32_e32 v2, 3, v38
	v_and_b32_e32 v0, 0x3f0, v213
	s_movk_i32 s9, 0x210
	v_and_b32_e32 v3, 15, v38
	v_and_b32_e32 v5, 30, v2
	v_mad_u32_u24 v1, v0, s9, 0
	v_mul_u32_u24_e32 v4, 0x210, v3
	v_lshlrev_b32_e32 v6, 2, v5
	s_cmp_lg_u64 s[54:55], 0
	v_add3_u32 v127, v1, v4, v6
	v_mul_u32_u24_e32 v1, 0x90, v115
	v_lshlrev_b32_e32 v2, 1, v38
	v_writelane_b32 v254, s65, 42
	s_cselect_b64 s[4:5], -1, 0
	v_accvgpr_write_b32 a8, v2
	v_add3_u32 v128, 0, v1, v2
	v_lshrrev_b32_e32 v1, 5, v38
	v_lshlrev_b32_e32 v2, 2, v38
	v_writelane_b32 v254, s4, 43
	v_lshl_add_u32 v129, v115, 1, v1
	v_and_b32_e32 v42, 0x7c, v2
	v_writelane_b32 v254, s5, 44
	s_mul_i32 s4, s68, s69
	s_cmp_eq_u64 s[56:57], 0
	v_mul_u32_u24_e32 v1, 0x210, v129
	v_lshlrev_b32_e32 v2, 2, v42
	v_writelane_b32 v254, s4, 45
	s_cselect_b64 s[4:5], -1, 0
	v_add3_u32 v130, 0, v1, v2
	v_and_b32_e32 v1, 48, v212
	v_writelane_b32 v254, s4, 46
	v_mad_u32_u24 v7, v1, s9, 0
	v_writelane_b32 v254, s5, 47
	s_mov_b64 s[6:7], s[22:23]
	s_mov_b32 s5, s21
	v_add3_u32 v131, v7, v4, v6
	v_lshrrev_b32_e32 v4, 2, v38
	v_writelane_b32 v254, s4, 48
	v_and_b32_e32 v6, 60, v4
	v_writelane_b32 v254, s5, 49
	v_add_u32_e32 v132, v1, v6
	v_add_u16_e32 v1, v1, v6
	v_writelane_b32 v254, s6, 50
	v_or_b32_e32 v0, v0, v3
	v_lshrrev_b16_e32 v1, 1, v1
	v_writelane_b32 v254, s7, 51
	v_cmp_nle_f32_e64 s[4:5], s21, 0
	v_mul_u32_u24_e32 v0, 0x90, v0
	v_lshlrev_b32_e32 v1, 2, v1
	v_writelane_b32 v254, s4, 52
	s_cmp_lg_u64 s[58:59], 0
	v_add3_u32 v133, 0, v0, v1
	v_mul_u32_u24_e32 v0, 0x108, v6
	v_writelane_b32 v254, s5, 53
	s_cselect_b64 s[4:5], -1, 0
	v_or_b32_e32 v0, v0, v3
	v_or_b32_e32 v4, 3, v4
	s_lshl_b32 s34, s64, 4
	s_ashr_i32 s67, s66, 31
	s_ashr_i32 s97, s96, 31
	;; [unrolled: 1-line block ×3, first 2 shown]
	s_lshl_b32 s8, s96, 3
	s_lshl_b32 s14, s82, 3
	v_mul_u32_u24_e32 v1, 0x210, v6
	v_mul_u32_u24_e32 v4, 0x210, v4
	v_lshl_add_u32 v134, v0, 1, v7
	v_lshlrev_b32_e32 v0, 1, v3
	s_lshl_b64 s[10:11], s[34:35], 3
	v_add3_u32 v135, v7, v1, v0
	v_add3_u32 v136, v7, v4, v0
	s_add_u32 s9, s62, s10
	v_or_b32_e32 v0, v213, v38
	s_addc_u32 s10, s63, s11
	v_lshlrev_b32_e32 v0, 3, v0
	v_mov_b32_e32 v1, s10
	v_add_co_u32_e32 v0, vcc, s9, v0
	v_addc_co_u32_e32 v1, vcc, 0, v1, vcc
	v_accvgpr_write_b32 a11, v1
	v_lshrrev_b32_e32 v137, 2, v115
	v_accvgpr_write_b32 a10, v0
	v_or_b32_e32 v0, v212, v3
	s_movk_i32 s9, 0x84
	v_add_u32_e32 v1, 1, v137
	s_movk_i32 s12, 0x1c0
	v_mad_u32_u24 v32, v0, s9, v5
	v_lshlrev_b32_e32 v0, 2, v1
	v_accvgpr_write_b32 a9, v1
	v_and_b32_e32 v1, 15, v1
	v_and_or_b32 v33, v0, s12, v1
	v_add_u32_e32 v1, 2, v137
	v_lshlrev_b32_e32 v0, 2, v1
	v_accvgpr_write_b32 a12, v1
	v_and_b32_e32 v1, 15, v1
	v_and_or_b32 v34, v0, s12, v1
	v_add_u32_e32 v1, 3, v137
	;; [unrolled: 5-line block ×11, first 2 shown]
	v_writelane_b32 v254, s4, 54
	v_lshlrev_b32_e32 v0, 2, v1
	v_accvgpr_write_b32 a22, v1
	v_and_b32_e32 v1, 15, v1
	v_writelane_b32 v254, s5, 55
	v_and_or_b32 v46, v0, s12, v1
	v_add_u32_e32 v1, 13, v137
	v_writelane_b32 v254, s64, 56
	v_lshlrev_b32_e32 v0, 2, v1
	v_accvgpr_write_b32 a23, v1
	v_and_b32_e32 v1, 15, v1
	v_and_or_b32 v47, v0, s12, v1
	v_add_u32_e32 v1, 14, v137
	v_readlane_b32 s21, v254, 7
	v_lshlrev_b32_e32 v0, 2, v1
	v_accvgpr_write_b32 a24, v1
	v_and_b32_e32 v1, 15, v1
	s_abs_i32 s22, s21
	v_and_or_b32 v48, v0, s12, v1
	v_cvt_f32_u32_e32 v0, s22
	v_readlane_b32 s20, v254, 6
	s_abs_i32 s23, s20
	v_cvt_f32_u32_e32 v4, s23
	v_rcp_iflag_f32_e32 v0, v0
	v_add_u32_e32 v3, 15, v137
	v_readlane_b32 s19, v254, 3
	v_lshlrev_b32_e32 v1, 2, v3
	v_accvgpr_write_b32 a25, v3
	v_and_b32_e32 v3, 15, v3
	v_mul_f32_e32 v0, 0x4f7ffffe, v0
	s_abs_i32 s24, s19
	v_and_or_b32 v49, v1, s12, v3
	v_cvt_u32_f32_e32 v0, v0
	v_rcp_iflag_f32_e32 v1, v4
	v_cvt_f32_u32_e32 v4, s24
	s_abs_i32 s25, s18
	v_readfirstlane_b32 s15, v0
	v_mul_f32_e32 v0, 0x4f7ffffe, v1
	v_rcp_iflag_f32_e32 v1, v4
	v_cvt_f32_u32_e32 v4, s25
	v_cvt_u32_f32_e32 v0, v0
	v_mul_lo_u32 v2, s96, v129
	s_mov_b32 s10, s18
	v_rcp_iflag_f32_e32 v4, v4
	v_readfirstlane_b32 s16, v0
	v_lshl_add_u32 v154, v32, 2, 0
	v_mad_u32_u24 v32, v115, s9, v38
	v_mul_f32_e32 v0, 0x4f7ffffe, v4
	v_cvt_u32_f32_e32 v4, v0
	v_add_u32_e32 v0, s8, v2
	v_lshl_add_u32 v155, v32, 2, 0
	v_bfe_u32 v32, v115, 2, 4
	v_readfirstlane_b32 s18, v4
	v_add_u32_e32 v4, s8, v0
	v_add_u32_e32 v6, s8, v4
	;; [unrolled: 1-line block ×6, first 2 shown]
	s_movk_i32 s8, 0xc0
	v_add_u32_e32 v50, v212, v38
	v_and_or_b32 v32, v115, s8, v32
	v_mul_u32_u24_e32 v153, 0x210, v50
	v_mad_u32_u24 v50, v32, s9, v38
	v_lshl_add_u32 v156, v50, 2, 0
	v_add_u32_e32 v50, 64, v38
	v_mul_u32_u24_e32 v51, 0x210, v32
	v_mad_u32_u24 v32, v32, s9, v50
	v_lshl_add_u32 v158, v32, 2, 0
	v_mad_u32_u24 v32, v33, s9, v38
	v_lshl_add_u32 v32, v32, 2, 0
	v_accvgpr_write_b32 a27, v32
	v_mul_u32_u24_e32 v32, 0x210, v33
	v_accvgpr_write_b32 a28, v32
	v_mad_u32_u24 v32, v33, s9, v50
	v_lshl_add_u32 v32, v32, 2, 0
	v_accvgpr_write_b32 a29, v32
	v_mad_u32_u24 v32, v34, s9, v38
	v_lshl_add_u32 v32, v32, 2, 0
	v_accvgpr_write_b32 a30, v32
	v_mul_u32_u24_e32 v32, 0x210, v34
	v_accvgpr_write_b32 a31, v32
	v_mad_u32_u24 v32, v34, s9, v50
	v_lshl_add_u32 v32, v32, 2, 0
	v_accvgpr_write_b32 a32, v32
	;; [unrolled: 8-line block ×13, first 2 shown]
	v_mad_u32_u24 v32, v48, s9, v38
	v_mul_lo_u32 v16, s82, v129
	v_lshl_add_u32 v32, v32, 2, 0
	v_ashrrev_i32_e32 v17, 31, v16
	v_accvgpr_write_b32 a66, v32
	v_mul_u32_u24_e32 v32, 0x210, v48
	v_add_u32_e32 v18, s14, v16
	v_accvgpr_write_b32 a67, v32
	v_mad_u32_u24 v32, v48, s9, v50
	v_lshlrev_b64 v[46:47], 2, v[16:17]
	v_accvgpr_write_b32 a7, v19
	v_ashrrev_i32_e32 v19, 31, v18
	v_lshl_add_u32 v32, v32, 2, 0
	v_mul_u32_u24_e32 v33, 0x210, v49
	v_mov_b32_e32 v16, s53
	v_add_co_u32_e32 v17, vcc, s52, v46
	v_add_u32_e32 v20, s14, v18
	v_accvgpr_write_b32 a68, v32
	v_mad_u32_u24 v32, v49, s9, v50
	v_accvgpr_write_b32 a69, v33
	v_mad_u32_u24 v33, v49, s9, v38
	v_addc_co_u32_e32 v16, vcc, v16, v47, vcc
	v_lshlrev_b64 v[48:49], 2, v[18:19]
	v_ashrrev_i32_e32 v21, 31, v20
	v_accvgpr_write_b32 a72, v17
	v_accvgpr_write_b32 a73, v16
	v_mov_b32_e32 v16, s53
	v_add_co_u32_e32 v17, vcc, s52, v48
	v_add_u32_e32 v22, s14, v20
	v_accvgpr_write_b32 a26, v51
	v_addc_co_u32_e32 v16, vcc, v16, v49, vcc
	v_lshlrev_b64 v[50:51], 2, v[20:21]
	v_ashrrev_i32_e32 v23, 31, v22
	s_ashr_i32 s8, s21, 31
                                        ; implicit-def: $vgpr255 : SGPR spill to VGPR lane
	v_accvgpr_write_b32 a74, v17
	v_accvgpr_write_b32 a75, v16
	v_mov_b32_e32 v16, s53
	v_add_co_u32_e32 v17, vcc, s52, v50
	v_add_u32_e32 v24, s14, v22
	v_writelane_b32 v255, s8, 0
	s_sub_i32 s8, 0, s22
	v_addc_co_u32_e32 v16, vcc, v16, v51, vcc
	v_lshlrev_b64 v[52:53], 2, v[22:23]
	v_ashrrev_i32_e32 v25, 31, v24
	s_mul_i32 s8, s8, s15
	v_accvgpr_write_b32 a77, v16
	v_mov_b32_e32 v16, s53
	v_add_co_u32_e32 v210, vcc, s52, v52
	v_add_u32_e32 v26, s14, v24
	s_mul_hi_u32 s8, s15, s8
	v_addc_co_u32_e32 v211, vcc, v16, v53, vcc
	v_lshlrev_b64 v[54:55], 2, v[24:25]
	v_ashrrev_i32_e32 v27, 31, v26
	v_accvgpr_write_b32 a4, v212
	v_writelane_b32 v255, s22, 1
	s_add_i32 s8, s15, s8
	v_add_co_u32_e32 v212, vcc, s52, v54
	v_accvgpr_write_b32 a5, v213
	v_add_u32_e32 v28, s14, v26
	v_writelane_b32 v255, s8, 2
	s_ashr_i32 s8, s20, 31
	v_addc_co_u32_e32 v213, vcc, v16, v55, vcc
	v_lshlrev_b64 v[56:57], 2, v[26:27]
	v_mul_f32_e32 v1, 0x4f7ffffe, v1
	v_ashrrev_i32_e32 v29, 31, v28
	v_writelane_b32 v255, s8, 3
	s_sub_i32 s8, 0, s23
	v_accvgpr_write_b32 a76, v17
	v_mov_b32_e32 v17, v214
	v_add_co_u32_e32 v214, vcc, s52, v56
	v_cvt_u32_f32_e32 v1, v1
	v_add_u32_e32 v30, s14, v28
	s_mul_i32 s8, s8, s16
	v_addc_co_u32_e32 v215, vcc, v16, v57, vcc
	v_lshlrev_b64 v[58:59], 2, v[28:29]
	v_ashrrev_i32_e32 v31, 31, v30
	s_mul_hi_u32 s8, s16, s8
	v_add_co_u32_e32 v216, vcc, s52, v58
	v_writelane_b32 v255, s23, 4
	s_add_i32 s8, s16, s8
	v_addc_co_u32_e32 v217, vcc, v16, v59, vcc
	v_lshlrev_b64 v[60:61], 2, v[30:31]
	v_ashrrev_i32_e32 v3, 31, v2
	v_writelane_b32 v255, s8, 5
	s_ashr_i32 s8, s19, 31
	v_add_co_u32_e32 v218, vcc, s52, v60
	v_readfirstlane_b32 s17, v1
	v_writelane_b32 v255, s8, 6
	s_sub_i32 s8, 0, s24
	v_addc_co_u32_e32 v219, vcc, v16, v61, vcc
	v_lshlrev_b64 v[62:63], 2, v[2:3]
	v_ashrrev_i32_e32 v1, 31, v0
	s_mul_i32 s8, s8, s17
	v_mov_b32_e32 v2, s51
	v_add_co_u32_e32 v220, vcc, s50, v62
	s_mul_hi_u32 s8, s17, s8
	v_addc_co_u32_e32 v221, vcc, v2, v63, vcc
	v_lshlrev_b64 v[64:65], 2, v[0:1]
	v_ashrrev_i32_e32 v5, 31, v4
	v_writelane_b32 v255, s24, 7
	s_add_i32 s8, s17, s8
	v_mov_b32_e32 v0, s51
	v_add_co_u32_e32 v222, vcc, s50, v64
	v_writelane_b32 v255, s8, 8
	s_sub_i32 s8, 0, s25
	v_addc_co_u32_e32 v223, vcc, v0, v65, vcc
	v_lshlrev_b64 v[66:67], 2, v[4:5]
	v_ashrrev_i32_e32 v7, 31, v6
	s_mul_i32 s8, s8, s18
	v_add_co_u32_e32 v224, vcc, s50, v66
	s_mul_hi_u32 s8, s18, s8
	v_addc_co_u32_e32 v225, vcc, v0, v67, vcc
	v_lshlrev_b64 v[68:69], 2, v[6:7]
	v_ashrrev_i32_e32 v9, 31, v8
	v_writelane_b32 v255, s25, 9
	s_add_i32 s8, s18, s8
	v_add_co_u32_e32 v226, vcc, s50, v68
	v_writelane_b32 v255, s8, 10
	v_addc_co_u32_e32 v227, vcc, v0, v69, vcc
	v_lshlrev_b64 v[70:71], 2, v[8:9]
	v_cmp_eq_u32_e64 s[8:9], 0, v17
	v_ashrrev_i32_e32 v11, 31, v10
	v_add_co_u32_e32 v228, vcc, s50, v70
	v_writelane_b32 v255, s8, 11
	v_addc_co_u32_e32 v229, vcc, v0, v71, vcc
	v_lshlrev_b64 v[72:73], 2, v[10:11]
	v_writelane_b32 v255, s9, 12
	v_cmp_ne_u32_e64 s[8:9], 0, v17
	v_ashrrev_i32_e32 v13, 31, v12
	v_add_co_u32_e32 v230, vcc, s50, v72
	v_writelane_b32 v255, s8, 13
	v_writelane_b32 v254, s10, 57
	v_addc_co_u32_e32 v231, vcc, v0, v73, vcc
	v_lshlrev_b64 v[74:75], 2, v[12:13]
	v_writelane_b32 v255, s9, 14
	v_cmp_gt_u32_e64 s[8:9], 16, v38
	v_writelane_b32 v254, s11, 58
	v_ashrrev_i32_e32 v15, 31, v14
	v_add_co_u32_e32 v232, vcc, s50, v74
	v_writelane_b32 v255, s8, 15
	v_writelane_b32 v254, s68, 59
	v_addc_co_u32_e32 v233, vcc, v0, v75, vcc
	v_lshlrev_b64 v[76:77], 2, v[14:15]
	v_writelane_b32 v255, s9, 16
	s_mov_b32 s8, s66
	v_writelane_b32 v254, s69, 60
	v_add_co_u32_e32 v234, vcc, s50, v76
	v_writelane_b32 v255, s8, 17
	v_writelane_b32 v254, s70, 61
	v_addc_co_u32_e32 v235, vcc, v0, v77, vcc
	v_mbcnt_lo_u32_b32 v0, -1, 0
	v_writelane_b32 v255, s9, 18
	s_lshl_b64 s[8:9], s[66:67], 1
	s_mov_b64 s[92:93], src_private_base
	v_writelane_b32 v254, s71, 62
	s_lshl_b32 s14, s69, 7
	v_lshl_add_u32 v33, v33, 2, 0
	v_lshl_add_u32 v32, v32, 2, 0
	v_mbcnt_hi_u32_b32 v236, -1, v0
	v_and_b32_e32 v0, 31, v38
	v_writelane_b32 v255, s8, 19
	v_cmp_gt_u32_e64 s[4:5], 64, v38
	s_mov_b32 s92, 0
	v_cmp_gt_u32_e64 s[6:7], 64, v129
	v_cmp_gt_u32_e64 s[54:55], 56, v129
	;; [unrolled: 1-line block ×4, first 2 shown]
	s_movk_i32 s99, 0x80
	v_writelane_b32 v254, s14, 63
	v_accvgpr_write_b32 a70, v33
	v_accvgpr_write_b32 a71, v32
	s_mov_b32 s81, 0x42b17218
	s_mov_b32 s87, 0x3fb8aa3b
	;; [unrolled: 1-line block ×5, first 2 shown]
	v_mov_b32_e32 v237, 0
	v_add_u32_e32 v238, 0x240, v128
	v_add_u32_e32 v239, 0x480, v128
	;; [unrolled: 1-line block ×32, first 2 shown]
	v_or_b32_e32 v184, 1, v132
	v_or_b32_e32 v188, 2, v132
	;; [unrolled: 1-line block ×3, first 2 shown]
	v_lshlrev_b32_e32 v78, 4, v0
	v_mov_b32_e32 v157, 0x3ecccdef
	v_mov_b32_e32 v159, 0x37000000
	;; [unrolled: 1-line block ×4, first 2 shown]
	v_cmp_gt_u32_e64 s[14:15], 32, v129
	v_cmp_gt_u32_e64 s[16:17], 24, v129
	;; [unrolled: 1-line block ×8, first 2 shown]
	v_accvgpr_write_b32 a6, v17
	v_writelane_b32 v255, s9, 20
	s_lshl_b64 s[36:37], s[82:83], 8
	s_lshl_b64 s[8:9], s[96:97], 8
	s_branch .LBB29_16
.LBB29_14:                              ;   in Loop: Header=BB29_16 Depth=1
	s_or_b64 exec, exec, s[30:31]
	s_barrier
.LBB29_15:                              ;   in Loop: Header=BB29_16 Depth=1
	v_readlane_b32 s39, v254, 1
	s_add_i32 s30, s90, s39
	s_abs_i32 s34, s30
	s_mul_hi_u32 s38, s34, s85
	s_mul_i32 s38, s38, s86
	s_sub_i32 s34, s34, s38
	s_ashr_i32 s31, s30, 31
	s_sub_i32 s38, s34, s86
	s_cmp_ge_u32 s34, s86
	s_cselect_b32 s34, s38, s34
	s_sub_i32 s38, s34, s86
	s_cmp_ge_u32 s34, s86
	s_cselect_b32 s34, s38, s34
	s_xor_b32 s34, s34, s31
	s_sub_i32 s31, s31, s34
	s_add_i32 s90, s30, s31
	v_readlane_b32 s30, v254, 12
	s_sub_i32 s34, s30, s90
	s_min_i32 s79, s39, s34
	v_readlane_b32 s31, v254, 13
	s_cmp_gt_i32 s30, s90
	s_cselect_b64 s[30:31], -1, 0
	s_cmp_le_i32 s39, s34
	s_cselect_b64 s[38:39], -1, 0
	s_and_b64 s[38:39], s[38:39], s[30:31]
	s_mov_b32 s46, 0
	s_and_b64 vcc, exec, s[38:39]
	s_cbranch_vccz .LBB29_270
.LBB29_16:                              ; =>This Loop Header: Depth=1
                                        ;     Child Loop BB29_170 Depth 2
                                        ;     Child Loop BB29_42 Depth 2
	s_ashr_i32 s30, s90, 31
	v_readlane_b32 s31, v255, 0
	s_xor_b32 s30, s30, s31
	s_abs_i32 s31, s90
	v_readlane_b32 s34, v255, 2
	s_mul_hi_u32 s34, s31, s34
	v_readlane_b32 s40, v255, 1
	s_mul_i32 s38, s34, s40
	s_sub_i32 s31, s31, s38
	s_add_i32 s38, s34, 1
	s_sub_i32 s39, s31, s40
	s_cmp_ge_u32 s31, s40
	s_cselect_b32 s34, s38, s34
	s_cselect_b32 s31, s39, s31
	s_add_i32 s38, s34, 1
	s_cmp_ge_u32 s31, s40
	s_cselect_b32 s31, s38, s34
	s_xor_b32 s31, s31, s30
	s_sub_i32 s47, s31, s30
	v_readlane_b32 s30, v254, 43
	v_readlane_b32 s31, v254, 44
	s_ashr_i32 s48, s47, 31
	s_andn2_b64 vcc, exec, s[30:31]
	s_mov_b64 s[30:31], 0
	s_cbranch_vccnz .LBB29_18
; %bb.17:                               ;   in Loop: Header=BB29_16 Depth=1
	s_abs_i32 s30, s47
	v_readlane_b32 s31, v255, 10
	s_mul_hi_u32 s31, s30, s31
	v_readlane_b32 s34, v255, 9
	s_mul_i32 s31, s31, s34
	s_sub_i32 s30, s30, s31
	s_sub_i32 s31, s30, s34
	s_cmp_ge_u32 s30, s34
	s_cselect_b32 s30, s31, s30
	s_sub_i32 s31, s30, s34
	s_cmp_ge_u32 s30, s34
	s_cselect_b32 s30, s31, s30
	s_xor_b32 s30, s30, s48
	v_readlane_b32 s40, v254, 17
	s_sub_i32 s30, s30, s48
	v_readlane_b32 s41, v254, 18
	s_ashr_i32 s31, s30, 31
	s_mul_i32 s34, s30, s41
	s_mul_hi_u32 s38, s30, s40
	s_add_i32 s34, s38, s34
	s_mul_i32 s31, s31, s40
	v_readlane_b32 s56, v254, 26
	s_add_i32 s34, s34, s31
	s_mul_i32 s30, s30, s40
	v_readlane_b32 s62, v254, 32
	v_readlane_b32 s63, v254, 33
	s_add_u32 s30, s62, s30
	s_addc_u32 s31, s63, s34
	v_readlane_b32 s57, v254, 27
	v_readlane_b32 s58, v254, 28
	;; [unrolled: 1-line block ×13, first 2 shown]
.LBB29_18:                              ;   in Loop: Header=BB29_16 Depth=1
	v_readlane_b32 s34, v254, 7
	s_mul_i32 s34, s47, s34
	s_sub_i32 s34, s90, s34
	s_ashr_i32 s38, s34, 31
	v_readlane_b32 s39, v255, 3
	s_xor_b32 s38, s38, s39
	s_abs_i32 s39, s34
	v_readlane_b32 s40, v255, 5
	s_mul_hi_u32 s40, s39, s40
	v_readlane_b32 s43, v255, 4
	s_mul_i32 s41, s40, s43
	s_sub_i32 s39, s39, s41
	s_add_i32 s41, s40, 1
	s_sub_i32 s42, s39, s43
	s_cmp_ge_u32 s39, s43
	s_cselect_b32 s40, s41, s40
	s_cselect_b32 s39, s42, s39
	s_add_i32 s41, s40, 1
	s_cmp_ge_u32 s39, s43
	s_cselect_b32 s39, s41, s40
	s_xor_b32 s39, s39, s38
	s_sub_i32 s49, s39, s38
	v_readlane_b32 s38, v254, 6
	s_mul_i32 s38, s49, s38
	s_sub_i32 s34, s34, s38
	s_ashr_i32 s38, s34, 31
	v_readlane_b32 s39, v255, 6
	s_xor_b32 s38, s38, s39
	s_abs_i32 s39, s34
	v_readlane_b32 s40, v255, 8
	s_mul_hi_u32 s40, s39, s40
	v_readlane_b32 s43, v255, 7
	s_mul_i32 s41, s40, s43
	s_sub_i32 s39, s39, s41
	s_add_i32 s41, s40, 1
	s_sub_i32 s42, s39, s43
	s_cmp_ge_u32 s39, s43
	s_cselect_b32 s40, s41, s40
	s_cselect_b32 s39, s42, s39
	s_add_i32 s41, s40, 1
	s_cmp_ge_u32 s39, s43
	s_cselect_b32 s39, s41, s40
	s_xor_b32 s39, s39, s38
	s_sub_i32 s45, s39, s38
	v_readlane_b32 s38, v254, 2
	s_mul_i32 s38, s49, s38
	s_add_i32 s44, s38, s45
	v_readlane_b32 s38, v254, 52
	v_readlane_b32 s39, v254, 53
	s_andn2_b64 vcc, exec, s[38:39]
	v_mov_b32_e32 v80, 1.0
	s_cbranch_vccnz .LBB29_20
; %bb.19:                               ;   in Loop: Header=BB29_16 Depth=1
	v_readlane_b32 s39, v254, 14
	s_sub_i32 s38, s44, s39
	s_lshl_b32 s38, s38, 1
	s_add_i32 s40, s44, 1
	s_or_b32 s41, s38, 1
	s_cmp_lt_u32 s44, s39
	v_readlane_b32 s56, v254, 48
	s_cselect_b64 vcc, -1, 0
	v_readlane_b32 s58, v254, 50
	v_readlane_b32 s59, v254, 51
	s_and_b64 s[38:39], vcc, exec
	v_mov_b32_e32 v0, s59
	v_mov_b32_e32 v1, s58
	s_cselect_b32 s38, s40, s41
	v_cndmask_b32_e32 v16, v0, v1, vcc
	v_cvt_f32_i32_e32 v0, s38
	v_cmp_neq_f32_e32 vcc, 1.0, v16
	s_mov_b32 s38, 0x3f2aaaab
	s_movk_i32 s40, 0x204
	v_cndmask_b32_e32 v17, 1.0, v0, vcc
	v_cmp_eq_f32_e32 vcc, 0, v17
	v_cndmask_b32_e64 v18, |v16|, 1.0, vcc
	v_frexp_mant_f32_e32 v0, v18
	v_cmp_gt_f32_e64 s[38:39], s38, v0
	v_cndmask_b32_e64 v1, 1.0, 2.0, s[38:39]
	v_mul_f32_e32 v0, v0, v1
	v_add_f32_e32 v3, 1.0, v0
	v_rcp_f32_e32 v8, v3
	v_add_f32_e32 v1, -1.0, v3
	v_sub_f32_e32 v5, v0, v1
	v_add_f32_e32 v1, -1.0, v0
	v_mul_f32_e32 v9, v1, v8
	v_mul_f32_e32 v2, v3, v9
	v_fma_f32 v4, v9, v3, -v2
	v_fmac_f32_e32 v4, v9, v5
	v_add_f32_e32 v0, v2, v4
	v_sub_f32_e32 v3, v1, v0
	v_pk_add_f32 v[6:7], v[0:1], v[2:3] neg_lo:[0,1] neg_hi:[0,1]
	v_mov_b32_e32 v5, v0
	v_pk_add_f32 v[0:1], v[6:7], v[4:5] neg_lo:[0,1] neg_hi:[0,1]
	v_add_f32_e32 v0, v0, v1
	v_add_f32_e32 v0, v3, v0
	v_mul_f32_e32 v1, v8, v0
	v_add_f32_e32 v0, v9, v1
	v_sub_f32_e32 v2, v0, v9
	v_sub_f32_e32 v10, v1, v2
	v_mul_f32_e32 v1, v0, v0
	v_fma_f32 v3, v0, v0, -v1
	v_add_f32_e32 v2, v10, v10
	v_fmac_f32_e32 v3, v0, v2
	v_add_f32_e32 v2, v1, v3
	v_mov_b32_e32 v4, 0x3e91f4c4
	v_fmac_f32_e32 v4, 0x3e76c4e1, v2
	v_fma_f32 v4, v2, v4, v157
	v_sub_f32_e32 v1, v2, v1
	v_sub_f32_e32 v11, v3, v1
	v_mul_f32_e32 v1, v2, v4
	v_fma_f32 v3, v2, v4, -v1
	v_fmac_f32_e32 v3, v11, v4
	v_add_f32_e32 v4, v1, v3
	v_add_f32_e32 v5, 0x3f2aaaaa, v4
	v_sub_f32_e32 v1, v4, v1
	v_sub_f32_e32 v1, v3, v1
	v_add_f32_e32 v3, 0xbf2aaaaa, v5
	v_add_f32_e32 v1, 0x31739010, v1
	v_sub_f32_e32 v3, v4, v3
	v_pk_mul_f32 v[6:7], v[0:1], v[2:3]
	v_fma_f32 v4, v2, v0, -v6
	v_pk_add_f32 v[8:9], v[0:1], v[2:3]
	v_fmac_f32_e32 v4, v2, v10
	v_mov_b32_e32 v7, v9
	v_fmac_f32_e32 v4, v11, v0
	v_pk_add_f32 v[2:3], v[6:7], v[4:5]
	v_sub_f32_e32 v1, v2, v6
	v_sub_f32_e32 v1, v4, v1
	;; [unrolled: 1-line block ×3, first 2 shown]
	v_add_f32_e32 v8, v9, v4
	v_mov_b32_e32 v4, v3
	v_pk_mul_f32 v[4:5], v[2:3], v[4:5]
	v_cvt_f64_f32_e32 v[6:7], v18
	v_frexp_exp_i32_f64_e32 v5, v[6:7]
	v_subbrev_co_u32_e64 v5, s[38:39], 0, v5, s[38:39]
	v_cvt_f32_i32_e32 v5, v5
	v_fma_f32 v6, v2, v3, -v4
	v_fmac_f32_e32 v6, v2, v8
	s_mov_b32 s38, 0x3f317218
	v_mul_f32_e32 v2, 0x3f317218, v5
	v_fmac_f32_e32 v6, v1, v3
	v_fma_f32 v8, v5, s38, -v2
	v_fmac_f32_e32 v8, 0xb102e308, v5
	v_ldexp_f32 v9, v0, 1
	v_add_f32_e32 v3, v4, v6
	v_pk_add_f32 v[0:1], v[2:3], v[8:9]
	v_ldexp_f32 v12, v10, 1
	v_mov_b32_e32 v10, v3
	v_mov_b32_e32 v11, v1
	;; [unrolled: 1-line block ×3, first 2 shown]
	v_pk_add_f32 v[4:5], v[10:11], v[4:5] neg_lo:[0,1] neg_hi:[0,1]
	v_mov_b32_e32 v7, v3
	v_pk_add_f32 v[4:5], v[6:7], v[4:5] neg_lo:[0,1] neg_hi:[0,1]
	v_add_f32_e32 v3, v12, v4
	v_add_f32_e32 v3, v3, v5
	v_pk_add_f32 v[4:5], v[0:1], v[2:3] neg_lo:[0,1] neg_hi:[0,1]
	v_pk_add_f32 v[6:7], v[0:1], v[2:3]
	v_mov_b32_e32 v10, v4
	v_mov_b32_e32 v11, v7
	;; [unrolled: 1-line block ×3, first 2 shown]
	v_pk_add_f32 v[10:11], v[8:9], v[10:11]
	v_mov_b32_e32 v2, v11
	v_pk_add_f32 v[12:13], v[2:3], v[0:1] neg_lo:[0,1] neg_hi:[0,1]
	v_mov_b32_e32 v13, v12
	v_mov_b32_e32 v10, v7
	v_mov_b32_e32 v0, v1
	v_mov_b32_e32 v1, v12
	v_pk_add_f32 v[4:5], v[8:9], v[4:5] neg_lo:[0,1] neg_hi:[0,1]
	v_pk_add_f32 v[14:15], v[6:7], v[12:13] neg_lo:[0,1] neg_hi:[0,1]
	;; [unrolled: 1-line block ×3, first 2 shown]
	v_mov_b32_e32 v8, v3
	v_pk_add_f32 v[0:1], v[8:9], v[0:1] neg_lo:[0,1] neg_hi:[0,1]
	v_mov_b32_e32 v14, v4
	v_pk_add_f32 v[6:7], v[14:15], v[0:1]
	v_mov_b32_e32 v8, v7
	v_pk_add_f32 v[8:9], v[6:7], v[8:9]
	v_pk_add_f32 v[2:3], v[2:3], v[8:9]
	v_mov_b32_e32 v5, v11
	v_mov_b32_e32 v7, v2
	v_pk_add_f32 v[10:11], v[6:7], v[4:5] neg_lo:[0,1] neg_hi:[0,1]
	v_mov_b32_e32 v1, v8
	v_sub_f32_e32 v3, v6, v10
	v_pk_add_f32 v[0:1], v[0:1], v[10:11] neg_lo:[0,1] neg_hi:[0,1]
	v_sub_f32_e32 v3, v4, v3
	v_add_f32_e32 v0, v0, v3
	v_add_f32_e32 v0, v0, v1
	;; [unrolled: 1-line block ×3, first 2 shown]
	v_sub_f32_e32 v2, v1, v2
	v_sub_f32_e32 v0, v0, v2
	v_mul_f32_e32 v2, v17, v1
	v_fma_f32 v1, v17, v1, -v2
	v_fmac_f32_e32 v1, v17, v0
	v_add_f32_e32 v0, v2, v1
	v_cmp_class_f32_e64 s[38:39], v2, s40
	v_sub_f32_e32 v3, v0, v2
	v_cndmask_b32_e64 v0, v0, v2, s[38:39]
	v_cmp_eq_f32_e64 s[38:39], s81, v0
	v_cndmask_b32_e64 v2, 0, v159, s[38:39]
	v_sub_f32_e32 v1, v1, v3
	v_sub_f32_e32 v3, v0, v2
	v_mul_f32_e32 v4, 0x3fb8aa3b, v3
	v_fma_f32 v5, v3, s87, -v4
	v_rndne_f32_e32 v6, v4
	v_fmac_f32_e32 v5, 0x32a5705f, v3
	v_sub_f32_e32 v4, v4, v6
	v_add_f32_e32 v4, v4, v5
	v_exp_f32_e32 v4, v4
	v_cvt_i32_f32_e32 v5, v6
	s_mov_b32 s41, 0x7f800000
	v_cmp_neq_f32_e64 s[38:39], |v0|, s41
	v_cndmask_b32_e64 v0, 0, v1, s[38:39]
	v_ldexp_f32 v1, v4, v5
	v_cmp_ngt_f32_e64 s[38:39], s94, v3
	v_cndmask_b32_e64 v1, 0, v1, s[38:39]
	v_cmp_nlt_f32_e64 s[38:39], s81, v3
	v_add_f32_e32 v0, v2, v0
	v_cndmask_b32_e64 v1, v183, v1, s[38:39]
	v_fma_f32 v0, v1, v0, v1
	v_cmp_class_f32_e64 s[38:39], v1, s40
	v_trunc_f32_e32 v2, v17
	v_cndmask_b32_e64 v0, v0, v1, s[38:39]
	v_cndmask_b32_e64 v1, v16, 1.0, vcc
	v_cmp_eq_f32_e32 vcc, v2, v17
	v_mul_f32_e32 v2, 0.5, v17
	v_trunc_f32_e32 v3, v2
	v_cmp_neq_f32_e64 s[38:39], v3, v2
	s_and_b64 s[38:39], vcc, s[38:39]
	v_cndmask_b32_e64 v2, 1.0, v1, s[38:39]
	s_brev_b32 s50, -2
	v_bfi_b32 v0, s50, v0, v2
	v_cndmask_b32_e32 v2, v178, v0, vcc
	v_cmp_gt_f32_e32 vcc, 0, v1
	v_cndmask_b32_e32 v0, v0, v2, vcc
	v_cmp_eq_f32_e32 vcc, s41, v18
	v_cmp_eq_f32_e64 s[40:41], 0, v1
	v_cmp_gt_f32_e64 s[42:43], 0, v17
	s_xor_b64 s[42:43], s[42:43], s[40:41]
	v_cndmask_b32_e64 v2, v183, 0, s[42:43]
	v_cndmask_b32_e64 v3, 0, v1, s[38:39]
	v_bfi_b32 v2, s50, v2, v3
	s_or_b64 vcc, vcc, s[40:41]
	v_cndmask_b32_e32 v0, v0, v2, vcc
	v_cmp_o_f32_e32 vcc, v1, v1
	v_cndmask_b32_e32 v80, v178, v0, vcc
	v_readlane_b32 s57, v254, 49
.LBB29_20:                              ;   in Loop: Header=BB29_16 Depth=1
	v_readlane_b32 s38, v254, 3
	s_mul_i32 s45, s45, s38
	s_sub_i32 s34, s34, s45
	s_ashr_i32 s38, s34, 31
	v_readlane_b32 s39, v254, 25
	s_abs_i32 s34, s34
	s_xor_b32 s38, s38, s39
	s_mul_hi_u32 s39, s34, s85
	s_mul_i32 s40, s39, s86
	s_sub_i32 s34, s34, s40
	s_add_i32 s40, s39, 1
	s_sub_i32 s41, s34, s86
	s_cmp_ge_u32 s34, s86
	s_cselect_b32 s39, s40, s39
	s_cselect_b32 s34, s41, s34
	s_add_i32 s40, s39, 1
	s_cmp_ge_u32 s34, s86
	s_cselect_b32 s34, s40, s39
	v_readlane_b32 s40, v254, 54
	s_xor_b32 s34, s34, s38
	v_readlane_b32 s41, v254, 55
	s_andn2_b64 vcc, exec, s[40:41]
	s_sub_i32 s77, s34, s38
	s_cbranch_vccnz .LBB29_22
; %bb.21:                               ;   in Loop: Header=BB29_16 Depth=1
	v_readlane_b32 s34, v254, 0
	s_mul_i32 s34, s47, s34
	s_add_i32 s38, s77, s34
	s_ashr_i32 s39, s38, 31
	v_readlane_b32 s56, v254, 26
	s_lshl_b64 s[38:39], s[38:39], 2
	v_readlane_b32 s66, v254, 36
	v_readlane_b32 s67, v254, 37
	s_add_u32 s38, s66, s38
	s_addc_u32 s39, s67, s39
	global_load_dword v0, v237, s[38:39]
	v_readlane_b32 s57, v254, 27
	v_readlane_b32 s58, v254, 28
	;; [unrolled: 1-line block ×13, first 2 shown]
	s_waitcnt vmcnt(0)
	v_readfirstlane_b32 s34, v0
	s_ashr_i32 s38, s34, 31
	s_lshr_b32 s38, s38, 26
	s_add_i32 s34, s34, s38
	s_ashr_i32 s34, s34, 6
	s_min_i32 s79, s79, s34
	s_branch .LBB29_23
.LBB29_22:                              ;   in Loop: Header=BB29_16 Depth=1
	v_readlane_b32 s56, v254, 26
	v_readlane_b32 s57, v254, 27
	;; [unrolled: 1-line block ×16, first 2 shown]
.LBB29_23:                              ;   in Loop: Header=BB29_16 Depth=1
	v_readlane_b32 s34, v254, 45
	s_mul_i32 s34, s34, s47
	s_add_i32 s34, s44, s34
	s_lshl_b32 s34, s34, 7
	s_lshl_b64 s[38:39], s[34:35], 3
	v_readlane_b32 s40, v254, 15
	s_add_u32 s34, s68, s38
	v_readlane_b32 s41, v254, 16
	v_writelane_b32 v255, s34, 21
	s_mul_i32 s34, s47, s41
	s_mul_hi_u32 s38, s47, s40
	s_addc_u32 s78, s69, s39
	s_add_i32 s34, s38, s34
	s_mul_i32 s38, s48, s40
	s_mul_i32 s70, s47, s40
	v_readlane_b32 s40, v254, 21
	s_add_i32 s67, s34, s38
	v_readlane_b32 s43, v254, 24
	s_add_u32 s34, s60, s70
	s_mul_i32 s72, s49, s43
	s_addc_u32 s38, s61, s67
	s_ashr_i32 s73, s72, 31
	s_add_u32 s91, s34, s72
	s_addc_u32 s98, s38, s73
	s_ashr_i32 s45, s44, 31
	s_lshl_b64 s[38:39], s[44:45], 2
	v_readlane_b32 s41, v254, 22
	s_add_u32 s34, s64, s38
	s_mov_b64 s[60:61], s[40:41]
	s_addc_u32 s40, s65, s39
	v_readlane_b32 s38, v254, 46
	v_readlane_b32 s39, v254, 47
	s_and_b64 s[38:39], s[38:39], exec
	s_cselect_b32 s89, 0, s40
	v_readlane_b32 s40, v254, 8
	v_readlane_b32 s41, v254, 9
	s_cselect_b32 s88, 0, s34
	s_mul_i32 s34, s47, s41
	s_ashr_i32 s38, s34, 31
	s_add_u32 s34, s56, s34
	s_mul_i32 s39, s44, s40
	s_addc_u32 s38, s57, s38
	s_ashr_i32 s40, s39, 31
	s_add_u32 s74, s34, s39
	s_addc_u32 s75, s38, s40
	s_mul_i32 s34, s47, s61
	s_mul_hi_u32 s38, s47, s60
	s_add_i32 s34, s38, s34
	s_mul_i32 s48, s48, s60
	v_readlane_b32 s40, v254, 19
	s_add_i32 s34, s34, s48
	s_mul_i32 s66, s47, s60
	v_readlane_b32 s41, v254, 20
	s_add_u32 s38, s58, s66
	s_mul_i32 s68, s49, s41
	s_addc_u32 s39, s59, s34
	s_ashr_i32 s69, s68, 31
	s_add_u32 s80, s38, s68
	s_addc_u32 s64, s39, s69
	s_cmp_lg_u32 s46, 0
	v_readlane_b32 s42, v254, 23
	s_cbranch_scc0 .LBB29_50
; %bb.24:                               ;   in Loop: Header=BB29_16 Depth=1
	s_lshl_b32 s76, s77, 4
	v_add_u32_e32 v1, s76, v115
	v_readlane_b32 s40, v254, 59
	v_cmp_le_i32_e32 vcc, s40, v1
	v_readlane_b32 s41, v254, 60
	v_readlane_b32 s42, v254, 61
	;; [unrolled: 1-line block ×3, first 2 shown]
	s_and_saveexec_b64 s[38:39], vcc
	s_xor_b64 s[38:39], exec, s[38:39]
	s_cbranch_execz .LBB29_26
; %bb.25:                               ;   in Loop: Header=BB29_16 Depth=1
	ds_write2st64_b32 v155, v237, v237 offset1:1
.LBB29_26:                              ;   in Loop: Header=BB29_16 Depth=1
	s_andn2_saveexec_b64 s[38:39], s[38:39]
	s_cbranch_execz .LBB29_28
; %bb.27:                               ;   in Loop: Header=BB29_16 Depth=1
	v_mad_u64_u32 v[2:3], s[40:41], v1, s84, v[38:39]
	v_ashrrev_i32_e32 v3, 31, v2
	v_lshlrev_b64 v[2:3], 3, v[2:3]
	v_add_co_u32_e32 v2, vcc, s74, v2
	v_mov_b32_e32 v0, s75
	v_addc_co_u32_e32 v3, vcc, v0, v3, vcc
	global_load_dwordx2 v[4:5], v[2:3], off
	s_waitcnt vmcnt(0)
	v_cvt_f16_f32_e32 v0, v4
	global_load_dwordx2 v[2:3], v[2:3], off offset:512
	v_cvt_f16_f32_e32 v4, v5
	v_pack_b32_f16 v0, v0, v4
	v_pk_mul_f16 v0, v123, v0
	s_waitcnt vmcnt(0)
	v_cvt_f16_f32_e32 v2, v2
	v_cvt_f16_f32_e32 v3, v3
	v_pack_b32_f16 v2, v2, v3
	v_pk_mul_f16 v2, v123, v2
	ds_write2st64_b32 v155, v0, v2 offset1:1
.LBB29_28:                              ;   in Loop: Header=BB29_16 Depth=1
	s_or_b64 exec, exec, s[38:39]
	v_add_u32_e32 v39, s76, v126
	v_readlane_b32 s40, v254, 59
	v_cmp_le_i32_e32 vcc, s40, v39
	v_readlane_b32 s41, v254, 60
	v_readlane_b32 s42, v254, 61
	v_readlane_b32 s43, v254, 62
	s_and_saveexec_b64 s[38:39], vcc
	s_xor_b64 s[38:39], exec, s[38:39]
	s_cbranch_execz .LBB29_30
; %bb.29:                               ;   in Loop: Header=BB29_16 Depth=1
	v_add_u32_e32 v0, 64, v155
	ds_write2st64_b32 v0, v237, v237 offset0:8 offset1:9
.LBB29_30:                              ;   in Loop: Header=BB29_16 Depth=1
	s_andn2_saveexec_b64 s[38:39], s[38:39]
	s_cbranch_execz .LBB29_32
; %bb.31:                               ;   in Loop: Header=BB29_16 Depth=1
	v_mad_u64_u32 v[2:3], s[40:41], v39, s84, v[38:39]
	v_ashrrev_i32_e32 v3, 31, v2
	v_lshlrev_b64 v[2:3], 3, v[2:3]
	v_add_co_u32_e32 v2, vcc, s74, v2
	v_mov_b32_e32 v0, s75
	v_addc_co_u32_e32 v3, vcc, v0, v3, vcc
	global_load_dwordx2 v[4:5], v[2:3], off
	s_waitcnt vmcnt(0)
	v_cvt_f16_f32_e32 v0, v4
	global_load_dwordx2 v[2:3], v[2:3], off offset:512
	v_cvt_f16_f32_e32 v4, v5
	v_pack_b32_f16 v0, v0, v4
	v_pk_mul_f16 v0, v123, v0
	s_waitcnt vmcnt(0)
	v_cvt_f16_f32_e32 v2, v2
	v_cvt_f16_f32_e32 v3, v3
	v_pack_b32_f16 v2, v2, v3
	v_pk_mul_f16 v2, v123, v2
	v_add_u32_e32 v3, 64, v155
	ds_write2st64_b32 v3, v0, v2 offset0:8 offset1:9
.LBB29_32:                              ;   in Loop: Header=BB29_16 Depth=1
	s_or_b64 exec, exec, s[38:39]
	v_add_u32_e32 v41, s76, v125
	v_readlane_b32 s40, v254, 59
	v_cmp_le_i32_e32 vcc, s40, v41
	v_readlane_b32 s41, v254, 60
	v_readlane_b32 s42, v254, 61
	v_readlane_b32 s43, v254, 62
	s_and_saveexec_b64 s[38:39], vcc
	s_xor_b64 s[38:39], exec, s[38:39]
	s_cbranch_execz .LBB29_34
; %bb.33:                               ;   in Loop: Header=BB29_16 Depth=1
	v_add_u32_e32 v0, 0x80, v155
	ds_write2st64_b32 v0, v237, v237 offset0:16 offset1:17
.LBB29_34:                              ;   in Loop: Header=BB29_16 Depth=1
	s_andn2_saveexec_b64 s[38:39], s[38:39]
	s_cbranch_execz .LBB29_36
; %bb.35:                               ;   in Loop: Header=BB29_16 Depth=1
	v_mad_u64_u32 v[2:3], s[40:41], v41, s84, v[38:39]
	v_ashrrev_i32_e32 v3, 31, v2
	v_lshlrev_b64 v[2:3], 3, v[2:3]
	v_add_co_u32_e32 v2, vcc, s74, v2
	v_mov_b32_e32 v0, s75
	v_addc_co_u32_e32 v3, vcc, v0, v3, vcc
	global_load_dwordx2 v[4:5], v[2:3], off
	s_waitcnt vmcnt(0)
	v_cvt_f16_f32_e32 v0, v4
	global_load_dwordx2 v[2:3], v[2:3], off offset:512
	v_cvt_f16_f32_e32 v4, v5
	v_pack_b32_f16 v0, v0, v4
	v_pk_mul_f16 v0, v123, v0
	s_waitcnt vmcnt(0)
	v_cvt_f16_f32_e32 v2, v2
	v_cvt_f16_f32_e32 v3, v3
	v_pack_b32_f16 v2, v2, v3
	v_pk_mul_f16 v2, v123, v2
	v_add_u32_e32 v3, 0x80, v155
	ds_write2st64_b32 v3, v0, v2 offset0:16 offset1:17
.LBB29_36:                              ;   in Loop: Header=BB29_16 Depth=1
	;; [unrolled: 38-line block ×3, first 2 shown]
	s_or_b64 exec, exec, s[38:39]
	s_waitcnt lgkmcnt(0)
	s_barrier
	ds_read2_b64 v[30:33], v127 offset1:4
	ds_read2_b64 v[26:29], v127 offset0:8 offset1:12
	ds_read2_b64 v[22:25], v127 offset0:16 offset1:20
	;; [unrolled: 1-line block ×7, first 2 shown]
	s_add_i32 s47, s79, -1
	s_cmp_le_i32 s47, s46
	v_mov_b32_e32 v93, 0
	s_waitcnt lgkmcnt(0)
	s_barrier
	s_cbranch_scc1 .LBB29_51
; %bb.41:                               ;   in Loop: Header=BB29_16 Depth=1
	v_lshlrev_b32_e32 v0, 1, v38
	v_readlane_b32 s42, v254, 10
	v_add_co_u32_e32 v79, vcc, s30, v0
	v_mul_hi_u32 v0, s42, v1
	v_readlane_b32 s43, v254, 11
	v_add_u32_e32 v0, v1, v0
	v_readlane_b32 s48, v254, 59
	v_lshrrev_b32_e32 v0, s43, v0
	s_mov_b32 s44, s48
	v_mul_lo_u32 v0, v0, s44
	v_readlane_b32 s38, v255, 17
	v_mov_b32_e32 v34, s31
	v_sub_u32_e32 v0, v1, v0
	v_readlane_b32 s39, v255, 18
	s_mov_b32 s48, s38
	v_addc_co_u32_e32 v92, vcc, 0, v34, vcc
	v_mad_i64_i32 v[34:35], s[38:39], v0, s48, 0
	v_mul_hi_u32 v0, s42, v39
	v_add_u32_e32 v0, v39, v0
	v_lshrrev_b32_e32 v0, s43, v0
	v_mul_lo_u32 v0, v0, s44
	v_sub_u32_e32 v0, v39, v0
	v_mad_i64_i32 v[36:37], s[38:39], v0, s48, 0
	v_mul_hi_u32 v0, s42, v41
	v_add_u32_e32 v0, v41, v0
	v_lshrrev_b32_e32 v0, s43, v0
	v_mul_lo_u32 v0, v0, s44
	v_sub_u32_e32 v0, v41, v0
	;; [unrolled: 6-line block ×3, first 2 shown]
	v_mad_i64_i32 v[90:91], s[38:39], v0, s48, 0
	v_and_b32_e32 v0, 64, v236
	v_add_u32_e32 v0, 64, v0
	v_xor_b32_e32 v40, 32, v236
	v_cmp_lt_i32_e32 vcc, v40, v0
	v_cndmask_b32_e32 v40, v236, v40, vcc
	v_lshlrev_b32_e32 v97, 2, v40
	v_xor_b32_e32 v40, 16, v236
	v_cmp_lt_i32_e32 vcc, v40, v0
	s_cmp_lg_u64 s[30:31], 0
	v_cndmask_b32_e32 v0, v236, v40, vcc
	s_cselect_b64 s[40:41], -1, 0
	v_mov_b32_e32 v117, 0
	v_lshlrev_b32_e32 v98, 2, v0
	v_mov_b32_e32 v82, v80
	v_mov_b32_e32 v83, v80
	s_lshl_b32 s42, s46, 6
	v_mov_b32_e32 v0, 0
	v_mov_b32_e32 v44, 0xfeffffff
	v_lshlrev_b64 v[84:85], 1, v[34:35]
	v_lshlrev_b64 v[86:87], 1, v[36:37]
	;; [unrolled: 1-line block ×4, first 2 shown]
	v_mov_b32_e32 v119, 0
	v_mov_b32_e32 v143, 0
	;; [unrolled: 1-line block ×31, first 2 shown]
	v_readlane_b32 s49, v254, 60
	v_readlane_b32 s50, v254, 61
	;; [unrolled: 1-line block ×3, first 2 shown]
.LBB29_42:                              ;   Parent Loop BB29_16 Depth=1
                                        ; =>  This Inner Loop Header: Depth=2
	v_cndmask_b32_e64 v34, 0, 1, s[40:41]
	v_cmp_ne_u32_e64 s[38:39], 1, v34
	s_andn2_b64 vcc, exec, s[40:41]
	s_ashr_i32 s43, s42, 31
	s_cbranch_vccnz .LBB29_46
; %bb.43:                               ;   in Loop: Header=BB29_42 Depth=2
	v_mov_b32_e32 v34, 0
	v_mov_b32_e32 v35, 0
	;; [unrolled: 1-line block ×4, first 2 shown]
	s_and_saveexec_b64 s[44:45], s[4:5]
	s_cbranch_execz .LBB29_45
; %bb.44:                               ;   in Loop: Header=BB29_42 Depth=2
	s_lshl_b64 s[48:49], s[42:43], 1
	v_add_co_u32_e32 v40, vcc, s48, v79
	v_mov_b32_e32 v34, s49
	v_addc_co_u32_e32 v45, vcc, v92, v34, vcc
	v_add_co_u32_e32 v34, vcc, v40, v84
	v_addc_co_u32_e32 v35, vcc, v45, v85, vcc
	v_add_co_u32_e32 v36, vcc, v40, v86
	v_addc_co_u32_e32 v37, vcc, v45, v87, vcc
	flat_load_ushort v34, v[34:35]
	s_nop 0
	flat_load_ushort v35, v[36:37]
	v_add_co_u32_e32 v36, vcc, v40, v88
	v_addc_co_u32_e32 v37, vcc, v45, v89, vcc
	v_add_co_u32_e32 v144, vcc, v40, v90
	v_addc_co_u32_e32 v145, vcc, v45, v91, vcc
	flat_load_ushort v36, v[36:37]
	s_nop 0
	flat_load_ushort v37, v[144:145]
.LBB29_45:                              ;   in Loop: Header=BB29_42 Depth=2
	s_or_b64 exec, exec, s[44:45]
	s_waitcnt vmcnt(0) lgkmcnt(0)
	ds_write_b16 v128, v34 offset:33792
	ds_write_b16 v238, v35 offset:33792
	;; [unrolled: 1-line block ×4, first 2 shown]
.LBB29_46:                              ;   in Loop: Header=BB29_42 Depth=2
	s_mul_hi_i32 s45, s42, s96
	s_mul_i32 s44, s42, s96
	s_lshl_b64 s[44:45], s[44:45], 2
	s_add_u32 s44, s80, s44
	s_addc_u32 s43, s64, s45
	v_add_co_u32_e32 v34, vcc, s44, v62
	v_mov_b32_e32 v35, s43
	v_addc_co_u32_e32 v35, vcc, v35, v63, vcc
	v_lshlrev_b32_e32 v40, 2, v42
	v_add_co_u32_e32 v34, vcc, v34, v40
	v_addc_co_u32_e32 v35, vcc, 0, v35, vcc
	v_mov_b32_e32 v45, s93
	v_mov_b32_e32 v81, s92
	buffer_store_dword v237, off, s[0:3], 0
	buffer_store_dword v237, off, s[0:3], 0 offset:4
	buffer_store_dword v237, off, s[0:3], 0 offset:8
	;; [unrolled: 1-line block ×3, first 2 shown]
	v_cndmask_b32_e64 v35, v45, v35, s[6:7]
	v_cndmask_b32_e64 v34, v81, v34, s[6:7]
	flat_load_dwordx4 v[34:37], v[34:35]
	s_waitcnt vmcnt(0) lgkmcnt(0)
	ds_write_b128 v130, v[34:37]
	v_add_co_u32_e32 v34, vcc, s44, v64
	v_mov_b32_e32 v35, s43
	v_addc_co_u32_e32 v35, vcc, v35, v65, vcc
	v_add_co_u32_e32 v34, vcc, v34, v40
	v_addc_co_u32_e32 v35, vcc, 0, v35, vcc
	v_cndmask_b32_e64 v35, v45, v35, s[54:55]
	v_cndmask_b32_e64 v34, v81, v34, s[54:55]
	flat_load_dwordx4 v[34:37], v[34:35]
	s_waitcnt vmcnt(0) lgkmcnt(0)
	ds_write_b128 v242, v[34:37]
	v_add_co_u32_e32 v34, vcc, s44, v66
	v_mov_b32_e32 v35, s43
	v_addc_co_u32_e32 v35, vcc, v35, v67, vcc
	v_add_co_u32_e32 v34, vcc, v34, v40
	v_addc_co_u32_e32 v35, vcc, 0, v35, vcc
	;; [unrolled: 10-line block ×7, first 2 shown]
	v_cndmask_b32_e64 v35, v45, v35, s[20:21]
	v_cndmask_b32_e64 v34, v81, v34, s[20:21]
	flat_load_dwordx4 v[34:37], v[34:35]
	s_and_b64 vcc, exec, s[38:39]
	s_waitcnt vmcnt(0) lgkmcnt(0)
	ds_write_b128 v201, v[34:37]
	s_waitcnt lgkmcnt(0)
	s_barrier
	ds_read2_b64 v[34:37], v131 offset1:4
	s_waitcnt lgkmcnt(0)
	v_mfma_f32_16x16x16f16 a[0:3], v[34:35], v[30:31], 0
	v_mfma_f32_16x16x16f16 a[0:3], v[36:37], v[32:33], a[0:3]
	ds_read2_b64 v[34:37], v131 offset0:8 offset1:12
	s_waitcnt lgkmcnt(0)
	v_mfma_f32_16x16x16f16 a[0:3], v[34:35], v[26:27], a[0:3]
	v_mfma_f32_16x16x16f16 a[0:3], v[36:37], v[28:29], a[0:3]
	ds_read2_b64 v[34:37], v131 offset0:16 offset1:20
	s_waitcnt lgkmcnt(0)
	v_mfma_f32_16x16x16f16 a[0:3], v[34:35], v[22:23], a[0:3]
	v_mfma_f32_16x16x16f16 a[0:3], v[36:37], v[24:25], a[0:3]
	ds_read2_b64 v[34:37], v131 offset0:24 offset1:28
	s_waitcnt lgkmcnt(0)
	v_mfma_f32_16x16x16f16 a[0:3], v[34:35], v[18:19], a[0:3]
	v_mfma_f32_16x16x16f16 a[0:3], v[36:37], v[20:21], a[0:3]
	ds_read2_b64 v[34:37], v131 offset0:32 offset1:36
	s_waitcnt lgkmcnt(0)
	v_mfma_f32_16x16x16f16 a[0:3], v[34:35], v[14:15], a[0:3]
	v_mfma_f32_16x16x16f16 a[0:3], v[36:37], v[16:17], a[0:3]
	ds_read2_b64 v[34:37], v131 offset0:40 offset1:44
	s_waitcnt lgkmcnt(0)
	v_mfma_f32_16x16x16f16 a[0:3], v[34:35], v[10:11], a[0:3]
	v_mfma_f32_16x16x16f16 a[0:3], v[36:37], v[12:13], a[0:3]
	ds_read2_b64 v[34:37], v131 offset0:48 offset1:52
	s_waitcnt lgkmcnt(0)
	v_mfma_f32_16x16x16f16 a[0:3], v[34:35], v[6:7], a[0:3]
	v_mfma_f32_16x16x16f16 a[0:3], v[36:37], v[8:9], a[0:3]
	ds_read2_b64 v[34:37], v131 offset0:56 offset1:60
	s_waitcnt lgkmcnt(0)
	s_barrier
	v_mfma_f32_16x16x16f16 a[0:3], v[34:35], v[2:3], a[0:3]
	v_mfma_f32_16x16x16f16 a[0:3], v[36:37], v[4:5], a[0:3]
	s_cbranch_vccnz .LBB29_48
; %bb.47:                               ;   in Loop: Header=BB29_42 Depth=2
	v_add_u32_e32 v45, 0x8400, v133
	ds_read2_b32 v[144:145], v45 offset1:1
	s_nop 7
	v_accvgpr_read_b32 v37, a3
	v_accvgpr_read_b32 v36, a2
	;; [unrolled: 1-line block ×4, first 2 shown]
	s_waitcnt lgkmcnt(0)
	v_cvt_f32_f16_e32 v146, v144
	v_cvt_f32_f16_e32 v148, v145
	v_cvt_f32_f16_sdwa v149, v145 dst_sel:DWORD dst_unused:UNUSED_PAD src0_sel:WORD_1
	v_cvt_f32_f16_sdwa v147, v144 dst_sel:DWORD dst_unused:UNUSED_PAD src0_sel:WORD_1
	v_mov_b32_e32 v81, v80
	v_pk_fma_f32 v[36:37], v[80:81], v[148:149], v[36:37]
	v_pk_fma_f32 v[34:35], v[82:83], v[146:147], v[34:35]
	v_accvgpr_write_b32 a0, v34
	v_accvgpr_write_b32 a1, v35
	;; [unrolled: 1-line block ×4, first 2 shown]
.LBB29_48:                              ;   in Loop: Header=BB29_42 Depth=2
	s_nop 7
	s_nop 1
	v_accvgpr_read_b32 v147, a3
	v_accvgpr_read_b32 v144, a0
	v_add_f32_e32 v34, 0x40051340, v144
	v_max_f32_e32 v35, v44, v44
	v_max_f32_e32 v34, v35, v34
	v_accvgpr_read_b32 v145, a1
	v_cndmask_b32_e64 v34, v44, v34, s[22:23]
	v_add_f32_e32 v35, 0x40051340, v145
	v_max_f32_e32 v36, v34, v34
	v_max_f32_e32 v35, v36, v35
	v_accvgpr_read_b32 v146, a2
	v_cndmask_b32_e64 v34, v34, v35, s[24:25]
	v_add_f32_e32 v35, 0x40051340, v146
	v_max_f32_e32 v36, v34, v34
	v_max_f32_e32 v35, v36, v35
	v_cndmask_b32_e64 v34, v34, v35, s[26:27]
	v_add_f32_e32 v35, 0x40051340, v147
	v_max_f32_e32 v36, v34, v34
	v_max_f32_e32 v35, v36, v35
	v_cndmask_b32_e64 v34, v34, v35, s[28:29]
	ds_bpermute_b32 v35, v97, v34
	v_max_f32_e32 v34, v34, v34
	v_cndmask_b32_e64 v138, v146, v146, s[24:25]
	s_mul_hi_i32 s39, s42, s82
	s_mul_i32 s38, s42, s82
	s_waitcnt lgkmcnt(0)
	v_max_f32_e32 v35, v35, v35
	v_max_f32_e32 v34, v34, v35
	ds_bpermute_b32 v35, v98, v34
	s_lshl_b64 s[38:39], s[38:39], 2
	s_add_u32 s38, s91, s38
	s_addc_u32 s39, s98, s39
	buffer_store_dword v237, off, s[0:3], 0
	buffer_store_dword v237, off, s[0:3], 0 offset:4
	buffer_store_dword v237, off, s[0:3], 0 offset:8
	;; [unrolled: 1-line block ×3, first 2 shown]
	s_waitcnt lgkmcnt(0)
	v_max_f32_e32 v35, v35, v35
	v_max_f32_e32 v36, v34, v35
	v_sub_f32_e32 v34, v144, v36
	v_mul_f32_e32 v35, 0x3fb8aa3b, v34
	v_fma_f32 v37, v34, s87, -v35
	v_rndne_f32_e32 v45, v35
	v_fmac_f32_e32 v37, 0x32a5705f, v34
	v_sub_f32_e32 v35, v35, v45
	v_add_f32_e32 v35, v35, v37
	v_exp_f32_e32 v35, v35
	v_cvt_i32_f32_e32 v37, v45
	v_cmp_ngt_f32_e32 vcc, s94, v34
	v_sub_f32_e32 v44, v44, v36
	s_add_i32 s46, s46, 1
	v_ldexp_f32 v35, v35, v37
	v_cndmask_b32_e32 v35, 0, v35, vcc
	v_cmp_nlt_f32_e32 vcc, s81, v34
	v_cndmask_b32_e32 v34, v183, v35, vcc
	v_sub_f32_e32 v35, v145, v36
	v_mul_f32_e32 v37, 0x3fb8aa3b, v35
	v_fma_f32 v45, v35, s87, -v37
	v_rndne_f32_e32 v81, v37
	v_fmac_f32_e32 v45, 0x32a5705f, v35
	v_sub_f32_e32 v37, v37, v81
	v_add_f32_e32 v37, v37, v45
	v_exp_f32_e32 v37, v37
	v_cvt_i32_f32_e32 v45, v81
	v_cmp_ngt_f32_e32 vcc, s94, v35
	v_cndmask_b32_e64 v34, 0, v34, s[22:23]
	v_cndmask_b32_e64 v81, v147, v147, s[24:25]
	v_ldexp_f32 v37, v37, v45
	v_cndmask_b32_e32 v37, 0, v37, vcc
	v_cmp_nlt_f32_e32 vcc, s81, v35
	v_cndmask_b32_e32 v37, v183, v37, vcc
	v_mov_b32_e32 v35, s35
	v_add_f32_e32 v45, v37, v34
	v_cndmask_b32_e64 v144, v35, v37, s[24:25]
	v_sub_f32_e32 v37, v138, v36
	v_cndmask_b32_e64 v35, v34, v45, s[24:25]
	v_mul_f32_e32 v45, 0x3fb8aa3b, v37
	v_fma_f32 v138, v37, s87, -v45
	v_rndne_f32_e32 v145, v45
	v_fmac_f32_e32 v138, 0x32a5705f, v37
	v_sub_f32_e32 v45, v45, v145
	v_add_f32_e32 v45, v45, v138
	v_exp_f32_e32 v45, v45
	v_cvt_i32_f32_e32 v138, v145
	v_cmp_ngt_f32_e32 vcc, s94, v37
	v_cvt_f16_f32_e32 v34, v34
	s_add_i32 s42, s42, 64
	v_ldexp_f32 v45, v45, v138
	v_cndmask_b32_e32 v45, 0, v45, vcc
	v_cmp_nlt_f32_e32 vcc, s81, v37
	v_cndmask_b32_e32 v37, v183, v45, vcc
	v_add_f32_e32 v45, v35, v37
	v_mov_b32_e32 v138, s35
	v_cndmask_b32_e64 v138, v138, v37, s[26:27]
	v_cndmask_b32_e64 v37, v35, v45, s[26:27]
	v_sub_f32_e32 v35, v81, v36
	v_mul_f32_e32 v45, 0x3fb8aa3b, v35
	v_fma_f32 v81, v35, s87, -v45
	v_rndne_f32_e32 v145, v45
	v_fmac_f32_e32 v81, 0x32a5705f, v35
	v_sub_f32_e32 v45, v45, v145
	v_add_f32_e32 v45, v45, v81
	v_exp_f32_e32 v45, v45
	v_cvt_i32_f32_e32 v81, v145
	v_cmp_ngt_f32_e32 vcc, s94, v35
	s_cmp_lt_i32 s46, s47
	v_ldexp_f32 v45, v45, v81
	v_cndmask_b32_e32 v45, 0, v45, vcc
	v_cmp_nlt_f32_e32 vcc, s81, v35
	v_cndmask_b32_e32 v45, v183, v45, vcc
	v_mov_b32_e32 v35, s35
	v_add_f32_e32 v81, v37, v45
	v_cndmask_b32_e64 v35, v35, v45, s[28:29]
	v_mul_f32_e32 v45, 0x3fb8aa3b, v44
	v_cndmask_b32_e64 v37, v37, v81, s[28:29]
	v_fma_f32 v81, v44, s87, -v45
	v_rndne_f32_e32 v145, v45
	v_fmac_f32_e32 v81, 0x32a5705f, v44
	v_sub_f32_e32 v45, v45, v145
	v_add_f32_e32 v45, v45, v81
	v_exp_f32_e32 v45, v45
	v_cvt_i32_f32_e32 v81, v145
	v_cmp_ngt_f32_e32 vcc, s94, v44
	v_cvt_f16_f32_e32 v35, v35
	v_ldexp_f32 v45, v45, v81
	v_cndmask_b32_e32 v45, 0, v45, vcc
	v_cmp_nlt_f32_e32 vcc, s81, v44
	v_cndmask_b32_e32 v45, v183, v45, vcc
	v_cmp_le_f32_e32 vcc, s95, v44
	v_cndmask_b32_e32 v44, 0, v45, vcc
	v_cvt_f16_f32_e32 v81, v44
	v_fmac_f32_e32 v37, v0, v44
	v_pk_mul_f16 v44, v81, v99 op_sel_hi:[0,1]
	v_cvt_f16_f32_e32 v99, v144
	v_pk_mul_f16 v45, v81, v100 op_sel_hi:[0,1]
	v_mov_b32_e32 v100, s39
	v_pk_mul_f16 v0, v81, v103 op_sel_hi:[0,1]
	v_pack_b32_f16 v34, v34, v99
	v_cvt_f16_f32_e32 v99, v138
	v_mov_b32_e32 v103, s93
	v_pk_mul_f16 v94, v81, v94 op_sel_hi:[0,1]
	v_pk_mul_f16 v93, v81, v93 op_sel_hi:[0,1]
	v_pack_b32_f16 v35, v99, v35
	v_add_co_u32_e32 v99, vcc, s38, v46
	v_addc_co_u32_e32 v100, vcc, v100, v47, vcc
	v_add_co_u32_e32 v99, vcc, v99, v40
	v_addc_co_u32_e32 v100, vcc, 0, v100, vcc
	v_cndmask_b32_e64 v145, v103, v100, s[6:7]
	v_mov_b32_e32 v100, s92
	v_cndmask_b32_e64 v144, v100, v99, s[6:7]
	flat_load_dwordx4 v[144:147], v[144:145]
	v_pk_mul_f16 v96, v81, v96 op_sel_hi:[0,1]
	v_pk_mul_f16 v95, v81, v95 op_sel_hi:[0,1]
	;; [unrolled: 1-line block ×27, first 2 shown]
	v_add_co_u32_e32 v99, vcc, s38, v48
	v_mov_b32_e32 v119, s39
	v_addc_co_u32_e32 v119, vcc, v119, v49, vcc
	v_add_co_u32_e32 v99, vcc, v99, v40
	v_addc_co_u32_e32 v119, vcc, 0, v119, vcc
	s_waitcnt vmcnt(0) lgkmcnt(0)
	ds_write_b128 v130, v[144:147]
	v_cndmask_b32_e64 v145, v103, v119, s[54:55]
	v_cndmask_b32_e64 v144, v100, v99, s[54:55]
	flat_load_dwordx4 v[144:147], v[144:145]
	v_add_co_u32_e32 v99, vcc, s38, v50
	v_mov_b32_e32 v119, s39
	v_addc_co_u32_e32 v119, vcc, v119, v51, vcc
	v_add_co_u32_e32 v99, vcc, v99, v40
	v_addc_co_u32_e32 v119, vcc, 0, v119, vcc
	s_waitcnt vmcnt(0) lgkmcnt(0)
	ds_write_b128 v242, v[144:147]
	v_cndmask_b32_e64 v145, v103, v119, s[10:11]
	v_cndmask_b32_e64 v144, v100, v99, s[10:11]
	flat_load_dwordx4 v[144:147], v[144:145]
	;; [unrolled: 10-line block ×7, first 2 shown]
	s_waitcnt vmcnt(0) lgkmcnt(0)
	ds_write_b128 v201, v[144:147]
	s_waitcnt lgkmcnt(0)
	s_barrier
	ds_read_u16 v40, v135 offset:528
	ds_read_u16 v99, v135 offset:1056
	v_cvt_f32_f16_e32 v146, v93
	v_cvt_f32_f16_sdwa v147, v93 dst_sel:DWORD dst_unused:UNUSED_PAD src0_sel:WORD_1
	ds_read_u16 v93, v136
	ds_read_u16 v100, v136 offset:32
	v_cvt_f32_f16_e32 v144, v94
	v_cvt_f32_f16_sdwa v145, v94 dst_sel:DWORD dst_unused:UNUSED_PAD src0_sel:WORD_1
	s_waitcnt lgkmcnt(1)
	v_perm_b32 v149, v93, v99, s33
	ds_read_u16 v93, v134
	ds_read_u16 v99, v134 offset:32
	v_accvgpr_write_b32 a0, v144
	v_accvgpr_write_b32 a1, v145
	;; [unrolled: 1-line block ×3, first 2 shown]
	s_waitcnt lgkmcnt(1)
	v_perm_b32 v148, v40, v93, s33
	v_accvgpr_write_b32 a3, v147
	v_cvt_f32_f16_e32 v144, v96
	v_cvt_f32_f16_sdwa v145, v96 dst_sel:DWORD dst_unused:UNUSED_PAD src0_sel:WORD_1
	v_mfma_f32_16x16x16f16 a[0:3], v[148:149], v[34:35], a[0:3]
	v_cvt_f32_f16_e32 v146, v95
	v_cvt_f32_f16_sdwa v147, v95 dst_sel:DWORD dst_unused:UNUSED_PAD src0_sel:WORD_1
	s_nop 7
	s_nop 0
	v_accvgpr_read_b32 v94, a2
	v_accvgpr_read_b32 v40, a0
	;; [unrolled: 1-line block ×3, first 2 shown]
	v_cvt_f16_f32_e32 v103, v94
	v_accvgpr_read_b32 v94, a3
	v_cvt_f16_f32_e32 v40, v40
	v_cvt_f16_f32_e32 v93, v93
	;; [unrolled: 1-line block ×3, first 2 shown]
	v_accvgpr_write_b32 a0, v144
	v_accvgpr_write_b32 a1, v145
	v_pack_b32_f16 v94, v40, v93
	v_pack_b32_f16 v93, v103, v119
	ds_read_u16 v40, v199 offset:528
	ds_read_u16 v103, v199 offset:1056
	v_accvgpr_write_b32 a2, v146
	v_accvgpr_write_b32 a3, v147
	v_cvt_f32_f16_e32 v144, v45
	s_waitcnt lgkmcnt(1)
	v_perm_b32 v148, v40, v99, s33
	s_waitcnt lgkmcnt(0)
	v_perm_b32 v149, v100, v103, s33
	v_cvt_f32_f16_sdwa v145, v45 dst_sel:DWORD dst_unused:UNUSED_PAD src0_sel:WORD_1
	v_cvt_f32_f16_e32 v146, v44
	v_mfma_f32_16x16x16f16 a[0:3], v[148:149], v[34:35], a[0:3]
	v_cvt_f32_f16_sdwa v147, v44 dst_sel:DWORD dst_unused:UNUSED_PAD src0_sel:WORD_1
	s_nop 7
	s_nop 1
	v_accvgpr_read_b32 v96, a2
	v_accvgpr_read_b32 v40, a0
	v_accvgpr_read_b32 v95, a1
	v_cvt_f16_f32_e32 v99, v96
	v_accvgpr_read_b32 v96, a3
	v_cvt_f16_f32_e32 v40, v40
	v_cvt_f16_f32_e32 v95, v95
	;; [unrolled: 1-line block ×3, first 2 shown]
	v_accvgpr_write_b32 a0, v144
	v_accvgpr_write_b32 a1, v145
	v_pack_b32_f16 v96, v40, v95
	v_pack_b32_f16 v95, v99, v100
	ds_read_u16 v40, v134 offset:64
	ds_read_u16 v99, v203 offset:528
	ds_read_u16 v100, v203 offset:1056
	ds_read_u16 v103, v136 offset:64
	v_accvgpr_write_b32 a2, v146
	v_accvgpr_write_b32 a3, v147
	s_waitcnt lgkmcnt(2)
	v_perm_b32 v44, v99, v40, s33
	v_cvt_f32_f16_e32 v144, v102
	s_waitcnt lgkmcnt(0)
	v_perm_b32 v45, v103, v100, s33
	v_cvt_f32_f16_sdwa v145, v102 dst_sel:DWORD dst_unused:UNUSED_PAD src0_sel:WORD_1
	v_cvt_f32_f16_e32 v146, v101
	v_mfma_f32_16x16x16f16 a[0:3], v[44:45], v[34:35], a[0:3]
	v_cvt_f32_f16_sdwa v147, v101 dst_sel:DWORD dst_unused:UNUSED_PAD src0_sel:WORD_1
	s_nop 7
	s_nop 1
	v_accvgpr_read_b32 v40, a0
	v_accvgpr_read_b32 v44, a1
	v_accvgpr_read_b32 v45, a2
	v_accvgpr_read_b32 v99, a3
	v_cvt_f16_f32_e32 v40, v40
	v_cvt_f16_f32_e32 v44, v44
	v_cvt_f16_f32_e32 v45, v45
	v_cvt_f16_f32_e32 v99, v99
	v_accvgpr_write_b32 a0, v144
	v_pack_b32_f16 v100, v40, v44
	v_accvgpr_write_b32 a1, v145
	v_pack_b32_f16 v99, v45, v99
	ds_read_u16 v40, v134 offset:96
	ds_read_u16 v44, v196 offset:528
	ds_read_u16 v45, v196 offset:1056
	ds_read_u16 v103, v136 offset:96
	v_accvgpr_write_b32 a2, v146
	v_accvgpr_write_b32 a3, v147
	s_waitcnt lgkmcnt(2)
	v_perm_b32 v44, v44, v40, s33
	v_cvt_f32_f16_e32 v144, v104
	s_waitcnt lgkmcnt(0)
	v_perm_b32 v45, v103, v45, s33
	v_cvt_f32_f16_sdwa v145, v104 dst_sel:DWORD dst_unused:UNUSED_PAD src0_sel:WORD_1
	v_cvt_f32_f16_e32 v146, v0
	v_mfma_f32_16x16x16f16 a[0:3], v[44:45], v[34:35], a[0:3]
	v_cvt_f32_f16_sdwa v147, v0 dst_sel:DWORD dst_unused:UNUSED_PAD src0_sel:WORD_1
	s_nop 7
	s_nop 1
	v_accvgpr_read_b32 v40, a0
	v_accvgpr_read_b32 v44, a1
	v_accvgpr_read_b32 v45, a2
	v_accvgpr_read_b32 v101, a3
	v_cvt_f16_f32_e32 v40, v40
	v_cvt_f16_f32_e32 v44, v44
	v_cvt_f16_f32_e32 v45, v45
	v_cvt_f16_f32_e32 v101, v101
	v_accvgpr_write_b32 a0, v144
	v_pack_b32_f16 v102, v40, v44
	v_accvgpr_write_b32 a1, v145
	;; [unrolled: 29-line block ×3, first 2 shown]
	v_pack_b32_f16 v103, v44, v45
	ds_read_u16 v0, v134 offset:160
	ds_read_u16 v40, v200 offset:528
	ds_read_u16 v44, v200 offset:1056
	ds_read_u16 v45, v136 offset:160
	v_accvgpr_write_b32 a2, v146
	v_accvgpr_write_b32 a3, v147
	v_cvt_f32_f16_e32 v144, v108
	v_cvt_f32_f16_sdwa v145, v108 dst_sel:DWORD dst_unused:UNUSED_PAD src0_sel:WORD_1
	s_waitcnt lgkmcnt(0)
	v_perm_b32 v45, v45, v44, s33
	v_perm_b32 v44, v40, v0, s33
	v_cvt_f32_f16_e32 v146, v107
	v_cvt_f32_f16_sdwa v147, v107 dst_sel:DWORD dst_unused:UNUSED_PAD src0_sel:WORD_1
	v_mfma_f32_16x16x16f16 a[0:3], v[44:45], v[34:35], a[0:3]
	s_nop 7
	s_nop 2
	v_accvgpr_read_b32 v0, a0
	v_accvgpr_read_b32 v40, a1
	v_accvgpr_read_b32 v44, a2
	v_accvgpr_read_b32 v45, a3
	v_cvt_f16_f32_e32 v0, v0
	v_cvt_f16_f32_e32 v40, v40
	v_cvt_f16_f32_e32 v44, v44
	v_cvt_f16_f32_e32 v45, v45
	v_accvgpr_write_b32 a0, v144
	v_pack_b32_f16 v106, v0, v40
	v_accvgpr_write_b32 a1, v145
	v_pack_b32_f16 v105, v44, v45
	ds_read_u16 v0, v134 offset:192
	ds_read_u16 v40, v198 offset:528
	ds_read_u16 v44, v198 offset:1056
	ds_read_u16 v45, v136 offset:192
	v_accvgpr_write_b32 a2, v146
	v_accvgpr_write_b32 a3, v147
	v_cvt_f32_f16_e32 v144, v110
	v_cvt_f32_f16_sdwa v145, v110 dst_sel:DWORD dst_unused:UNUSED_PAD src0_sel:WORD_1
	s_waitcnt lgkmcnt(0)
	v_perm_b32 v45, v45, v44, s33
	v_perm_b32 v44, v40, v0, s33
	v_cvt_f32_f16_e32 v146, v109
	v_cvt_f32_f16_sdwa v147, v109 dst_sel:DWORD dst_unused:UNUSED_PAD src0_sel:WORD_1
	v_mfma_f32_16x16x16f16 a[0:3], v[44:45], v[34:35], a[0:3]
	s_nop 7
	s_nop 2
	v_accvgpr_read_b32 v0, a0
	v_accvgpr_read_b32 v40, a1
	v_accvgpr_read_b32 v44, a2
	v_accvgpr_read_b32 v45, a3
	v_cvt_f16_f32_e32 v0, v0
	v_cvt_f16_f32_e32 v40, v40
	v_cvt_f16_f32_e32 v44, v44
	v_cvt_f16_f32_e32 v45, v45
	v_accvgpr_write_b32 a0, v144
	v_pack_b32_f16 v108, v0, v40
	v_accvgpr_write_b32 a1, v145
	;; [unrolled: 28-line block ×10, first 2 shown]
	v_pack_b32_f16 v139, v44, v45
	ds_read_u16 v0, v134 offset:480
	ds_read_u16 v40, v189 offset:528
	;; [unrolled: 1-line block ×4, first 2 shown]
	v_accvgpr_write_b32 a2, v146
	v_accvgpr_write_b32 a3, v147
	s_waitcnt lgkmcnt(0)
	s_barrier
	v_perm_b32 v45, v45, v44, s33
	v_perm_b32 v44, v40, v0, s33
	s_nop 1
	v_mfma_f32_16x16x16f16 a[0:3], v[44:45], v[34:35], a[0:3]
	s_nop 7
	s_nop 2
	v_accvgpr_read_b32 v0, a0
	v_accvgpr_read_b32 v34, a1
	;; [unrolled: 1-line block ×4, first 2 shown]
	v_cvt_f16_f32_e32 v0, v0
	v_cvt_f16_f32_e32 v34, v34
	;; [unrolled: 1-line block ×4, first 2 shown]
	v_pack_b32_f16 v117, v0, v34
	v_pack_b32_f16 v119, v35, v40
	s_cbranch_scc0 .LBB29_52
; %bb.49:                               ;   in Loop: Header=BB29_42 Depth=2
	v_mov_b32_e32 v0, v37
	v_mov_b32_e32 v44, v36
	s_branch .LBB29_42
.LBB29_50:                              ;   in Loop: Header=BB29_16 Depth=1
	s_cbranch_execz .LBB29_15
	s_branch .LBB29_149
.LBB29_51:                              ;   in Loop: Header=BB29_16 Depth=1
	v_mov_b32_e32 v37, 0
	v_mov_b32_e32 v36, 0xfeffffff
	;; [unrolled: 1-line block ×33, first 2 shown]
.LBB29_52:                              ;   in Loop: Header=BB29_16 Depth=1
	s_mov_b32 s65, s84
	s_lshl_b32 s84, s46, 6
	v_readlane_b32 s38, v254, 4
	s_sub_i32 s60, s38, s84
	s_cmp_lg_u64 s[30:31], 0
	s_mov_b32 s71, s85
	s_cselect_b64 s[56:57], -1, 0
	s_ashr_i32 s85, s84, 31
	s_cmp_eq_u64 s[30:31], 0
	v_readlane_b32 s39, v254, 5
	s_cbranch_scc1 .LBB29_58
; %bb.53:                               ;   in Loop: Header=BB29_16 Depth=1
	v_cmp_le_i32_e32 vcc, s60, v38
                                        ; implicit-def: $sgpr40
	s_and_saveexec_b64 s[38:39], vcc
	s_xor_b64 s[38:39], exec, s[38:39]
	s_cbranch_execz .LBB29_55
; %bb.54:                               ;   in Loop: Header=BB29_16 Depth=1
	ds_write_b16 v128, v237 offset:33792
	ds_write_b16 v238, v237 offset:33792
	s_mov_b32 s40, 0
                                        ; implicit-def: $vgpr1
                                        ; implicit-def: $vgpr39
                                        ; implicit-def: $vgpr41
                                        ; implicit-def: $vgpr43
.LBB29_55:                              ;   in Loop: Header=BB29_16 Depth=1
	s_or_saveexec_b64 s[38:39], s[38:39]
	v_mov_b32_e32 v0, s40
	v_mov_b32_e32 v34, s40
	s_xor_b64 exec, exec, s[38:39]
	s_cbranch_execz .LBB29_57
; %bb.56:                               ;   in Loop: Header=BB29_16 Depth=1
	s_lshl_b64 s[40:41], s[84:85], 1
	s_add_u32 s40, s30, s40
	s_addc_u32 s41, s31, s41
	v_lshlrev_b32_e32 v0, 1, v38
	v_add_co_u32_e32 v40, vcc, s40, v0
	v_mov_b32_e32 v0, s41
	v_readlane_b32 s42, v254, 10
	v_addc_co_u32_e32 v44, vcc, 0, v0, vcc
	v_mul_hi_u32 v0, s42, v1
	v_readlane_b32 s43, v254, 11
	v_add_u32_e32 v0, v1, v0
	v_lshrrev_b32_e32 v0, s43, v0
	v_readlane_b32 s44, v254, 59
	v_readlane_b32 s46, v254, 61
	v_mul_lo_u32 v0, v0, s44
	v_readlane_b32 s40, v255, 17
	v_sub_u32_e32 v0, v1, v0
	v_readlane_b32 s41, v255, 18
	s_mov_b32 s46, s40
	v_mad_i64_i32 v[0:1], s[40:41], v0, s46, 0
	v_lshlrev_b64 v[0:1], 1, v[0:1]
	v_add_co_u32_e32 v0, vcc, v40, v0
	v_addc_co_u32_e32 v1, vcc, v44, v1, vcc
	flat_load_ushort v34, v[0:1]
	v_mul_hi_u32 v0, s42, v39
	v_add_u32_e32 v0, v39, v0
	v_lshrrev_b32_e32 v0, s43, v0
	v_mul_lo_u32 v0, v0, s44
	v_sub_u32_e32 v0, v39, v0
	v_mad_i64_i32 v[0:1], s[40:41], v0, s46, 0
	v_lshlrev_b64 v[0:1], 1, v[0:1]
	v_add_co_u32_e32 v0, vcc, v40, v0
	v_addc_co_u32_e32 v1, vcc, v44, v1, vcc
	flat_load_ushort v0, v[0:1]
	v_readlane_b32 s45, v254, 60
	v_readlane_b32 s47, v254, 62
	s_waitcnt vmcnt(0) lgkmcnt(0)
	ds_write_b16 v128, v34 offset:33792
	ds_write_b16 v238, v0 offset:33792
	v_mul_hi_u32 v0, s42, v41
	v_add_u32_e32 v0, v41, v0
	v_lshrrev_b32_e32 v0, s43, v0
	v_mul_lo_u32 v0, v0, s44
	v_sub_u32_e32 v0, v41, v0
	v_mad_i64_i32 v[0:1], s[40:41], v0, s46, 0
	v_lshlrev_b64 v[0:1], 1, v[0:1]
	v_add_co_u32_e32 v0, vcc, v40, v0
	v_addc_co_u32_e32 v1, vcc, v44, v1, vcc
	flat_load_ushort v0, v[0:1]
	v_mul_hi_u32 v1, s42, v43
	v_add_u32_e32 v1, v43, v1
	v_lshrrev_b32_e32 v1, s43, v1
	v_mul_lo_u32 v1, v1, s44
	v_sub_u32_e32 v1, v43, v1
	v_mad_i64_i32 v[34:35], s[40:41], v1, s46, 0
	v_lshlrev_b64 v[34:35], 1, v[34:35]
	v_add_co_u32_e32 v34, vcc, v40, v34
	v_addc_co_u32_e32 v35, vcc, v44, v35, vcc
	flat_load_ushort v34, v[34:35]
.LBB29_57:                              ;   in Loop: Header=BB29_16 Depth=1
	s_or_b64 exec, exec, s[38:39]
	s_waitcnt vmcnt(0) lgkmcnt(0)
	ds_write_b16 v239, v0 offset:33792
	ds_write_b16 v240, v34 offset:33792
.LBB29_58:                              ;   in Loop: Header=BB29_16 Depth=1
	s_mul_hi_i32 s39, s84, s96
	s_mul_i32 s38, s84, s96
	s_lshl_b64 s[38:39], s[38:39], 2
	s_add_u32 s59, s80, s38
	s_addc_u32 s58, s64, s39
	v_add_co_u32_e32 v0, vcc, s59, v62
	v_mov_b32_e32 v1, s58
	v_addc_co_u32_e32 v34, vcc, v1, v63, vcc
	v_lshlrev_b32_e32 v1, 2, v42
	v_add_co_u32_e32 v0, vcc, v0, v1
	v_cmp_gt_i32_e64 s[46:47], s60, v129
	v_addc_co_u32_e32 v34, vcc, 0, v34, vcc
	v_mov_b32_e32 v39, s93
	v_mov_b32_e32 v40, s92
	buffer_store_dword v237, off, s[0:3], 0
	buffer_store_dword v237, off, s[0:3], 0 offset:4
	buffer_store_dword v237, off, s[0:3], 0 offset:8
	buffer_store_dword v237, off, s[0:3], 0 offset:12
	v_cndmask_b32_e64 v35, v39, v34, s[46:47]
	v_cndmask_b32_e64 v34, v40, v0, s[46:47]
	flat_load_dwordx4 v[82:85], v[34:35]
	v_add_co_u32_e32 v0, vcc, s59, v64
	v_mov_b32_e32 v34, s58
	v_addc_co_u32_e32 v34, vcc, v34, v65, vcc
	v_add_co_u32_e32 v0, vcc, v0, v1
	v_cmp_gt_i32_e64 s[44:45], s60, v241
	v_addc_co_u32_e32 v34, vcc, 0, v34, vcc
	v_cndmask_b32_e64 v35, v39, v34, s[44:45]
	v_cndmask_b32_e64 v34, v40, v0, s[44:45]
	v_add_co_u32_e32 v0, vcc, s59, v66
	v_cmp_gt_i32_e64 s[48:49], s60, v243
	v_cmp_gt_i32_e64 s[50:51], s60, v245
	;; [unrolled: 1-line block ×6, first 2 shown]
	s_waitcnt vmcnt(0) lgkmcnt(0)
	ds_write_b128 v130, v[82:85]
	flat_load_dwordx4 v[82:85], v[34:35]
	v_mov_b32_e32 v34, s58
	v_addc_co_u32_e32 v34, vcc, v34, v67, vcc
	v_add_co_u32_e32 v0, vcc, v0, v1
	v_addc_co_u32_e32 v34, vcc, 0, v34, vcc
	v_cndmask_b32_e64 v35, v39, v34, s[48:49]
	v_cndmask_b32_e64 v34, v40, v0, s[48:49]
	v_add_co_u32_e32 v0, vcc, s59, v68
	s_waitcnt vmcnt(0) lgkmcnt(0)
	ds_write_b128 v242, v[82:85]
	flat_load_dwordx4 v[82:85], v[34:35]
	v_mov_b32_e32 v34, s58
	v_addc_co_u32_e32 v34, vcc, v34, v69, vcc
	v_add_co_u32_e32 v0, vcc, v0, v1
	v_addc_co_u32_e32 v34, vcc, 0, v34, vcc
	v_cndmask_b32_e64 v35, v39, v34, s[50:51]
	v_cndmask_b32_e64 v34, v40, v0, s[50:51]
	v_add_co_u32_e32 v0, vcc, s59, v70
	s_waitcnt vmcnt(0) lgkmcnt(0)
	ds_write_b128 v244, v[82:85]
	flat_load_dwordx4 v[82:85], v[34:35]
	v_mov_b32_e32 v34, s58
	v_addc_co_u32_e32 v34, vcc, v34, v71, vcc
	v_add_co_u32_e32 v0, vcc, v0, v1
	v_addc_co_u32_e32 v34, vcc, 0, v34, vcc
	v_cndmask_b32_e64 v35, v39, v34, s[52:53]
	v_cndmask_b32_e64 v34, v40, v0, s[52:53]
	v_add_co_u32_e32 v0, vcc, s59, v72
	s_waitcnt vmcnt(0) lgkmcnt(0)
	ds_write_b128 v246, v[82:85]
	flat_load_dwordx4 v[82:85], v[34:35]
	v_mov_b32_e32 v34, s58
	v_addc_co_u32_e32 v34, vcc, v34, v73, vcc
	v_add_co_u32_e32 v0, vcc, v0, v1
	v_addc_co_u32_e32 v34, vcc, 0, v34, vcc
	v_cndmask_b32_e64 v35, v39, v34, s[42:43]
	v_cndmask_b32_e64 v34, v40, v0, s[42:43]
	v_add_co_u32_e32 v0, vcc, s59, v74
	s_waitcnt vmcnt(0) lgkmcnt(0)
	ds_write_b128 v248, v[82:85]
	flat_load_dwordx4 v[82:85], v[34:35]
	v_mov_b32_e32 v34, s58
	v_addc_co_u32_e32 v34, vcc, v34, v75, vcc
	v_add_co_u32_e32 v0, vcc, v0, v1
	v_addc_co_u32_e32 v34, vcc, 0, v34, vcc
	v_cndmask_b32_e64 v35, v39, v34, s[40:41]
	v_cndmask_b32_e64 v34, v40, v0, s[40:41]
	v_add_co_u32_e32 v0, vcc, s59, v76
	s_waitcnt vmcnt(0) lgkmcnt(0)
	ds_write_b128 v250, v[82:85]
	flat_load_dwordx4 v[82:85], v[34:35]
	v_mov_b32_e32 v34, s58
	v_addc_co_u32_e32 v34, vcc, v34, v77, vcc
	v_add_co_u32_e32 v0, vcc, v0, v1
	v_addc_co_u32_e32 v34, vcc, 0, v34, vcc
	v_cndmask_b32_e64 v35, v39, v34, s[38:39]
	v_cndmask_b32_e64 v34, v40, v0, s[38:39]
	s_andn2_b64 vcc, exec, s[56:57]
	s_waitcnt vmcnt(0) lgkmcnt(0)
	ds_write_b128 v252, v[82:85]
	flat_load_dwordx4 v[82:85], v[34:35]
	s_waitcnt vmcnt(0) lgkmcnt(0)
	ds_write_b128 v201, v[82:85]
	s_waitcnt lgkmcnt(0)
	s_barrier
	ds_read2_b64 v[82:85], v131 offset1:4
	s_waitcnt lgkmcnt(0)
	v_mfma_f32_16x16x16f16 a[0:3], v[82:83], v[30:31], 0
	v_mfma_f32_16x16x16f16 a[0:3], v[84:85], v[32:33], a[0:3]
	ds_read2_b64 v[30:33], v131 offset0:8 offset1:12
	s_waitcnt lgkmcnt(0)
	v_mfma_f32_16x16x16f16 a[0:3], v[30:31], v[26:27], a[0:3]
	v_mfma_f32_16x16x16f16 a[0:3], v[32:33], v[28:29], a[0:3]
	ds_read2_b64 v[26:29], v131 offset0:16 offset1:20
	;; [unrolled: 4-line block ×7, first 2 shown]
	s_waitcnt lgkmcnt(0)
	s_barrier
	v_mfma_f32_16x16x16f16 a[0:3], v[6:7], v[2:3], a[0:3]
	v_mfma_f32_16x16x16f16 a[0:3], v[8:9], v[4:5], a[0:3]
	s_cbranch_vccnz .LBB29_60
; %bb.59:                               ;   in Loop: Header=BB29_16 Depth=1
	v_add_u32_e32 v0, 0x8400, v133
	ds_read2_b32 v[6:7], v0 offset1:1
	s_nop 7
	v_accvgpr_read_b32 v5, a3
	v_accvgpr_read_b32 v4, a2
	v_accvgpr_read_b32 v3, a1
	v_accvgpr_read_b32 v2, a0
	s_waitcnt lgkmcnt(0)
	v_cvt_f32_f16_e32 v8, v6
	v_cvt_f32_f16_e32 v10, v7
	v_cvt_f32_f16_sdwa v11, v7 dst_sel:DWORD dst_unused:UNUSED_PAD src0_sel:WORD_1
	v_cvt_f32_f16_sdwa v9, v6 dst_sel:DWORD dst_unused:UNUSED_PAD src0_sel:WORD_1
	v_pk_fma_f32 v[4:5], v[80:81], v[10:11], v[4:5] op_sel_hi:[0,1,1]
	v_pk_fma_f32 v[2:3], v[80:81], v[8:9], v[2:3] op_sel_hi:[0,1,1]
	v_accvgpr_write_b32 a0, v2
	v_accvgpr_write_b32 a1, v3
	;; [unrolled: 1-line block ×4, first 2 shown]
.LBB29_60:                              ;   in Loop: Header=BB29_16 Depth=1
	s_nop 7
	s_nop 1
	v_accvgpr_read_b32 v7, a3
	v_accvgpr_read_b32 v4, a0
	v_add_f32_e32 v0, 0x40051340, v4
	v_max_f32_e32 v2, v36, v36
	v_cmp_gt_u32_e32 vcc, s60, v132
	v_max_f32_e32 v0, v2, v0
	v_accvgpr_read_b32 v5, a1
	v_cndmask_b32_e32 v0, v36, v0, vcc
	v_add_f32_e32 v2, 0x40051340, v5
	v_max_f32_e32 v3, v0, v0
	v_cmp_gt_u32_e64 s[56:57], s60, v184
	v_max_f32_e32 v2, v3, v2
	v_accvgpr_read_b32 v6, a2
	v_cndmask_b32_e64 v0, v0, v2, s[56:57]
	v_add_f32_e32 v2, 0x40051340, v6
	v_max_f32_e32 v3, v0, v0
	v_cmp_gt_u32_e64 s[58:59], s60, v188
	v_max_f32_e32 v2, v3, v2
	v_cndmask_b32_e64 v0, v0, v2, s[58:59]
	v_add_f32_e32 v2, 0x40051340, v7
	v_max_f32_e32 v3, v0, v0
	v_cmp_gt_u32_e64 s[60:61], s60, v186
	v_max_f32_e32 v2, v3, v2
	v_cndmask_b32_e64 v0, v0, v2, s[60:61]
	v_and_b32_e32 v2, 64, v236
	v_add_u32_e32 v2, 64, v2
	v_xor_b32_e32 v3, 32, v236
	v_cmp_lt_i32_e64 s[62:63], v3, v2
	v_cndmask_b32_e64 v3, v236, v3, s[62:63]
	v_lshlrev_b32_e32 v39, 2, v3
	ds_bpermute_b32 v3, v39, v0
	v_max_f32_e32 v0, v0, v0
	v_cndmask_b32_e64 v6, v6, v6, s[56:57]
	v_cndmask_b32_e64 v7, v7, v7, s[56:57]
	v_mov_b32_e32 v43, s93
	s_waitcnt lgkmcnt(0)
	v_max_f32_e32 v3, v3, v3
	v_max_f32_e32 v0, v0, v3
	v_xor_b32_e32 v3, 16, v236
	v_cmp_lt_i32_e64 s[62:63], v3, v2
	v_cndmask_b32_e64 v2, v236, v3, s[62:63]
	v_lshlrev_b32_e32 v41, 2, v2
	ds_bpermute_b32 v2, v41, v0
	buffer_store_dword v237, off, s[0:3], 0
	buffer_store_dword v237, off, s[0:3], 0 offset:4
	buffer_store_dword v237, off, s[0:3], 0 offset:8
	;; [unrolled: 1-line block ×3, first 2 shown]
	s_waitcnt lgkmcnt(0)
	v_max_f32_e32 v2, v2, v2
	v_max_f32_e32 v2, v0, v2
	v_sub_f32_e32 v0, v4, v2
	v_mul_f32_e32 v3, 0x3fb8aa3b, v0
	v_fma_f32 v4, v0, s87, -v3
	v_rndne_f32_e32 v8, v3
	v_fmac_f32_e32 v4, 0x32a5705f, v0
	v_sub_f32_e32 v3, v3, v8
	v_add_f32_e32 v3, v3, v4
	v_exp_f32_e32 v3, v3
	v_cvt_i32_f32_e32 v4, v8
	v_cmp_ngt_f32_e64 s[62:63], s94, v0
	v_ldexp_f32 v3, v3, v4
	v_cndmask_b32_e64 v3, 0, v3, s[62:63]
	v_cmp_nlt_f32_e64 s[62:63], s81, v0
	v_cndmask_b32_e64 v0, v183, v3, s[62:63]
	v_sub_f32_e32 v3, v5, v2
	v_mul_f32_e32 v4, 0x3fb8aa3b, v3
	v_fma_f32 v5, v3, s87, -v4
	v_rndne_f32_e32 v8, v4
	v_fmac_f32_e32 v5, 0x32a5705f, v3
	v_sub_f32_e32 v4, v4, v8
	v_add_f32_e32 v4, v4, v5
	v_exp_f32_e32 v4, v4
	v_cvt_i32_f32_e32 v5, v8
	v_cndmask_b32_e32 v0, 0, v0, vcc
	v_cmp_ngt_f32_e32 vcc, s94, v3
	v_ldexp_f32 v4, v4, v5
	v_cndmask_b32_e32 v4, 0, v4, vcc
	v_cmp_nlt_f32_e32 vcc, s81, v3
	v_cndmask_b32_e32 v4, v183, v4, vcc
	v_mov_b32_e32 v3, s35
	v_add_f32_e32 v5, v4, v0
	v_cndmask_b32_e64 v34, v3, v4, s[56:57]
	v_sub_f32_e32 v4, v6, v2
	v_cndmask_b32_e64 v3, v0, v5, s[56:57]
	v_mul_f32_e32 v5, 0x3fb8aa3b, v4
	v_fma_f32 v6, v4, s87, -v5
	v_rndne_f32_e32 v8, v5
	v_fmac_f32_e32 v6, 0x32a5705f, v4
	v_sub_f32_e32 v5, v5, v8
	v_add_f32_e32 v5, v5, v6
	v_exp_f32_e32 v5, v5
	v_cvt_i32_f32_e32 v6, v8
	v_cmp_ngt_f32_e32 vcc, s94, v4
	v_cvt_f16_f32_e32 v0, v0
	v_cvt_f16_f32_e32 v34, v34
	v_ldexp_f32 v5, v5, v6
	v_cndmask_b32_e32 v5, 0, v5, vcc
	v_cmp_nlt_f32_e32 vcc, s81, v4
	v_cndmask_b32_e32 v5, v183, v5, vcc
	v_add_f32_e32 v6, v3, v5
	v_mov_b32_e32 v4, s35
	v_cndmask_b32_e64 v35, v4, v5, s[58:59]
	v_cndmask_b32_e64 v4, v3, v6, s[58:59]
	v_sub_f32_e32 v3, v7, v2
	v_mul_f32_e32 v5, 0x3fb8aa3b, v3
	v_fma_f32 v6, v3, s87, -v5
	v_rndne_f32_e32 v7, v5
	v_fmac_f32_e32 v6, 0x32a5705f, v3
	v_sub_f32_e32 v5, v5, v7
	v_add_f32_e32 v5, v5, v6
	v_exp_f32_e32 v5, v5
	v_cvt_i32_f32_e32 v6, v7
	v_cmp_ngt_f32_e32 vcc, s94, v3
	v_pack_b32_f16 v34, v0, v34
	v_cvt_f16_f32_e32 v0, v35
	v_ldexp_f32 v5, v5, v6
	v_cndmask_b32_e32 v5, 0, v5, vcc
	v_cmp_nlt_f32_e32 vcc, s81, v3
	v_cndmask_b32_e32 v5, v183, v5, vcc
	v_add_f32_e32 v6, v4, v5
	v_mov_b32_e32 v3, s35
	v_cndmask_b32_e64 v40, v3, v5, s[60:61]
	v_cndmask_b32_e64 v3, v4, v6, s[60:61]
	v_sub_f32_e32 v4, v36, v2
	v_mul_f32_e32 v5, 0x3fb8aa3b, v4
	v_fma_f32 v6, v4, s87, -v5
	v_rndne_f32_e32 v7, v5
	v_fmac_f32_e32 v6, 0x32a5705f, v4
	v_sub_f32_e32 v5, v5, v7
	v_add_f32_e32 v5, v5, v6
	v_exp_f32_e32 v5, v5
	v_cvt_i32_f32_e32 v6, v7
	v_cvt_f16_f32_e32 v35, v40
	s_mul_hi_i32 s57, s84, s82
	s_mul_i32 s56, s84, s82
	v_ldexp_f32 v5, v5, v6
	v_cmp_ngt_f32_e32 vcc, s94, v4
	s_lshl_b64 s[58:59], s[56:57], 2
	v_cndmask_b32_e32 v5, 0, v5, vcc
	v_cmp_nlt_f32_e32 vcc, s81, v4
	s_add_u32 s57, s91, s58
	v_cndmask_b32_e32 v5, v183, v5, vcc
	v_cmp_le_f32_e32 vcc, s95, v4
	s_addc_u32 s56, s98, s59
	v_cndmask_b32_e32 v4, 0, v5, vcc
	v_pack_b32_f16 v35, v0, v35
	v_add_co_u32_e32 v0, vcc, s57, v46
	v_mov_b32_e32 v40, s56
	v_addc_co_u32_e32 v40, vcc, v40, v47, vcc
	v_add_co_u32_e32 v0, vcc, v0, v1
	v_addc_co_u32_e32 v40, vcc, 0, v40, vcc
	v_cndmask_b32_e64 v45, v43, v40, s[46:47]
	v_mov_b32_e32 v40, s92
	v_cndmask_b32_e64 v44, v40, v0, s[46:47]
	flat_load_dwordx4 v[82:85], v[44:45]
	v_add_co_u32_e32 v0, vcc, s57, v48
	v_mov_b32_e32 v44, s56
	v_addc_co_u32_e32 v44, vcc, v44, v49, vcc
	v_add_co_u32_e32 v0, vcc, v0, v1
	v_addc_co_u32_e32 v44, vcc, 0, v44, vcc
	v_cndmask_b32_e64 v45, v43, v44, s[44:45]
	v_cndmask_b32_e64 v44, v40, v0, s[44:45]
	v_add_co_u32_e32 v0, vcc, s57, v50
	v_cvt_f16_f32_e32 v33, v4
	v_fmac_f32_e32 v3, v37, v4
	v_readlane_b32 s44, v255, 11
	s_cmp_eq_u64 s[88:89], 0
	v_pk_mul_f16 v37, v33, v94 op_sel_hi:[0,1]
	v_pk_mul_f16 v4, v33, v93 op_sel_hi:[0,1]
	;; [unrolled: 1-line block ×32, first 2 shown]
	v_readlane_b32 s45, v255, 12
	s_waitcnt vmcnt(0) lgkmcnt(0)
	ds_write_b128 v130, v[82:85]
	flat_load_dwordx4 v[82:85], v[44:45]
	v_mov_b32_e32 v44, s56
	v_addc_co_u32_e32 v44, vcc, v44, v51, vcc
	v_add_co_u32_e32 v0, vcc, v0, v1
	v_addc_co_u32_e32 v44, vcc, 0, v44, vcc
	v_cndmask_b32_e64 v45, v43, v44, s[48:49]
	v_cndmask_b32_e64 v44, v40, v0, s[48:49]
	v_add_co_u32_e32 v0, vcc, s57, v52
	s_waitcnt vmcnt(0) lgkmcnt(0)
	ds_write_b128 v242, v[82:85]
	flat_load_dwordx4 v[82:85], v[44:45]
	v_mov_b32_e32 v44, s56
	v_addc_co_u32_e32 v44, vcc, v44, v53, vcc
	v_add_co_u32_e32 v0, vcc, v0, v1
	v_addc_co_u32_e32 v44, vcc, 0, v44, vcc
	v_cndmask_b32_e64 v45, v43, v44, s[50:51]
	v_cndmask_b32_e64 v44, v40, v0, s[50:51]
	v_add_co_u32_e32 v0, vcc, s57, v54
	;; [unrolled: 10-line block ×5, first 2 shown]
	s_waitcnt vmcnt(0) lgkmcnt(0)
	ds_write_b128 v250, v[82:85]
	flat_load_dwordx4 v[82:85], v[44:45]
	v_mov_b32_e32 v44, s56
	v_addc_co_u32_e32 v44, vcc, v44, v61, vcc
	v_add_co_u32_e32 v0, vcc, v0, v1
	v_addc_co_u32_e32 v1, vcc, 0, v44, vcc
	v_cndmask_b32_e64 v1, v43, v1, s[38:39]
	v_cndmask_b32_e64 v0, v40, v0, s[38:39]
	s_cselect_b64 s[38:39], -1, 0
	s_xor_b64 s[40:41], s[44:45], -1
	s_or_b64 s[38:39], s[40:41], s[38:39]
	s_waitcnt vmcnt(0) lgkmcnt(0)
	ds_write_b128 v252, v[82:85]
	flat_load_dwordx4 v[82:85], v[0:1]
	s_waitcnt vmcnt(0) lgkmcnt(0)
	ds_write_b128 v201, v[82:85]
	s_waitcnt lgkmcnt(0)
	s_barrier
	ds_read_u16 v0, v135 offset:528
	ds_read_u16 v1, v135 offset:1056
	v_cvt_f32_f16_e32 v82, v37
	v_cvt_f32_f16_sdwa v83, v37 dst_sel:DWORD dst_unused:UNUSED_PAD src0_sel:WORD_1
	v_cvt_f32_f16_e32 v84, v4
	v_cvt_f32_f16_sdwa v85, v4 dst_sel:DWORD dst_unused:UNUSED_PAD src0_sel:WORD_1
	ds_read_u16 v4, v136
	ds_read_u16 v37, v136 offset:32
	v_accvgpr_write_b32 a0, v82
	v_accvgpr_write_b32 a1, v83
	;; [unrolled: 1-line block ×3, first 2 shown]
	s_waitcnt lgkmcnt(1)
	v_perm_b32 v1, v4, v1, s33
	ds_read_u16 v4, v134
	ds_read_u16 v40, v134 offset:32
	v_accvgpr_write_b32 a3, v85
	v_cvt_f32_f16_e32 v82, v6
	v_cvt_f32_f16_sdwa v83, v6 dst_sel:DWORD dst_unused:UNUSED_PAD src0_sel:WORD_1
	s_waitcnt lgkmcnt(1)
	v_perm_b32 v0, v0, v4, s33
	v_cvt_f32_f16_e32 v84, v5
	v_cvt_f32_f16_sdwa v85, v5 dst_sel:DWORD dst_unused:UNUSED_PAD src0_sel:WORD_1
	v_mfma_f32_16x16x16f16 a[0:3], v[0:1], v[34:35], a[0:3]
	s_nop 7
	s_nop 2
	v_accvgpr_read_b32 v4, a2
	v_accvgpr_read_b32 v0, a0
	;; [unrolled: 1-line block ×3, first 2 shown]
	v_cvt_f16_f32_e32 v43, v4
	v_accvgpr_read_b32 v4, a3
	v_cvt_f16_f32_e32 v0, v0
	v_cvt_f16_f32_e32 v1, v1
	;; [unrolled: 1-line block ×3, first 2 shown]
	v_accvgpr_write_b32 a0, v82
	v_accvgpr_write_b32 a1, v83
	v_pack_b32_f16 v4, v0, v1
	v_pack_b32_f16 v1, v43, v44
	ds_read_u16 v0, v199 offset:528
	ds_read_u16 v43, v199 offset:1056
	v_accvgpr_write_b32 a2, v84
	v_accvgpr_write_b32 a3, v85
	v_cvt_f32_f16_e32 v82, v8
	s_waitcnt lgkmcnt(1)
	v_perm_b32 v44, v0, v40, s33
	s_waitcnt lgkmcnt(0)
	v_perm_b32 v45, v37, v43, s33
	v_cvt_f32_f16_sdwa v83, v8 dst_sel:DWORD dst_unused:UNUSED_PAD src0_sel:WORD_1
	v_cvt_f32_f16_e32 v84, v7
	v_mfma_f32_16x16x16f16 a[0:3], v[44:45], v[34:35], a[0:3]
	v_cvt_f32_f16_sdwa v85, v7 dst_sel:DWORD dst_unused:UNUSED_PAD src0_sel:WORD_1
	s_nop 7
	s_nop 1
	v_accvgpr_read_b32 v6, a2
	v_accvgpr_read_b32 v0, a0
	v_accvgpr_read_b32 v5, a1
	v_cvt_f16_f32_e32 v37, v6
	v_accvgpr_read_b32 v6, a3
	v_cvt_f16_f32_e32 v0, v0
	v_cvt_f16_f32_e32 v5, v5
	v_cvt_f16_f32_e32 v40, v6
	v_accvgpr_write_b32 a0, v82
	v_accvgpr_write_b32 a1, v83
	v_pack_b32_f16 v6, v0, v5
	v_pack_b32_f16 v5, v37, v40
	ds_read_u16 v0, v134 offset:64
	ds_read_u16 v37, v203 offset:528
	ds_read_u16 v40, v203 offset:1056
	ds_read_u16 v43, v136 offset:64
	v_accvgpr_write_b32 a2, v84
	v_accvgpr_write_b32 a3, v85
	s_waitcnt lgkmcnt(2)
	v_perm_b32 v44, v37, v0, s33
	v_cvt_f32_f16_e32 v82, v10
	s_waitcnt lgkmcnt(0)
	v_perm_b32 v45, v43, v40, s33
	v_cvt_f32_f16_sdwa v83, v10 dst_sel:DWORD dst_unused:UNUSED_PAD src0_sel:WORD_1
	v_cvt_f32_f16_e32 v84, v9
	v_mfma_f32_16x16x16f16 a[0:3], v[44:45], v[34:35], a[0:3]
	v_cvt_f32_f16_sdwa v85, v9 dst_sel:DWORD dst_unused:UNUSED_PAD src0_sel:WORD_1
	s_nop 7
	s_nop 1
	v_accvgpr_read_b32 v8, a2
	v_accvgpr_read_b32 v0, a0
	v_accvgpr_read_b32 v7, a1
	v_cvt_f16_f32_e32 v37, v8
	v_accvgpr_read_b32 v8, a3
	v_cvt_f16_f32_e32 v0, v0
	v_cvt_f16_f32_e32 v7, v7
	v_cvt_f16_f32_e32 v40, v8
	v_accvgpr_write_b32 a0, v82
	v_accvgpr_write_b32 a1, v83
	v_pack_b32_f16 v8, v0, v7
	v_pack_b32_f16 v7, v37, v40
	ds_read_u16 v0, v134 offset:96
	ds_read_u16 v37, v196 offset:528
	ds_read_u16 v40, v196 offset:1056
	ds_read_u16 v43, v136 offset:96
	v_accvgpr_write_b32 a2, v84
	v_accvgpr_write_b32 a3, v85
	s_waitcnt lgkmcnt(2)
	v_perm_b32 v44, v37, v0, s33
	v_cvt_f32_f16_e32 v82, v12
	;; [unrolled: 29-line block ×13, first 2 shown]
	s_waitcnt lgkmcnt(0)
	v_perm_b32 v45, v43, v40, s33
	v_cvt_f32_f16_sdwa v83, v36 dst_sel:DWORD dst_unused:UNUSED_PAD src0_sel:WORD_1
	v_cvt_f32_f16_e32 v84, v33
	v_mfma_f32_16x16x16f16 a[0:3], v[44:45], v[34:35], a[0:3]
	v_cvt_f32_f16_sdwa v85, v33 dst_sel:DWORD dst_unused:UNUSED_PAD src0_sel:WORD_1
	s_nop 7
	s_nop 1
	v_accvgpr_read_b32 v32, a2
	v_accvgpr_read_b32 v0, a0
	;; [unrolled: 1-line block ×3, first 2 shown]
	v_cvt_f16_f32_e32 v37, v32
	v_accvgpr_read_b32 v32, a3
	v_cvt_f16_f32_e32 v0, v0
	v_cvt_f16_f32_e32 v31, v31
	;; [unrolled: 1-line block ×3, first 2 shown]
	v_accvgpr_write_b32 a0, v82
	v_accvgpr_write_b32 a1, v83
	v_pack_b32_f16 v32, v0, v31
	v_pack_b32_f16 v31, v37, v40
	ds_read_u16 v0, v134 offset:480
	ds_read_u16 v40, v189 offset:528
	;; [unrolled: 1-line block ×4, first 2 shown]
	v_accvgpr_write_b32 a2, v84
	v_accvgpr_write_b32 a3, v85
	s_waitcnt lgkmcnt(2)
	v_perm_b32 v36, v40, v0, s33
	s_waitcnt lgkmcnt(0)
	v_perm_b32 v37, v43, v37, s33
	s_barrier
	s_nop 0
	v_mfma_f32_16x16x16f16 a[0:3], v[36:37], v[34:35], a[0:3]
	s_nop 7
	s_nop 2
	v_accvgpr_read_b32 v0, a0
	v_accvgpr_read_b32 v33, a1
	v_cvt_f16_f32_e32 v0, v0
	v_cvt_f16_f32_e32 v33, v33
	v_accvgpr_read_b32 v34, a2
	v_cvt_f16_f32_e32 v35, v34
	v_accvgpr_read_b32 v34, a3
	v_cvt_f16_f32_e32 v36, v34
	v_pack_b32_f16 v34, v0, v33
	ds_bpermute_b32 v0, v39, v3
	v_pack_b32_f16 v33, v35, v36
	s_waitcnt lgkmcnt(0)
	v_add_f32_e32 v0, v3, v0
	ds_bpermute_b32 v3, v41, v0
	s_waitcnt lgkmcnt(0)
	v_add_f32_e32 v3, v0, v3
	s_and_saveexec_b64 s[40:41], s[38:39]
	s_xor_b64 s[38:39], exec, s[40:41]
	s_mov_b32 s85, s71
	s_or_saveexec_b64 s[38:39], s[38:39]
	s_mov_b32 s84, s65
	s_xor_b64 exec, exec, s[38:39]
	s_cbranch_execz .LBB29_62
; %bb.61:                               ;   in Loop: Header=BB29_16 Depth=1
	global_load_dword v0, v237, s[88:89]
	v_max_f32_e32 v36, v2, v2
	s_waitcnt vmcnt(0)
	v_max_f32_e32 v35, v0, v0
	v_max_f32_e32 v36, v36, v35
	v_sub_f32_e32 v2, v2, v36
	v_mul_f32_e32 v35, 0x3fb8aa3b, v2
	v_fma_f32 v37, v2, s87, -v35
	v_rndne_f32_e32 v40, v35
	v_fmac_f32_e32 v37, 0x32a5705f, v2
	v_sub_f32_e32 v35, v35, v40
	v_add_f32_e32 v35, v35, v37
	v_exp_f32_e32 v35, v35
	v_cvt_i32_f32_e32 v37, v40
	v_cmp_ngt_f32_e32 vcc, s94, v2
	v_sub_f32_e32 v0, v0, v36
	v_ldexp_f32 v35, v35, v37
	v_cndmask_b32_e32 v35, 0, v35, vcc
	v_cmp_nlt_f32_e32 vcc, s81, v2
	v_cndmask_b32_e32 v35, v183, v35, vcc
	v_cmp_le_f32_e32 vcc, s95, v2
	v_cndmask_b32_e32 v2, 0, v35, vcc
	v_cvt_f16_f32_e32 v35, v2
	v_cmp_ngt_f32_e32 vcc, s94, v0
	v_pk_mul_f16 v4, v35, v4 op_sel_hi:[0,1]
	v_pk_mul_f16 v1, v35, v1 op_sel_hi:[0,1]
	;; [unrolled: 1-line block ×32, first 2 shown]
	v_mul_f32_e32 v35, 0x3fb8aa3b, v0
	v_fma_f32 v37, v0, s87, -v35
	v_rndne_f32_e32 v40, v35
	v_fmac_f32_e32 v37, 0x32a5705f, v0
	v_sub_f32_e32 v35, v35, v40
	v_add_f32_e32 v35, v35, v37
	v_exp_f32_e32 v35, v35
	v_cvt_i32_f32_e32 v37, v40
	v_ldexp_f32 v35, v35, v37
	v_cndmask_b32_e32 v35, 0, v35, vcc
	v_cmp_nlt_f32_e32 vcc, s81, v0
	v_cndmask_b32_e32 v37, v183, v35, vcc
	v_fmac_f32_e32 v37, v3, v2
	v_pk_mov_b32 v[2:3], v[36:37], v[36:37] op_sel:[0,1]
.LBB29_62:                              ;   in Loop: Header=BB29_16 Depth=1
	s_or_b64 exec, exec, s[38:39]
	s_mov_b64 s[38:39], exec
	v_readlane_b32 s40, v255, 15
	v_readlane_b32 s41, v255, 16
	s_and_b64 s[40:41], s[38:39], s[40:41]
	s_mov_b64 exec, s[40:41]
	s_cbranch_execz .LBB29_64
; %bb.63:                               ;   in Loop: Header=BB29_16 Depth=1
	v_add_u32_e32 v0, 0, v153
	ds_write2_b32 v0, v2, v3 offset0:128 offset1:129
.LBB29_64:                              ;   in Loop: Header=BB29_16 Depth=1
	s_or_b64 exec, exec, s[38:39]
	s_waitcnt lgkmcnt(0)
	s_barrier
	s_mov_b64 s[38:39], exec
	v_readlane_b32 s40, v255, 13
	v_readlane_b32 s41, v255, 14
	s_and_b64 s[40:41], s[38:39], s[40:41]
	s_xor_b64 s[38:39], s[40:41], s[38:39]
	s_mov_b64 exec, s[40:41]
	s_cbranch_execz .LBB29_66
; %bb.65:                               ;   in Loop: Header=BB29_16 Depth=1
	s_barrier
	s_waitcnt lgkmcnt(0)
                                        ; implicit-def: $vgpr39
                                        ; implicit-def: $vgpr41
.LBB29_66:                              ;   in Loop: Header=BB29_16 Depth=1
	s_andn2_saveexec_b64 s[38:39], s[38:39]
	s_cbranch_execz .LBB29_70
; %bb.67:                               ;   in Loop: Header=BB29_16 Depth=1
	v_add_u32_e32 v0, 0, v153
	ds_read_b64 v[36:37], v0 offset:512
	s_waitcnt lgkmcnt(0)
	s_barrier
	ds_bpermute_b32 v2, v39, v36
	v_max_f32_e32 v3, v36, v36
	s_waitcnt lgkmcnt(0)
	v_max_f32_e32 v2, v2, v2
	v_max_f32_e32 v2, v3, v2
	ds_bpermute_b32 v3, v41, v2
	s_waitcnt lgkmcnt(0)
	v_max_f32_e32 v3, v3, v3
	v_max_f32_e32 v2, v2, v3
	v_sub_f32_e32 v3, v36, v2
	v_mul_f32_e32 v35, 0x3fb8aa3b, v3
	v_fma_f32 v36, v3, s87, -v35
	v_rndne_f32_e32 v40, v35
	v_fmac_f32_e32 v36, 0x32a5705f, v3
	v_sub_f32_e32 v35, v35, v40
	v_add_f32_e32 v35, v35, v36
	v_cvt_i32_f32_e32 v40, v40
	v_exp_f32_e32 v35, v35
	v_cmp_ngt_f32_e32 vcc, s94, v3
	v_ldexp_f32 v35, v35, v40
	v_cndmask_b32_e32 v35, 0, v35, vcc
	v_cmp_nlt_f32_e32 vcc, s81, v3
	v_cndmask_b32_e32 v36, v183, v35, vcc
	v_mul_f32_e32 v3, v37, v36
	ds_bpermute_b32 v3, v39, v3
	s_waitcnt lgkmcnt(0)
	v_fmac_f32_e32 v3, v37, v36
	ds_bpermute_b32 v35, v41, v3
	s_waitcnt lgkmcnt(0)
	v_add_f32_e32 v37, v3, v35
	ds_write_b64 v0, v[36:37] offset:512
	s_mov_b64 s[40:41], exec
	v_readlane_b32 s42, v255, 15
	v_readlane_b32 s43, v255, 16
	s_and_b64 s[42:43], s[40:41], s[42:43]
	s_mov_b64 exec, s[42:43]
	s_cbranch_execz .LBB29_69
; %bb.68:                               ;   in Loop: Header=BB29_16 Depth=1
	v_mov_b32_e32 v3, v37
	v_accvgpr_read_b32 v37, a11
	v_accvgpr_read_b32 v36, a10
	global_store_dwordx2 v[36:37], v[2:3], off
.LBB29_69:                              ;   in Loop: Header=BB29_16 Depth=1
	s_or_b64 exec, exec, s[40:41]
.LBB29_70:                              ;   in Loop: Header=BB29_16 Depth=1
	s_or_b64 exec, exec, s[38:39]
	ds_write2_b32 v154, v4, v1 offset1:1
	ds_write2_b32 v154, v6, v5 offset0:8 offset1:9
	ds_write2_b32 v154, v8, v7 offset0:16 offset1:17
	;; [unrolled: 1-line block ×15, first 2 shown]
	s_waitcnt lgkmcnt(0)
	s_barrier
	s_and_saveexec_b64 s[38:39], s[44:45]
	s_cbranch_execz .LBB29_148
; %bb.71:                               ;   in Loop: Header=BB29_16 Depth=1
	v_add_u32_e32 v1, s76, v137
	v_readlane_b32 s40, v254, 59
	v_readlane_b32 s41, v254, 60
	v_cmp_gt_i32_e32 vcc, s40, v1
	v_mov_b32_e32 v0, 0x47
	v_readlane_b32 s42, v254, 61
	v_readlane_b32 s43, v254, 62
	s_and_saveexec_b64 s[40:41], vcc
	s_cbranch_execz .LBB29_73
; %bb.72:                               ;   in Loop: Header=BB29_16 Depth=1
	v_readlane_b32 s42, v254, 63
	v_mul_lo_u32 v14, s42, v1
	v_accvgpr_read_b32 v0, a26
	v_add_u32_e32 v2, 0, v0
	v_add_u32_e32 v8, v38, v14
	ds_read2st64_b32 v[0:1], v2 offset0:2 offset1:35
	ds_read2st64_b32 v[2:3], v2 offset0:68 offset1:101
	ds_read2st64_b32 v[4:5], v156 offset1:1
	ds_read2st64_b32 v[6:7], v156 offset0:33 offset1:66
	ds_read_b32 v15, v156 offset:25344
	v_ashrrev_i32_e32 v9, 31, v8
	v_lshlrev_b64 v[8:9], 3, v[8:9]
	v_readlane_b32 s42, v255, 21
	v_add_co_u32_e32 v8, vcc, s42, v8
	v_mov_b32_e32 v10, s78
	v_addc_co_u32_e32 v9, vcc, v10, v9, vcc
	s_waitcnt lgkmcnt(2)
	v_cvt_f32_f16_sdwa v11, v4 dst_sel:DWORD dst_unused:UNUSED_PAD src0_sel:WORD_1
	v_cvt_f32_f16_e32 v10, v4
	s_waitcnt lgkmcnt(1)
	v_cvt_f32_f16_sdwa v13, v6 dst_sel:DWORD dst_unused:UNUSED_PAD src0_sel:WORD_1
	v_cvt_f32_f16_e32 v12, v6
	v_mov_b32_e32 v4, v1
	v_pk_fma_f32 v[10:11], v[0:1], v[10:11], 0 op_sel_hi:[0,1,0]
	v_ashrrev_i32_e32 v1, 31, v14
	v_pk_fma_f32 v[10:11], v[4:5], v[12:13], v[10:11] op_sel_hi:[0,1,1]
	v_cvt_f32_f16_sdwa v13, v7 dst_sel:DWORD dst_unused:UNUSED_PAD src0_sel:WORD_1
	v_cvt_f32_f16_e32 v12, v7
	v_pk_fma_f32 v[6:7], v[2:3], v[12:13], v[10:11] op_sel_hi:[0,1,1]
	s_waitcnt lgkmcnt(0)
	v_cvt_f32_f16_sdwa v11, v15 dst_sel:DWORD dst_unused:UNUSED_PAD src0_sel:WORD_1
	v_cvt_f32_f16_e32 v10, v15
	v_mov_b32_e32 v12, v3
	v_pk_fma_f32 v[6:7], v[12:13], v[10:11], v[6:7] op_sel_hi:[0,1,1]
	global_store_dwordx2 v[8:9], v[6:7], off
	ds_read2st64_b32 v[6:7], v158 offset0:33 offset1:66
	ds_read_b32 v13, v158 offset:25344
	v_add_co_u32_e32 v8, vcc, v38, v14
	v_cvt_f32_f16_sdwa v11, v5 dst_sel:DWORD dst_unused:UNUSED_PAD src0_sel:WORD_1
	v_cvt_f32_f16_e32 v10, v5
	v_addc_co_u32_e32 v9, vcc, 0, v1, vcc
	v_lshlrev_b64 v[8:9], 3, v[8:9]
	v_add_co_u32_e32 v8, vcc, s42, v8
	v_mov_b32_e32 v1, s78
	v_addc_co_u32_e32 v9, vcc, v1, v9, vcc
	v_pk_fma_f32 v[0:1], v[0:1], v[10:11], 0 op_sel_hi:[0,1,0]
	s_waitcnt lgkmcnt(1)
	v_cvt_f32_f16_sdwa v11, v6 dst_sel:DWORD dst_unused:UNUSED_PAD src0_sel:WORD_1
	v_cvt_f32_f16_e32 v10, v6
	v_pk_fma_f32 v[0:1], v[4:5], v[10:11], v[0:1] op_sel_hi:[0,1,1]
	v_cvt_f32_f16_sdwa v5, v7 dst_sel:DWORD dst_unused:UNUSED_PAD src0_sel:WORD_1
	v_cvt_f32_f16_e32 v4, v7
	v_pk_fma_f32 v[0:1], v[2:3], v[4:5], v[0:1] op_sel_hi:[0,1,1]
	s_waitcnt lgkmcnt(0)
	v_cvt_f32_f16_sdwa v3, v13 dst_sel:DWORD dst_unused:UNUSED_PAD src0_sel:WORD_1
	v_cvt_f32_f16_e32 v2, v13
	v_pk_fma_f32 v[0:1], v[12:13], v[2:3], v[0:1] op_sel_hi:[0,1,1]
	global_store_dwordx2 v[8:9], v[0:1], off offset:512
	v_mov_b32_e32 v0, 0
.LBB29_73:                              ;   in Loop: Header=BB29_16 Depth=1
	s_or_b64 exec, exec, s[40:41]
	s_movk_i32 s40, 0x47
	v_cmp_gt_i32_e32 vcc, s40, v0
	s_mov_b64 s[40:41], -1
	s_and_saveexec_b64 s[42:43], vcc
; %bb.74:                               ;   in Loop: Header=BB29_16 Depth=1
	v_cmp_eq_u32_e32 vcc, 0, v0
	s_orn2_b64 s[40:41], vcc, exec
; %bb.75:                               ;   in Loop: Header=BB29_16 Depth=1
	s_or_b64 exec, exec, s[42:43]
	s_and_b64 exec, exec, s[40:41]
	s_cbranch_execz .LBB29_148
; %bb.76:                               ;   in Loop: Header=BB29_16 Depth=1
	v_accvgpr_read_b32 v0, a9
	v_add_u32_e32 v1, s76, v0
	v_readlane_b32 s40, v254, 59
	v_readlane_b32 s41, v254, 60
	v_cmp_gt_i32_e32 vcc, s40, v1
	v_mov_b32_e32 v0, 0x47
	v_readlane_b32 s42, v254, 61
	v_readlane_b32 s43, v254, 62
	s_and_saveexec_b64 s[40:41], vcc
	s_cbranch_execz .LBB29_78
; %bb.77:                               ;   in Loop: Header=BB29_16 Depth=1
	v_readlane_b32 s42, v254, 63
	v_accvgpr_read_b32 v0, a28
	v_mul_lo_u32 v14, s42, v1
	v_add_u32_e32 v2, 0, v0
	v_accvgpr_read_b32 v8, a27
	ds_read2st64_b32 v[0:1], v2 offset0:2 offset1:35
	ds_read2st64_b32 v[2:3], v2 offset0:68 offset1:101
	ds_read2st64_b32 v[4:5], v8 offset1:1
	ds_read2st64_b32 v[6:7], v8 offset0:33 offset1:66
	ds_read_b32 v15, v8 offset:25344
	v_add_u32_e32 v8, v38, v14
	v_ashrrev_i32_e32 v9, 31, v8
	v_lshlrev_b64 v[8:9], 3, v[8:9]
	v_readlane_b32 s42, v255, 21
	v_add_co_u32_e32 v8, vcc, s42, v8
	v_mov_b32_e32 v10, s78
	v_addc_co_u32_e32 v9, vcc, v10, v9, vcc
	s_waitcnt lgkmcnt(2)
	v_cvt_f32_f16_sdwa v11, v4 dst_sel:DWORD dst_unused:UNUSED_PAD src0_sel:WORD_1
	v_cvt_f32_f16_e32 v10, v4
	s_waitcnt lgkmcnt(1)
	v_cvt_f32_f16_sdwa v13, v6 dst_sel:DWORD dst_unused:UNUSED_PAD src0_sel:WORD_1
	v_cvt_f32_f16_e32 v12, v6
	v_mov_b32_e32 v4, v1
	v_pk_fma_f32 v[10:11], v[0:1], v[10:11], 0 op_sel_hi:[0,1,0]
	v_accvgpr_read_b32 v1, a29
	v_pk_fma_f32 v[10:11], v[4:5], v[12:13], v[10:11] op_sel_hi:[0,1,1]
	v_cvt_f32_f16_sdwa v13, v7 dst_sel:DWORD dst_unused:UNUSED_PAD src0_sel:WORD_1
	v_cvt_f32_f16_e32 v12, v7
	v_pk_fma_f32 v[6:7], v[2:3], v[12:13], v[10:11] op_sel_hi:[0,1,1]
	s_waitcnt lgkmcnt(0)
	v_cvt_f32_f16_sdwa v11, v15 dst_sel:DWORD dst_unused:UNUSED_PAD src0_sel:WORD_1
	v_cvt_f32_f16_e32 v10, v15
	v_mov_b32_e32 v12, v3
	v_pk_fma_f32 v[6:7], v[12:13], v[10:11], v[6:7] op_sel_hi:[0,1,1]
	global_store_dwordx2 v[8:9], v[6:7], off
	ds_read2st64_b32 v[6:7], v1 offset0:33 offset1:66
	ds_read_b32 v13, v1 offset:25344
	v_ashrrev_i32_e32 v1, 31, v14
	v_add_co_u32_e32 v8, vcc, v38, v14
	v_cvt_f32_f16_sdwa v11, v5 dst_sel:DWORD dst_unused:UNUSED_PAD src0_sel:WORD_1
	v_cvt_f32_f16_e32 v10, v5
	v_addc_co_u32_e32 v9, vcc, 0, v1, vcc
	v_lshlrev_b64 v[8:9], 3, v[8:9]
	v_add_co_u32_e32 v8, vcc, s42, v8
	v_mov_b32_e32 v1, s78
	v_addc_co_u32_e32 v9, vcc, v1, v9, vcc
	v_pk_fma_f32 v[0:1], v[0:1], v[10:11], 0 op_sel_hi:[0,1,0]
	s_waitcnt lgkmcnt(1)
	v_cvt_f32_f16_sdwa v11, v6 dst_sel:DWORD dst_unused:UNUSED_PAD src0_sel:WORD_1
	v_cvt_f32_f16_e32 v10, v6
	v_pk_fma_f32 v[0:1], v[4:5], v[10:11], v[0:1] op_sel_hi:[0,1,1]
	v_cvt_f32_f16_sdwa v5, v7 dst_sel:DWORD dst_unused:UNUSED_PAD src0_sel:WORD_1
	v_cvt_f32_f16_e32 v4, v7
	v_pk_fma_f32 v[0:1], v[2:3], v[4:5], v[0:1] op_sel_hi:[0,1,1]
	s_waitcnt lgkmcnt(0)
	v_cvt_f32_f16_sdwa v3, v13 dst_sel:DWORD dst_unused:UNUSED_PAD src0_sel:WORD_1
	v_cvt_f32_f16_e32 v2, v13
	v_pk_fma_f32 v[0:1], v[12:13], v[2:3], v[0:1] op_sel_hi:[0,1,1]
	global_store_dwordx2 v[8:9], v[0:1], off offset:512
	v_mov_b32_e32 v0, 0
.LBB29_78:                              ;   in Loop: Header=BB29_16 Depth=1
	s_or_b64 exec, exec, s[40:41]
	s_movk_i32 s40, 0x47
	v_cmp_gt_i32_e32 vcc, s40, v0
	s_mov_b64 s[40:41], -1
	s_and_saveexec_b64 s[42:43], vcc
; %bb.79:                               ;   in Loop: Header=BB29_16 Depth=1
	v_cmp_eq_u32_e32 vcc, 0, v0
	s_orn2_b64 s[40:41], vcc, exec
; %bb.80:                               ;   in Loop: Header=BB29_16 Depth=1
	s_or_b64 exec, exec, s[42:43]
	s_and_b64 exec, exec, s[40:41]
	s_cbranch_execz .LBB29_148
; %bb.81:                               ;   in Loop: Header=BB29_16 Depth=1
	v_accvgpr_read_b32 v0, a12
	v_add_u32_e32 v1, s76, v0
	v_readlane_b32 s40, v254, 59
	v_readlane_b32 s41, v254, 60
	v_cmp_gt_i32_e32 vcc, s40, v1
	v_mov_b32_e32 v0, 0x47
	v_readlane_b32 s42, v254, 61
	v_readlane_b32 s43, v254, 62
	s_and_saveexec_b64 s[40:41], vcc
	s_cbranch_execz .LBB29_83
; %bb.82:                               ;   in Loop: Header=BB29_16 Depth=1
	v_readlane_b32 s42, v254, 63
	v_accvgpr_read_b32 v0, a31
	v_mul_lo_u32 v14, s42, v1
	v_add_u32_e32 v2, 0, v0
	v_accvgpr_read_b32 v8, a30
	ds_read2st64_b32 v[0:1], v2 offset0:2 offset1:35
	ds_read2st64_b32 v[2:3], v2 offset0:68 offset1:101
	ds_read2st64_b32 v[4:5], v8 offset1:1
	ds_read2st64_b32 v[6:7], v8 offset0:33 offset1:66
	ds_read_b32 v15, v8 offset:25344
	v_add_u32_e32 v8, v38, v14
	v_ashrrev_i32_e32 v9, 31, v8
	v_lshlrev_b64 v[8:9], 3, v[8:9]
	v_readlane_b32 s42, v255, 21
	v_add_co_u32_e32 v8, vcc, s42, v8
	v_mov_b32_e32 v10, s78
	v_addc_co_u32_e32 v9, vcc, v10, v9, vcc
	s_waitcnt lgkmcnt(2)
	v_cvt_f32_f16_sdwa v11, v4 dst_sel:DWORD dst_unused:UNUSED_PAD src0_sel:WORD_1
	v_cvt_f32_f16_e32 v10, v4
	s_waitcnt lgkmcnt(1)
	v_cvt_f32_f16_sdwa v13, v6 dst_sel:DWORD dst_unused:UNUSED_PAD src0_sel:WORD_1
	v_cvt_f32_f16_e32 v12, v6
	v_mov_b32_e32 v4, v1
	v_pk_fma_f32 v[10:11], v[0:1], v[10:11], 0 op_sel_hi:[0,1,0]
	v_accvgpr_read_b32 v1, a32
	v_pk_fma_f32 v[10:11], v[4:5], v[12:13], v[10:11] op_sel_hi:[0,1,1]
	v_cvt_f32_f16_sdwa v13, v7 dst_sel:DWORD dst_unused:UNUSED_PAD src0_sel:WORD_1
	v_cvt_f32_f16_e32 v12, v7
	v_pk_fma_f32 v[6:7], v[2:3], v[12:13], v[10:11] op_sel_hi:[0,1,1]
	s_waitcnt lgkmcnt(0)
	v_cvt_f32_f16_sdwa v11, v15 dst_sel:DWORD dst_unused:UNUSED_PAD src0_sel:WORD_1
	v_cvt_f32_f16_e32 v10, v15
	v_mov_b32_e32 v12, v3
	v_pk_fma_f32 v[6:7], v[12:13], v[10:11], v[6:7] op_sel_hi:[0,1,1]
	global_store_dwordx2 v[8:9], v[6:7], off
	ds_read2st64_b32 v[6:7], v1 offset0:33 offset1:66
	ds_read_b32 v13, v1 offset:25344
	v_ashrrev_i32_e32 v1, 31, v14
	v_add_co_u32_e32 v8, vcc, v38, v14
	v_cvt_f32_f16_sdwa v11, v5 dst_sel:DWORD dst_unused:UNUSED_PAD src0_sel:WORD_1
	v_cvt_f32_f16_e32 v10, v5
	v_addc_co_u32_e32 v9, vcc, 0, v1, vcc
	v_lshlrev_b64 v[8:9], 3, v[8:9]
	v_add_co_u32_e32 v8, vcc, s42, v8
	v_mov_b32_e32 v1, s78
	v_addc_co_u32_e32 v9, vcc, v1, v9, vcc
	v_pk_fma_f32 v[0:1], v[0:1], v[10:11], 0 op_sel_hi:[0,1,0]
	s_waitcnt lgkmcnt(1)
	v_cvt_f32_f16_sdwa v11, v6 dst_sel:DWORD dst_unused:UNUSED_PAD src0_sel:WORD_1
	v_cvt_f32_f16_e32 v10, v6
	v_pk_fma_f32 v[0:1], v[4:5], v[10:11], v[0:1] op_sel_hi:[0,1,1]
	v_cvt_f32_f16_sdwa v5, v7 dst_sel:DWORD dst_unused:UNUSED_PAD src0_sel:WORD_1
	v_cvt_f32_f16_e32 v4, v7
	v_pk_fma_f32 v[0:1], v[2:3], v[4:5], v[0:1] op_sel_hi:[0,1,1]
	s_waitcnt lgkmcnt(0)
	v_cvt_f32_f16_sdwa v3, v13 dst_sel:DWORD dst_unused:UNUSED_PAD src0_sel:WORD_1
	v_cvt_f32_f16_e32 v2, v13
	v_pk_fma_f32 v[0:1], v[12:13], v[2:3], v[0:1] op_sel_hi:[0,1,1]
	global_store_dwordx2 v[8:9], v[0:1], off offset:512
	v_mov_b32_e32 v0, 0
.LBB29_83:                              ;   in Loop: Header=BB29_16 Depth=1
	s_or_b64 exec, exec, s[40:41]
	s_movk_i32 s40, 0x47
	v_cmp_gt_i32_e32 vcc, s40, v0
	s_mov_b64 s[40:41], -1
	s_and_saveexec_b64 s[42:43], vcc
; %bb.84:                               ;   in Loop: Header=BB29_16 Depth=1
	v_cmp_eq_u32_e32 vcc, 0, v0
	s_orn2_b64 s[40:41], vcc, exec
; %bb.85:                               ;   in Loop: Header=BB29_16 Depth=1
	s_or_b64 exec, exec, s[42:43]
	s_and_b64 exec, exec, s[40:41]
	s_cbranch_execz .LBB29_148
; %bb.86:                               ;   in Loop: Header=BB29_16 Depth=1
	v_accvgpr_read_b32 v0, a13
	v_add_u32_e32 v1, s76, v0
	v_readlane_b32 s40, v254, 59
	v_readlane_b32 s41, v254, 60
	v_cmp_gt_i32_e32 vcc, s40, v1
	v_mov_b32_e32 v0, 0x47
	v_readlane_b32 s42, v254, 61
	v_readlane_b32 s43, v254, 62
	s_and_saveexec_b64 s[40:41], vcc
	s_cbranch_execz .LBB29_88
; %bb.87:                               ;   in Loop: Header=BB29_16 Depth=1
	v_readlane_b32 s42, v254, 63
	v_accvgpr_read_b32 v0, a34
	v_mul_lo_u32 v14, s42, v1
	v_add_u32_e32 v2, 0, v0
	v_accvgpr_read_b32 v8, a33
	ds_read2st64_b32 v[0:1], v2 offset0:2 offset1:35
	ds_read2st64_b32 v[2:3], v2 offset0:68 offset1:101
	ds_read2st64_b32 v[4:5], v8 offset1:1
	ds_read2st64_b32 v[6:7], v8 offset0:33 offset1:66
	ds_read_b32 v15, v8 offset:25344
	v_add_u32_e32 v8, v38, v14
	v_ashrrev_i32_e32 v9, 31, v8
	v_lshlrev_b64 v[8:9], 3, v[8:9]
	v_readlane_b32 s42, v255, 21
	v_add_co_u32_e32 v8, vcc, s42, v8
	v_mov_b32_e32 v10, s78
	v_addc_co_u32_e32 v9, vcc, v10, v9, vcc
	s_waitcnt lgkmcnt(2)
	v_cvt_f32_f16_sdwa v11, v4 dst_sel:DWORD dst_unused:UNUSED_PAD src0_sel:WORD_1
	v_cvt_f32_f16_e32 v10, v4
	s_waitcnt lgkmcnt(1)
	v_cvt_f32_f16_sdwa v13, v6 dst_sel:DWORD dst_unused:UNUSED_PAD src0_sel:WORD_1
	v_cvt_f32_f16_e32 v12, v6
	v_mov_b32_e32 v4, v1
	v_pk_fma_f32 v[10:11], v[0:1], v[10:11], 0 op_sel_hi:[0,1,0]
	v_accvgpr_read_b32 v1, a35
	v_pk_fma_f32 v[10:11], v[4:5], v[12:13], v[10:11] op_sel_hi:[0,1,1]
	v_cvt_f32_f16_sdwa v13, v7 dst_sel:DWORD dst_unused:UNUSED_PAD src0_sel:WORD_1
	v_cvt_f32_f16_e32 v12, v7
	v_pk_fma_f32 v[6:7], v[2:3], v[12:13], v[10:11] op_sel_hi:[0,1,1]
	s_waitcnt lgkmcnt(0)
	v_cvt_f32_f16_sdwa v11, v15 dst_sel:DWORD dst_unused:UNUSED_PAD src0_sel:WORD_1
	v_cvt_f32_f16_e32 v10, v15
	v_mov_b32_e32 v12, v3
	v_pk_fma_f32 v[6:7], v[12:13], v[10:11], v[6:7] op_sel_hi:[0,1,1]
	global_store_dwordx2 v[8:9], v[6:7], off
	ds_read2st64_b32 v[6:7], v1 offset0:33 offset1:66
	ds_read_b32 v13, v1 offset:25344
	v_ashrrev_i32_e32 v1, 31, v14
	v_add_co_u32_e32 v8, vcc, v38, v14
	v_cvt_f32_f16_sdwa v11, v5 dst_sel:DWORD dst_unused:UNUSED_PAD src0_sel:WORD_1
	v_cvt_f32_f16_e32 v10, v5
	v_addc_co_u32_e32 v9, vcc, 0, v1, vcc
	v_lshlrev_b64 v[8:9], 3, v[8:9]
	v_add_co_u32_e32 v8, vcc, s42, v8
	v_mov_b32_e32 v1, s78
	v_addc_co_u32_e32 v9, vcc, v1, v9, vcc
	v_pk_fma_f32 v[0:1], v[0:1], v[10:11], 0 op_sel_hi:[0,1,0]
	s_waitcnt lgkmcnt(1)
	v_cvt_f32_f16_sdwa v11, v6 dst_sel:DWORD dst_unused:UNUSED_PAD src0_sel:WORD_1
	v_cvt_f32_f16_e32 v10, v6
	v_pk_fma_f32 v[0:1], v[4:5], v[10:11], v[0:1] op_sel_hi:[0,1,1]
	v_cvt_f32_f16_sdwa v5, v7 dst_sel:DWORD dst_unused:UNUSED_PAD src0_sel:WORD_1
	v_cvt_f32_f16_e32 v4, v7
	v_pk_fma_f32 v[0:1], v[2:3], v[4:5], v[0:1] op_sel_hi:[0,1,1]
	s_waitcnt lgkmcnt(0)
	v_cvt_f32_f16_sdwa v3, v13 dst_sel:DWORD dst_unused:UNUSED_PAD src0_sel:WORD_1
	v_cvt_f32_f16_e32 v2, v13
	v_pk_fma_f32 v[0:1], v[12:13], v[2:3], v[0:1] op_sel_hi:[0,1,1]
	global_store_dwordx2 v[8:9], v[0:1], off offset:512
	v_mov_b32_e32 v0, 0
.LBB29_88:                              ;   in Loop: Header=BB29_16 Depth=1
	s_or_b64 exec, exec, s[40:41]
	s_movk_i32 s40, 0x47
	v_cmp_gt_i32_e32 vcc, s40, v0
	s_mov_b64 s[40:41], -1
	s_and_saveexec_b64 s[42:43], vcc
; %bb.89:                               ;   in Loop: Header=BB29_16 Depth=1
	v_cmp_eq_u32_e32 vcc, 0, v0
	s_orn2_b64 s[40:41], vcc, exec
; %bb.90:                               ;   in Loop: Header=BB29_16 Depth=1
	s_or_b64 exec, exec, s[42:43]
	s_and_b64 exec, exec, s[40:41]
	s_cbranch_execz .LBB29_148
; %bb.91:                               ;   in Loop: Header=BB29_16 Depth=1
	v_accvgpr_read_b32 v0, a14
	v_add_u32_e32 v1, s76, v0
	v_readlane_b32 s40, v254, 59
	v_readlane_b32 s41, v254, 60
	v_cmp_gt_i32_e32 vcc, s40, v1
	v_mov_b32_e32 v0, 0x47
	v_readlane_b32 s42, v254, 61
	v_readlane_b32 s43, v254, 62
	s_and_saveexec_b64 s[40:41], vcc
	s_cbranch_execz .LBB29_93
; %bb.92:                               ;   in Loop: Header=BB29_16 Depth=1
	v_readlane_b32 s42, v254, 63
	v_accvgpr_read_b32 v0, a37
	v_mul_lo_u32 v14, s42, v1
	v_add_u32_e32 v2, 0, v0
	v_accvgpr_read_b32 v8, a36
	ds_read2st64_b32 v[0:1], v2 offset0:2 offset1:35
	ds_read2st64_b32 v[2:3], v2 offset0:68 offset1:101
	ds_read2st64_b32 v[4:5], v8 offset1:1
	ds_read2st64_b32 v[6:7], v8 offset0:33 offset1:66
	ds_read_b32 v15, v8 offset:25344
	v_add_u32_e32 v8, v38, v14
	v_ashrrev_i32_e32 v9, 31, v8
	v_lshlrev_b64 v[8:9], 3, v[8:9]
	v_readlane_b32 s42, v255, 21
	v_add_co_u32_e32 v8, vcc, s42, v8
	v_mov_b32_e32 v10, s78
	v_addc_co_u32_e32 v9, vcc, v10, v9, vcc
	s_waitcnt lgkmcnt(2)
	v_cvt_f32_f16_sdwa v11, v4 dst_sel:DWORD dst_unused:UNUSED_PAD src0_sel:WORD_1
	v_cvt_f32_f16_e32 v10, v4
	s_waitcnt lgkmcnt(1)
	v_cvt_f32_f16_sdwa v13, v6 dst_sel:DWORD dst_unused:UNUSED_PAD src0_sel:WORD_1
	v_cvt_f32_f16_e32 v12, v6
	v_mov_b32_e32 v4, v1
	v_pk_fma_f32 v[10:11], v[0:1], v[10:11], 0 op_sel_hi:[0,1,0]
	v_accvgpr_read_b32 v1, a38
	v_pk_fma_f32 v[10:11], v[4:5], v[12:13], v[10:11] op_sel_hi:[0,1,1]
	v_cvt_f32_f16_sdwa v13, v7 dst_sel:DWORD dst_unused:UNUSED_PAD src0_sel:WORD_1
	v_cvt_f32_f16_e32 v12, v7
	v_pk_fma_f32 v[6:7], v[2:3], v[12:13], v[10:11] op_sel_hi:[0,1,1]
	s_waitcnt lgkmcnt(0)
	v_cvt_f32_f16_sdwa v11, v15 dst_sel:DWORD dst_unused:UNUSED_PAD src0_sel:WORD_1
	v_cvt_f32_f16_e32 v10, v15
	v_mov_b32_e32 v12, v3
	v_pk_fma_f32 v[6:7], v[12:13], v[10:11], v[6:7] op_sel_hi:[0,1,1]
	global_store_dwordx2 v[8:9], v[6:7], off
	ds_read2st64_b32 v[6:7], v1 offset0:33 offset1:66
	ds_read_b32 v13, v1 offset:25344
	v_ashrrev_i32_e32 v1, 31, v14
	v_add_co_u32_e32 v8, vcc, v38, v14
	v_cvt_f32_f16_sdwa v11, v5 dst_sel:DWORD dst_unused:UNUSED_PAD src0_sel:WORD_1
	v_cvt_f32_f16_e32 v10, v5
	v_addc_co_u32_e32 v9, vcc, 0, v1, vcc
	v_lshlrev_b64 v[8:9], 3, v[8:9]
	v_add_co_u32_e32 v8, vcc, s42, v8
	v_mov_b32_e32 v1, s78
	v_addc_co_u32_e32 v9, vcc, v1, v9, vcc
	v_pk_fma_f32 v[0:1], v[0:1], v[10:11], 0 op_sel_hi:[0,1,0]
	s_waitcnt lgkmcnt(1)
	v_cvt_f32_f16_sdwa v11, v6 dst_sel:DWORD dst_unused:UNUSED_PAD src0_sel:WORD_1
	v_cvt_f32_f16_e32 v10, v6
	v_pk_fma_f32 v[0:1], v[4:5], v[10:11], v[0:1] op_sel_hi:[0,1,1]
	v_cvt_f32_f16_sdwa v5, v7 dst_sel:DWORD dst_unused:UNUSED_PAD src0_sel:WORD_1
	v_cvt_f32_f16_e32 v4, v7
	v_pk_fma_f32 v[0:1], v[2:3], v[4:5], v[0:1] op_sel_hi:[0,1,1]
	s_waitcnt lgkmcnt(0)
	v_cvt_f32_f16_sdwa v3, v13 dst_sel:DWORD dst_unused:UNUSED_PAD src0_sel:WORD_1
	v_cvt_f32_f16_e32 v2, v13
	v_pk_fma_f32 v[0:1], v[12:13], v[2:3], v[0:1] op_sel_hi:[0,1,1]
	global_store_dwordx2 v[8:9], v[0:1], off offset:512
	v_mov_b32_e32 v0, 0
.LBB29_93:                              ;   in Loop: Header=BB29_16 Depth=1
	s_or_b64 exec, exec, s[40:41]
	s_movk_i32 s40, 0x47
	v_cmp_gt_i32_e32 vcc, s40, v0
	s_mov_b64 s[40:41], -1
	s_and_saveexec_b64 s[42:43], vcc
; %bb.94:                               ;   in Loop: Header=BB29_16 Depth=1
	v_cmp_eq_u32_e32 vcc, 0, v0
	s_orn2_b64 s[40:41], vcc, exec
; %bb.95:                               ;   in Loop: Header=BB29_16 Depth=1
	s_or_b64 exec, exec, s[42:43]
	s_and_b64 exec, exec, s[40:41]
	s_cbranch_execz .LBB29_148
; %bb.96:                               ;   in Loop: Header=BB29_16 Depth=1
	v_accvgpr_read_b32 v0, a15
	v_add_u32_e32 v1, s76, v0
	v_readlane_b32 s40, v254, 59
	v_readlane_b32 s41, v254, 60
	v_cmp_gt_i32_e32 vcc, s40, v1
	v_mov_b32_e32 v0, 0x47
	v_readlane_b32 s42, v254, 61
	v_readlane_b32 s43, v254, 62
	s_and_saveexec_b64 s[40:41], vcc
	s_cbranch_execz .LBB29_98
; %bb.97:                               ;   in Loop: Header=BB29_16 Depth=1
	v_readlane_b32 s42, v254, 63
	v_accvgpr_read_b32 v0, a40
	v_mul_lo_u32 v14, s42, v1
	v_add_u32_e32 v2, 0, v0
	v_accvgpr_read_b32 v8, a39
	ds_read2st64_b32 v[0:1], v2 offset0:2 offset1:35
	ds_read2st64_b32 v[2:3], v2 offset0:68 offset1:101
	ds_read2st64_b32 v[4:5], v8 offset1:1
	ds_read2st64_b32 v[6:7], v8 offset0:33 offset1:66
	ds_read_b32 v15, v8 offset:25344
	v_add_u32_e32 v8, v38, v14
	v_ashrrev_i32_e32 v9, 31, v8
	v_lshlrev_b64 v[8:9], 3, v[8:9]
	v_readlane_b32 s42, v255, 21
	v_add_co_u32_e32 v8, vcc, s42, v8
	v_mov_b32_e32 v10, s78
	v_addc_co_u32_e32 v9, vcc, v10, v9, vcc
	s_waitcnt lgkmcnt(2)
	v_cvt_f32_f16_sdwa v11, v4 dst_sel:DWORD dst_unused:UNUSED_PAD src0_sel:WORD_1
	v_cvt_f32_f16_e32 v10, v4
	s_waitcnt lgkmcnt(1)
	v_cvt_f32_f16_sdwa v13, v6 dst_sel:DWORD dst_unused:UNUSED_PAD src0_sel:WORD_1
	v_cvt_f32_f16_e32 v12, v6
	v_mov_b32_e32 v4, v1
	v_pk_fma_f32 v[10:11], v[0:1], v[10:11], 0 op_sel_hi:[0,1,0]
	v_accvgpr_read_b32 v1, a41
	v_pk_fma_f32 v[10:11], v[4:5], v[12:13], v[10:11] op_sel_hi:[0,1,1]
	v_cvt_f32_f16_sdwa v13, v7 dst_sel:DWORD dst_unused:UNUSED_PAD src0_sel:WORD_1
	v_cvt_f32_f16_e32 v12, v7
	v_pk_fma_f32 v[6:7], v[2:3], v[12:13], v[10:11] op_sel_hi:[0,1,1]
	s_waitcnt lgkmcnt(0)
	v_cvt_f32_f16_sdwa v11, v15 dst_sel:DWORD dst_unused:UNUSED_PAD src0_sel:WORD_1
	v_cvt_f32_f16_e32 v10, v15
	v_mov_b32_e32 v12, v3
	v_pk_fma_f32 v[6:7], v[12:13], v[10:11], v[6:7] op_sel_hi:[0,1,1]
	global_store_dwordx2 v[8:9], v[6:7], off
	ds_read2st64_b32 v[6:7], v1 offset0:33 offset1:66
	ds_read_b32 v13, v1 offset:25344
	v_ashrrev_i32_e32 v1, 31, v14
	v_add_co_u32_e32 v8, vcc, v38, v14
	v_cvt_f32_f16_sdwa v11, v5 dst_sel:DWORD dst_unused:UNUSED_PAD src0_sel:WORD_1
	v_cvt_f32_f16_e32 v10, v5
	v_addc_co_u32_e32 v9, vcc, 0, v1, vcc
	v_lshlrev_b64 v[8:9], 3, v[8:9]
	v_add_co_u32_e32 v8, vcc, s42, v8
	v_mov_b32_e32 v1, s78
	v_addc_co_u32_e32 v9, vcc, v1, v9, vcc
	v_pk_fma_f32 v[0:1], v[0:1], v[10:11], 0 op_sel_hi:[0,1,0]
	s_waitcnt lgkmcnt(1)
	v_cvt_f32_f16_sdwa v11, v6 dst_sel:DWORD dst_unused:UNUSED_PAD src0_sel:WORD_1
	v_cvt_f32_f16_e32 v10, v6
	v_pk_fma_f32 v[0:1], v[4:5], v[10:11], v[0:1] op_sel_hi:[0,1,1]
	v_cvt_f32_f16_sdwa v5, v7 dst_sel:DWORD dst_unused:UNUSED_PAD src0_sel:WORD_1
	v_cvt_f32_f16_e32 v4, v7
	v_pk_fma_f32 v[0:1], v[2:3], v[4:5], v[0:1] op_sel_hi:[0,1,1]
	s_waitcnt lgkmcnt(0)
	v_cvt_f32_f16_sdwa v3, v13 dst_sel:DWORD dst_unused:UNUSED_PAD src0_sel:WORD_1
	v_cvt_f32_f16_e32 v2, v13
	v_pk_fma_f32 v[0:1], v[12:13], v[2:3], v[0:1] op_sel_hi:[0,1,1]
	global_store_dwordx2 v[8:9], v[0:1], off offset:512
	v_mov_b32_e32 v0, 0
.LBB29_98:                              ;   in Loop: Header=BB29_16 Depth=1
	s_or_b64 exec, exec, s[40:41]
	s_movk_i32 s40, 0x47
	v_cmp_gt_i32_e32 vcc, s40, v0
	s_mov_b64 s[40:41], -1
	s_and_saveexec_b64 s[42:43], vcc
; %bb.99:                               ;   in Loop: Header=BB29_16 Depth=1
	v_cmp_eq_u32_e32 vcc, 0, v0
	s_orn2_b64 s[40:41], vcc, exec
; %bb.100:                              ;   in Loop: Header=BB29_16 Depth=1
	s_or_b64 exec, exec, s[42:43]
	s_and_b64 exec, exec, s[40:41]
	s_cbranch_execz .LBB29_148
; %bb.101:                              ;   in Loop: Header=BB29_16 Depth=1
	v_accvgpr_read_b32 v0, a16
	v_add_u32_e32 v1, s76, v0
	v_readlane_b32 s40, v254, 59
	v_readlane_b32 s41, v254, 60
	v_cmp_gt_i32_e32 vcc, s40, v1
	v_mov_b32_e32 v0, 0x47
	v_readlane_b32 s42, v254, 61
	v_readlane_b32 s43, v254, 62
	s_and_saveexec_b64 s[40:41], vcc
	s_cbranch_execz .LBB29_103
; %bb.102:                              ;   in Loop: Header=BB29_16 Depth=1
	v_readlane_b32 s42, v254, 63
	v_accvgpr_read_b32 v0, a43
	v_mul_lo_u32 v14, s42, v1
	v_add_u32_e32 v2, 0, v0
	v_accvgpr_read_b32 v8, a42
	ds_read2st64_b32 v[0:1], v2 offset0:2 offset1:35
	ds_read2st64_b32 v[2:3], v2 offset0:68 offset1:101
	ds_read2st64_b32 v[4:5], v8 offset1:1
	ds_read2st64_b32 v[6:7], v8 offset0:33 offset1:66
	ds_read_b32 v15, v8 offset:25344
	v_add_u32_e32 v8, v38, v14
	v_ashrrev_i32_e32 v9, 31, v8
	v_lshlrev_b64 v[8:9], 3, v[8:9]
	v_readlane_b32 s42, v255, 21
	v_add_co_u32_e32 v8, vcc, s42, v8
	v_mov_b32_e32 v10, s78
	v_addc_co_u32_e32 v9, vcc, v10, v9, vcc
	s_waitcnt lgkmcnt(2)
	v_cvt_f32_f16_sdwa v11, v4 dst_sel:DWORD dst_unused:UNUSED_PAD src0_sel:WORD_1
	v_cvt_f32_f16_e32 v10, v4
	s_waitcnt lgkmcnt(1)
	v_cvt_f32_f16_sdwa v13, v6 dst_sel:DWORD dst_unused:UNUSED_PAD src0_sel:WORD_1
	v_cvt_f32_f16_e32 v12, v6
	v_mov_b32_e32 v4, v1
	v_pk_fma_f32 v[10:11], v[0:1], v[10:11], 0 op_sel_hi:[0,1,0]
	v_accvgpr_read_b32 v1, a44
	v_pk_fma_f32 v[10:11], v[4:5], v[12:13], v[10:11] op_sel_hi:[0,1,1]
	v_cvt_f32_f16_sdwa v13, v7 dst_sel:DWORD dst_unused:UNUSED_PAD src0_sel:WORD_1
	v_cvt_f32_f16_e32 v12, v7
	v_pk_fma_f32 v[6:7], v[2:3], v[12:13], v[10:11] op_sel_hi:[0,1,1]
	s_waitcnt lgkmcnt(0)
	v_cvt_f32_f16_sdwa v11, v15 dst_sel:DWORD dst_unused:UNUSED_PAD src0_sel:WORD_1
	v_cvt_f32_f16_e32 v10, v15
	v_mov_b32_e32 v12, v3
	v_pk_fma_f32 v[6:7], v[12:13], v[10:11], v[6:7] op_sel_hi:[0,1,1]
	global_store_dwordx2 v[8:9], v[6:7], off
	ds_read2st64_b32 v[6:7], v1 offset0:33 offset1:66
	ds_read_b32 v13, v1 offset:25344
	v_ashrrev_i32_e32 v1, 31, v14
	v_add_co_u32_e32 v8, vcc, v38, v14
	v_cvt_f32_f16_sdwa v11, v5 dst_sel:DWORD dst_unused:UNUSED_PAD src0_sel:WORD_1
	v_cvt_f32_f16_e32 v10, v5
	v_addc_co_u32_e32 v9, vcc, 0, v1, vcc
	v_lshlrev_b64 v[8:9], 3, v[8:9]
	v_add_co_u32_e32 v8, vcc, s42, v8
	v_mov_b32_e32 v1, s78
	v_addc_co_u32_e32 v9, vcc, v1, v9, vcc
	v_pk_fma_f32 v[0:1], v[0:1], v[10:11], 0 op_sel_hi:[0,1,0]
	s_waitcnt lgkmcnt(1)
	v_cvt_f32_f16_sdwa v11, v6 dst_sel:DWORD dst_unused:UNUSED_PAD src0_sel:WORD_1
	v_cvt_f32_f16_e32 v10, v6
	v_pk_fma_f32 v[0:1], v[4:5], v[10:11], v[0:1] op_sel_hi:[0,1,1]
	v_cvt_f32_f16_sdwa v5, v7 dst_sel:DWORD dst_unused:UNUSED_PAD src0_sel:WORD_1
	v_cvt_f32_f16_e32 v4, v7
	v_pk_fma_f32 v[0:1], v[2:3], v[4:5], v[0:1] op_sel_hi:[0,1,1]
	s_waitcnt lgkmcnt(0)
	v_cvt_f32_f16_sdwa v3, v13 dst_sel:DWORD dst_unused:UNUSED_PAD src0_sel:WORD_1
	v_cvt_f32_f16_e32 v2, v13
	v_pk_fma_f32 v[0:1], v[12:13], v[2:3], v[0:1] op_sel_hi:[0,1,1]
	global_store_dwordx2 v[8:9], v[0:1], off offset:512
	v_mov_b32_e32 v0, 0
.LBB29_103:                             ;   in Loop: Header=BB29_16 Depth=1
	s_or_b64 exec, exec, s[40:41]
	s_movk_i32 s40, 0x47
	v_cmp_gt_i32_e32 vcc, s40, v0
	s_mov_b64 s[40:41], -1
	s_and_saveexec_b64 s[42:43], vcc
; %bb.104:                              ;   in Loop: Header=BB29_16 Depth=1
	v_cmp_eq_u32_e32 vcc, 0, v0
	s_orn2_b64 s[40:41], vcc, exec
; %bb.105:                              ;   in Loop: Header=BB29_16 Depth=1
	s_or_b64 exec, exec, s[42:43]
	s_and_b64 exec, exec, s[40:41]
	s_cbranch_execz .LBB29_148
; %bb.106:                              ;   in Loop: Header=BB29_16 Depth=1
	v_accvgpr_read_b32 v0, a17
	v_add_u32_e32 v1, s76, v0
	v_readlane_b32 s40, v254, 59
	v_readlane_b32 s41, v254, 60
	v_cmp_gt_i32_e32 vcc, s40, v1
	v_mov_b32_e32 v0, 0x47
	v_readlane_b32 s42, v254, 61
	v_readlane_b32 s43, v254, 62
	s_and_saveexec_b64 s[40:41], vcc
	s_cbranch_execz .LBB29_108
; %bb.107:                              ;   in Loop: Header=BB29_16 Depth=1
	v_readlane_b32 s42, v254, 63
	v_accvgpr_read_b32 v0, a46
	v_mul_lo_u32 v14, s42, v1
	v_add_u32_e32 v2, 0, v0
	v_accvgpr_read_b32 v8, a45
	ds_read2st64_b32 v[0:1], v2 offset0:2 offset1:35
	ds_read2st64_b32 v[2:3], v2 offset0:68 offset1:101
	ds_read2st64_b32 v[4:5], v8 offset1:1
	ds_read2st64_b32 v[6:7], v8 offset0:33 offset1:66
	ds_read_b32 v15, v8 offset:25344
	v_add_u32_e32 v8, v38, v14
	v_ashrrev_i32_e32 v9, 31, v8
	v_lshlrev_b64 v[8:9], 3, v[8:9]
	v_readlane_b32 s42, v255, 21
	v_add_co_u32_e32 v8, vcc, s42, v8
	v_mov_b32_e32 v10, s78
	v_addc_co_u32_e32 v9, vcc, v10, v9, vcc
	s_waitcnt lgkmcnt(2)
	v_cvt_f32_f16_sdwa v11, v4 dst_sel:DWORD dst_unused:UNUSED_PAD src0_sel:WORD_1
	v_cvt_f32_f16_e32 v10, v4
	s_waitcnt lgkmcnt(1)
	v_cvt_f32_f16_sdwa v13, v6 dst_sel:DWORD dst_unused:UNUSED_PAD src0_sel:WORD_1
	v_cvt_f32_f16_e32 v12, v6
	v_mov_b32_e32 v4, v1
	v_pk_fma_f32 v[10:11], v[0:1], v[10:11], 0 op_sel_hi:[0,1,0]
	v_accvgpr_read_b32 v1, a47
	v_pk_fma_f32 v[10:11], v[4:5], v[12:13], v[10:11] op_sel_hi:[0,1,1]
	v_cvt_f32_f16_sdwa v13, v7 dst_sel:DWORD dst_unused:UNUSED_PAD src0_sel:WORD_1
	v_cvt_f32_f16_e32 v12, v7
	v_pk_fma_f32 v[6:7], v[2:3], v[12:13], v[10:11] op_sel_hi:[0,1,1]
	s_waitcnt lgkmcnt(0)
	v_cvt_f32_f16_sdwa v11, v15 dst_sel:DWORD dst_unused:UNUSED_PAD src0_sel:WORD_1
	v_cvt_f32_f16_e32 v10, v15
	v_mov_b32_e32 v12, v3
	v_pk_fma_f32 v[6:7], v[12:13], v[10:11], v[6:7] op_sel_hi:[0,1,1]
	global_store_dwordx2 v[8:9], v[6:7], off
	ds_read2st64_b32 v[6:7], v1 offset0:33 offset1:66
	ds_read_b32 v13, v1 offset:25344
	v_ashrrev_i32_e32 v1, 31, v14
	v_add_co_u32_e32 v8, vcc, v38, v14
	v_cvt_f32_f16_sdwa v11, v5 dst_sel:DWORD dst_unused:UNUSED_PAD src0_sel:WORD_1
	v_cvt_f32_f16_e32 v10, v5
	v_addc_co_u32_e32 v9, vcc, 0, v1, vcc
	v_lshlrev_b64 v[8:9], 3, v[8:9]
	v_add_co_u32_e32 v8, vcc, s42, v8
	v_mov_b32_e32 v1, s78
	v_addc_co_u32_e32 v9, vcc, v1, v9, vcc
	v_pk_fma_f32 v[0:1], v[0:1], v[10:11], 0 op_sel_hi:[0,1,0]
	s_waitcnt lgkmcnt(1)
	v_cvt_f32_f16_sdwa v11, v6 dst_sel:DWORD dst_unused:UNUSED_PAD src0_sel:WORD_1
	v_cvt_f32_f16_e32 v10, v6
	v_pk_fma_f32 v[0:1], v[4:5], v[10:11], v[0:1] op_sel_hi:[0,1,1]
	v_cvt_f32_f16_sdwa v5, v7 dst_sel:DWORD dst_unused:UNUSED_PAD src0_sel:WORD_1
	v_cvt_f32_f16_e32 v4, v7
	v_pk_fma_f32 v[0:1], v[2:3], v[4:5], v[0:1] op_sel_hi:[0,1,1]
	s_waitcnt lgkmcnt(0)
	v_cvt_f32_f16_sdwa v3, v13 dst_sel:DWORD dst_unused:UNUSED_PAD src0_sel:WORD_1
	v_cvt_f32_f16_e32 v2, v13
	v_pk_fma_f32 v[0:1], v[12:13], v[2:3], v[0:1] op_sel_hi:[0,1,1]
	global_store_dwordx2 v[8:9], v[0:1], off offset:512
	v_mov_b32_e32 v0, 0
.LBB29_108:                             ;   in Loop: Header=BB29_16 Depth=1
	s_or_b64 exec, exec, s[40:41]
	s_movk_i32 s40, 0x47
	v_cmp_gt_i32_e32 vcc, s40, v0
	s_mov_b64 s[40:41], -1
	s_and_saveexec_b64 s[42:43], vcc
; %bb.109:                              ;   in Loop: Header=BB29_16 Depth=1
	v_cmp_eq_u32_e32 vcc, 0, v0
	s_orn2_b64 s[40:41], vcc, exec
; %bb.110:                              ;   in Loop: Header=BB29_16 Depth=1
	s_or_b64 exec, exec, s[42:43]
	s_and_b64 exec, exec, s[40:41]
	s_cbranch_execz .LBB29_148
; %bb.111:                              ;   in Loop: Header=BB29_16 Depth=1
	v_accvgpr_read_b32 v0, a18
	v_add_u32_e32 v1, s76, v0
	v_readlane_b32 s40, v254, 59
	v_readlane_b32 s41, v254, 60
	v_cmp_gt_i32_e32 vcc, s40, v1
	v_mov_b32_e32 v0, 0x47
	v_readlane_b32 s42, v254, 61
	v_readlane_b32 s43, v254, 62
	s_and_saveexec_b64 s[40:41], vcc
	s_cbranch_execz .LBB29_113
; %bb.112:                              ;   in Loop: Header=BB29_16 Depth=1
	v_readlane_b32 s42, v254, 63
	v_accvgpr_read_b32 v0, a49
	v_mul_lo_u32 v14, s42, v1
	v_add_u32_e32 v2, 0, v0
	v_accvgpr_read_b32 v8, a48
	ds_read2st64_b32 v[0:1], v2 offset0:2 offset1:35
	ds_read2st64_b32 v[2:3], v2 offset0:68 offset1:101
	ds_read2st64_b32 v[4:5], v8 offset1:1
	ds_read2st64_b32 v[6:7], v8 offset0:33 offset1:66
	ds_read_b32 v15, v8 offset:25344
	v_add_u32_e32 v8, v38, v14
	v_ashrrev_i32_e32 v9, 31, v8
	v_lshlrev_b64 v[8:9], 3, v[8:9]
	v_readlane_b32 s42, v255, 21
	v_add_co_u32_e32 v8, vcc, s42, v8
	v_mov_b32_e32 v10, s78
	v_addc_co_u32_e32 v9, vcc, v10, v9, vcc
	s_waitcnt lgkmcnt(2)
	v_cvt_f32_f16_sdwa v11, v4 dst_sel:DWORD dst_unused:UNUSED_PAD src0_sel:WORD_1
	v_cvt_f32_f16_e32 v10, v4
	s_waitcnt lgkmcnt(1)
	v_cvt_f32_f16_sdwa v13, v6 dst_sel:DWORD dst_unused:UNUSED_PAD src0_sel:WORD_1
	v_cvt_f32_f16_e32 v12, v6
	v_mov_b32_e32 v4, v1
	v_pk_fma_f32 v[10:11], v[0:1], v[10:11], 0 op_sel_hi:[0,1,0]
	v_accvgpr_read_b32 v1, a50
	v_pk_fma_f32 v[10:11], v[4:5], v[12:13], v[10:11] op_sel_hi:[0,1,1]
	v_cvt_f32_f16_sdwa v13, v7 dst_sel:DWORD dst_unused:UNUSED_PAD src0_sel:WORD_1
	v_cvt_f32_f16_e32 v12, v7
	v_pk_fma_f32 v[6:7], v[2:3], v[12:13], v[10:11] op_sel_hi:[0,1,1]
	s_waitcnt lgkmcnt(0)
	v_cvt_f32_f16_sdwa v11, v15 dst_sel:DWORD dst_unused:UNUSED_PAD src0_sel:WORD_1
	v_cvt_f32_f16_e32 v10, v15
	v_mov_b32_e32 v12, v3
	v_pk_fma_f32 v[6:7], v[12:13], v[10:11], v[6:7] op_sel_hi:[0,1,1]
	global_store_dwordx2 v[8:9], v[6:7], off
	ds_read2st64_b32 v[6:7], v1 offset0:33 offset1:66
	ds_read_b32 v13, v1 offset:25344
	v_ashrrev_i32_e32 v1, 31, v14
	v_add_co_u32_e32 v8, vcc, v38, v14
	v_cvt_f32_f16_sdwa v11, v5 dst_sel:DWORD dst_unused:UNUSED_PAD src0_sel:WORD_1
	v_cvt_f32_f16_e32 v10, v5
	v_addc_co_u32_e32 v9, vcc, 0, v1, vcc
	v_lshlrev_b64 v[8:9], 3, v[8:9]
	v_add_co_u32_e32 v8, vcc, s42, v8
	v_mov_b32_e32 v1, s78
	v_addc_co_u32_e32 v9, vcc, v1, v9, vcc
	v_pk_fma_f32 v[0:1], v[0:1], v[10:11], 0 op_sel_hi:[0,1,0]
	s_waitcnt lgkmcnt(1)
	v_cvt_f32_f16_sdwa v11, v6 dst_sel:DWORD dst_unused:UNUSED_PAD src0_sel:WORD_1
	v_cvt_f32_f16_e32 v10, v6
	v_pk_fma_f32 v[0:1], v[4:5], v[10:11], v[0:1] op_sel_hi:[0,1,1]
	v_cvt_f32_f16_sdwa v5, v7 dst_sel:DWORD dst_unused:UNUSED_PAD src0_sel:WORD_1
	v_cvt_f32_f16_e32 v4, v7
	v_pk_fma_f32 v[0:1], v[2:3], v[4:5], v[0:1] op_sel_hi:[0,1,1]
	s_waitcnt lgkmcnt(0)
	v_cvt_f32_f16_sdwa v3, v13 dst_sel:DWORD dst_unused:UNUSED_PAD src0_sel:WORD_1
	v_cvt_f32_f16_e32 v2, v13
	v_pk_fma_f32 v[0:1], v[12:13], v[2:3], v[0:1] op_sel_hi:[0,1,1]
	global_store_dwordx2 v[8:9], v[0:1], off offset:512
	v_mov_b32_e32 v0, 0
.LBB29_113:                             ;   in Loop: Header=BB29_16 Depth=1
	s_or_b64 exec, exec, s[40:41]
	s_movk_i32 s40, 0x47
	v_cmp_gt_i32_e32 vcc, s40, v0
	s_mov_b64 s[40:41], -1
	s_and_saveexec_b64 s[42:43], vcc
; %bb.114:                              ;   in Loop: Header=BB29_16 Depth=1
	v_cmp_eq_u32_e32 vcc, 0, v0
	s_orn2_b64 s[40:41], vcc, exec
; %bb.115:                              ;   in Loop: Header=BB29_16 Depth=1
	s_or_b64 exec, exec, s[42:43]
	s_and_b64 exec, exec, s[40:41]
	s_cbranch_execz .LBB29_148
; %bb.116:                              ;   in Loop: Header=BB29_16 Depth=1
	v_accvgpr_read_b32 v0, a19
	v_add_u32_e32 v1, s76, v0
	v_readlane_b32 s40, v254, 59
	v_readlane_b32 s41, v254, 60
	v_cmp_gt_i32_e32 vcc, s40, v1
	v_mov_b32_e32 v0, 0x47
	v_readlane_b32 s42, v254, 61
	v_readlane_b32 s43, v254, 62
	s_and_saveexec_b64 s[40:41], vcc
	s_cbranch_execz .LBB29_118
; %bb.117:                              ;   in Loop: Header=BB29_16 Depth=1
	v_readlane_b32 s42, v254, 63
	v_accvgpr_read_b32 v0, a52
	v_mul_lo_u32 v14, s42, v1
	v_add_u32_e32 v2, 0, v0
	v_accvgpr_read_b32 v8, a51
	ds_read2st64_b32 v[0:1], v2 offset0:2 offset1:35
	ds_read2st64_b32 v[2:3], v2 offset0:68 offset1:101
	ds_read2st64_b32 v[4:5], v8 offset1:1
	ds_read2st64_b32 v[6:7], v8 offset0:33 offset1:66
	ds_read_b32 v15, v8 offset:25344
	v_add_u32_e32 v8, v38, v14
	v_ashrrev_i32_e32 v9, 31, v8
	v_lshlrev_b64 v[8:9], 3, v[8:9]
	v_readlane_b32 s42, v255, 21
	v_add_co_u32_e32 v8, vcc, s42, v8
	v_mov_b32_e32 v10, s78
	v_addc_co_u32_e32 v9, vcc, v10, v9, vcc
	s_waitcnt lgkmcnt(2)
	v_cvt_f32_f16_sdwa v11, v4 dst_sel:DWORD dst_unused:UNUSED_PAD src0_sel:WORD_1
	v_cvt_f32_f16_e32 v10, v4
	s_waitcnt lgkmcnt(1)
	v_cvt_f32_f16_sdwa v13, v6 dst_sel:DWORD dst_unused:UNUSED_PAD src0_sel:WORD_1
	v_cvt_f32_f16_e32 v12, v6
	v_mov_b32_e32 v4, v1
	v_pk_fma_f32 v[10:11], v[0:1], v[10:11], 0 op_sel_hi:[0,1,0]
	v_accvgpr_read_b32 v1, a53
	v_pk_fma_f32 v[10:11], v[4:5], v[12:13], v[10:11] op_sel_hi:[0,1,1]
	v_cvt_f32_f16_sdwa v13, v7 dst_sel:DWORD dst_unused:UNUSED_PAD src0_sel:WORD_1
	v_cvt_f32_f16_e32 v12, v7
	v_pk_fma_f32 v[6:7], v[2:3], v[12:13], v[10:11] op_sel_hi:[0,1,1]
	s_waitcnt lgkmcnt(0)
	v_cvt_f32_f16_sdwa v11, v15 dst_sel:DWORD dst_unused:UNUSED_PAD src0_sel:WORD_1
	v_cvt_f32_f16_e32 v10, v15
	v_mov_b32_e32 v12, v3
	v_pk_fma_f32 v[6:7], v[12:13], v[10:11], v[6:7] op_sel_hi:[0,1,1]
	global_store_dwordx2 v[8:9], v[6:7], off
	ds_read2st64_b32 v[6:7], v1 offset0:33 offset1:66
	ds_read_b32 v13, v1 offset:25344
	v_ashrrev_i32_e32 v1, 31, v14
	v_add_co_u32_e32 v8, vcc, v38, v14
	v_cvt_f32_f16_sdwa v11, v5 dst_sel:DWORD dst_unused:UNUSED_PAD src0_sel:WORD_1
	v_cvt_f32_f16_e32 v10, v5
	v_addc_co_u32_e32 v9, vcc, 0, v1, vcc
	v_lshlrev_b64 v[8:9], 3, v[8:9]
	v_add_co_u32_e32 v8, vcc, s42, v8
	v_mov_b32_e32 v1, s78
	v_addc_co_u32_e32 v9, vcc, v1, v9, vcc
	v_pk_fma_f32 v[0:1], v[0:1], v[10:11], 0 op_sel_hi:[0,1,0]
	s_waitcnt lgkmcnt(1)
	v_cvt_f32_f16_sdwa v11, v6 dst_sel:DWORD dst_unused:UNUSED_PAD src0_sel:WORD_1
	v_cvt_f32_f16_e32 v10, v6
	v_pk_fma_f32 v[0:1], v[4:5], v[10:11], v[0:1] op_sel_hi:[0,1,1]
	v_cvt_f32_f16_sdwa v5, v7 dst_sel:DWORD dst_unused:UNUSED_PAD src0_sel:WORD_1
	v_cvt_f32_f16_e32 v4, v7
	v_pk_fma_f32 v[0:1], v[2:3], v[4:5], v[0:1] op_sel_hi:[0,1,1]
	s_waitcnt lgkmcnt(0)
	v_cvt_f32_f16_sdwa v3, v13 dst_sel:DWORD dst_unused:UNUSED_PAD src0_sel:WORD_1
	v_cvt_f32_f16_e32 v2, v13
	v_pk_fma_f32 v[0:1], v[12:13], v[2:3], v[0:1] op_sel_hi:[0,1,1]
	global_store_dwordx2 v[8:9], v[0:1], off offset:512
	v_mov_b32_e32 v0, 0
.LBB29_118:                             ;   in Loop: Header=BB29_16 Depth=1
	s_or_b64 exec, exec, s[40:41]
	s_movk_i32 s40, 0x47
	v_cmp_gt_i32_e32 vcc, s40, v0
	s_mov_b64 s[40:41], -1
	s_and_saveexec_b64 s[42:43], vcc
; %bb.119:                              ;   in Loop: Header=BB29_16 Depth=1
	v_cmp_eq_u32_e32 vcc, 0, v0
	s_orn2_b64 s[40:41], vcc, exec
; %bb.120:                              ;   in Loop: Header=BB29_16 Depth=1
	s_or_b64 exec, exec, s[42:43]
	s_and_b64 exec, exec, s[40:41]
	s_cbranch_execz .LBB29_148
; %bb.121:                              ;   in Loop: Header=BB29_16 Depth=1
	v_accvgpr_read_b32 v0, a20
	v_add_u32_e32 v1, s76, v0
	v_readlane_b32 s40, v254, 59
	v_readlane_b32 s41, v254, 60
	v_cmp_gt_i32_e32 vcc, s40, v1
	v_mov_b32_e32 v0, 0x47
	v_readlane_b32 s42, v254, 61
	v_readlane_b32 s43, v254, 62
	s_and_saveexec_b64 s[40:41], vcc
	s_cbranch_execz .LBB29_123
; %bb.122:                              ;   in Loop: Header=BB29_16 Depth=1
	v_readlane_b32 s42, v254, 63
	v_accvgpr_read_b32 v0, a55
	v_mul_lo_u32 v14, s42, v1
	v_add_u32_e32 v2, 0, v0
	v_accvgpr_read_b32 v8, a54
	ds_read2st64_b32 v[0:1], v2 offset0:2 offset1:35
	ds_read2st64_b32 v[2:3], v2 offset0:68 offset1:101
	ds_read2st64_b32 v[4:5], v8 offset1:1
	ds_read2st64_b32 v[6:7], v8 offset0:33 offset1:66
	ds_read_b32 v15, v8 offset:25344
	v_add_u32_e32 v8, v38, v14
	v_ashrrev_i32_e32 v9, 31, v8
	v_lshlrev_b64 v[8:9], 3, v[8:9]
	v_readlane_b32 s42, v255, 21
	v_add_co_u32_e32 v8, vcc, s42, v8
	v_mov_b32_e32 v10, s78
	v_addc_co_u32_e32 v9, vcc, v10, v9, vcc
	s_waitcnt lgkmcnt(2)
	v_cvt_f32_f16_sdwa v11, v4 dst_sel:DWORD dst_unused:UNUSED_PAD src0_sel:WORD_1
	v_cvt_f32_f16_e32 v10, v4
	s_waitcnt lgkmcnt(1)
	v_cvt_f32_f16_sdwa v13, v6 dst_sel:DWORD dst_unused:UNUSED_PAD src0_sel:WORD_1
	v_cvt_f32_f16_e32 v12, v6
	v_mov_b32_e32 v4, v1
	v_pk_fma_f32 v[10:11], v[0:1], v[10:11], 0 op_sel_hi:[0,1,0]
	v_accvgpr_read_b32 v1, a56
	v_pk_fma_f32 v[10:11], v[4:5], v[12:13], v[10:11] op_sel_hi:[0,1,1]
	v_cvt_f32_f16_sdwa v13, v7 dst_sel:DWORD dst_unused:UNUSED_PAD src0_sel:WORD_1
	v_cvt_f32_f16_e32 v12, v7
	v_pk_fma_f32 v[6:7], v[2:3], v[12:13], v[10:11] op_sel_hi:[0,1,1]
	s_waitcnt lgkmcnt(0)
	v_cvt_f32_f16_sdwa v11, v15 dst_sel:DWORD dst_unused:UNUSED_PAD src0_sel:WORD_1
	v_cvt_f32_f16_e32 v10, v15
	v_mov_b32_e32 v12, v3
	v_pk_fma_f32 v[6:7], v[12:13], v[10:11], v[6:7] op_sel_hi:[0,1,1]
	global_store_dwordx2 v[8:9], v[6:7], off
	ds_read2st64_b32 v[6:7], v1 offset0:33 offset1:66
	ds_read_b32 v13, v1 offset:25344
	v_ashrrev_i32_e32 v1, 31, v14
	v_add_co_u32_e32 v8, vcc, v38, v14
	v_cvt_f32_f16_sdwa v11, v5 dst_sel:DWORD dst_unused:UNUSED_PAD src0_sel:WORD_1
	v_cvt_f32_f16_e32 v10, v5
	v_addc_co_u32_e32 v9, vcc, 0, v1, vcc
	v_lshlrev_b64 v[8:9], 3, v[8:9]
	v_add_co_u32_e32 v8, vcc, s42, v8
	v_mov_b32_e32 v1, s78
	v_addc_co_u32_e32 v9, vcc, v1, v9, vcc
	v_pk_fma_f32 v[0:1], v[0:1], v[10:11], 0 op_sel_hi:[0,1,0]
	s_waitcnt lgkmcnt(1)
	v_cvt_f32_f16_sdwa v11, v6 dst_sel:DWORD dst_unused:UNUSED_PAD src0_sel:WORD_1
	v_cvt_f32_f16_e32 v10, v6
	v_pk_fma_f32 v[0:1], v[4:5], v[10:11], v[0:1] op_sel_hi:[0,1,1]
	v_cvt_f32_f16_sdwa v5, v7 dst_sel:DWORD dst_unused:UNUSED_PAD src0_sel:WORD_1
	v_cvt_f32_f16_e32 v4, v7
	v_pk_fma_f32 v[0:1], v[2:3], v[4:5], v[0:1] op_sel_hi:[0,1,1]
	s_waitcnt lgkmcnt(0)
	v_cvt_f32_f16_sdwa v3, v13 dst_sel:DWORD dst_unused:UNUSED_PAD src0_sel:WORD_1
	v_cvt_f32_f16_e32 v2, v13
	v_pk_fma_f32 v[0:1], v[12:13], v[2:3], v[0:1] op_sel_hi:[0,1,1]
	global_store_dwordx2 v[8:9], v[0:1], off offset:512
	v_mov_b32_e32 v0, 0
.LBB29_123:                             ;   in Loop: Header=BB29_16 Depth=1
	s_or_b64 exec, exec, s[40:41]
	s_movk_i32 s40, 0x47
	v_cmp_gt_i32_e32 vcc, s40, v0
	s_mov_b64 s[40:41], -1
	s_and_saveexec_b64 s[42:43], vcc
; %bb.124:                              ;   in Loop: Header=BB29_16 Depth=1
	v_cmp_eq_u32_e32 vcc, 0, v0
	s_orn2_b64 s[40:41], vcc, exec
; %bb.125:                              ;   in Loop: Header=BB29_16 Depth=1
	s_or_b64 exec, exec, s[42:43]
	s_and_b64 exec, exec, s[40:41]
	s_cbranch_execz .LBB29_148
; %bb.126:                              ;   in Loop: Header=BB29_16 Depth=1
	v_accvgpr_read_b32 v0, a21
	v_add_u32_e32 v1, s76, v0
	v_readlane_b32 s40, v254, 59
	v_readlane_b32 s41, v254, 60
	v_cmp_gt_i32_e32 vcc, s40, v1
	v_mov_b32_e32 v0, 0x47
	v_readlane_b32 s42, v254, 61
	v_readlane_b32 s43, v254, 62
	s_and_saveexec_b64 s[40:41], vcc
	s_cbranch_execz .LBB29_128
; %bb.127:                              ;   in Loop: Header=BB29_16 Depth=1
	v_readlane_b32 s42, v254, 63
	v_accvgpr_read_b32 v0, a58
	v_mul_lo_u32 v14, s42, v1
	v_add_u32_e32 v2, 0, v0
	v_accvgpr_read_b32 v8, a57
	ds_read2st64_b32 v[0:1], v2 offset0:2 offset1:35
	ds_read2st64_b32 v[2:3], v2 offset0:68 offset1:101
	ds_read2st64_b32 v[4:5], v8 offset1:1
	ds_read2st64_b32 v[6:7], v8 offset0:33 offset1:66
	ds_read_b32 v15, v8 offset:25344
	v_add_u32_e32 v8, v38, v14
	v_ashrrev_i32_e32 v9, 31, v8
	v_lshlrev_b64 v[8:9], 3, v[8:9]
	v_readlane_b32 s42, v255, 21
	v_add_co_u32_e32 v8, vcc, s42, v8
	v_mov_b32_e32 v10, s78
	v_addc_co_u32_e32 v9, vcc, v10, v9, vcc
	s_waitcnt lgkmcnt(2)
	v_cvt_f32_f16_sdwa v11, v4 dst_sel:DWORD dst_unused:UNUSED_PAD src0_sel:WORD_1
	v_cvt_f32_f16_e32 v10, v4
	s_waitcnt lgkmcnt(1)
	v_cvt_f32_f16_sdwa v13, v6 dst_sel:DWORD dst_unused:UNUSED_PAD src0_sel:WORD_1
	v_cvt_f32_f16_e32 v12, v6
	v_mov_b32_e32 v4, v1
	v_pk_fma_f32 v[10:11], v[0:1], v[10:11], 0 op_sel_hi:[0,1,0]
	v_accvgpr_read_b32 v1, a59
	v_pk_fma_f32 v[10:11], v[4:5], v[12:13], v[10:11] op_sel_hi:[0,1,1]
	v_cvt_f32_f16_sdwa v13, v7 dst_sel:DWORD dst_unused:UNUSED_PAD src0_sel:WORD_1
	v_cvt_f32_f16_e32 v12, v7
	v_pk_fma_f32 v[6:7], v[2:3], v[12:13], v[10:11] op_sel_hi:[0,1,1]
	s_waitcnt lgkmcnt(0)
	v_cvt_f32_f16_sdwa v11, v15 dst_sel:DWORD dst_unused:UNUSED_PAD src0_sel:WORD_1
	v_cvt_f32_f16_e32 v10, v15
	v_mov_b32_e32 v12, v3
	v_pk_fma_f32 v[6:7], v[12:13], v[10:11], v[6:7] op_sel_hi:[0,1,1]
	global_store_dwordx2 v[8:9], v[6:7], off
	ds_read2st64_b32 v[6:7], v1 offset0:33 offset1:66
	ds_read_b32 v13, v1 offset:25344
	v_ashrrev_i32_e32 v1, 31, v14
	v_add_co_u32_e32 v8, vcc, v38, v14
	v_cvt_f32_f16_sdwa v11, v5 dst_sel:DWORD dst_unused:UNUSED_PAD src0_sel:WORD_1
	v_cvt_f32_f16_e32 v10, v5
	v_addc_co_u32_e32 v9, vcc, 0, v1, vcc
	v_lshlrev_b64 v[8:9], 3, v[8:9]
	v_add_co_u32_e32 v8, vcc, s42, v8
	v_mov_b32_e32 v1, s78
	v_addc_co_u32_e32 v9, vcc, v1, v9, vcc
	v_pk_fma_f32 v[0:1], v[0:1], v[10:11], 0 op_sel_hi:[0,1,0]
	s_waitcnt lgkmcnt(1)
	v_cvt_f32_f16_sdwa v11, v6 dst_sel:DWORD dst_unused:UNUSED_PAD src0_sel:WORD_1
	v_cvt_f32_f16_e32 v10, v6
	v_pk_fma_f32 v[0:1], v[4:5], v[10:11], v[0:1] op_sel_hi:[0,1,1]
	v_cvt_f32_f16_sdwa v5, v7 dst_sel:DWORD dst_unused:UNUSED_PAD src0_sel:WORD_1
	v_cvt_f32_f16_e32 v4, v7
	v_pk_fma_f32 v[0:1], v[2:3], v[4:5], v[0:1] op_sel_hi:[0,1,1]
	s_waitcnt lgkmcnt(0)
	v_cvt_f32_f16_sdwa v3, v13 dst_sel:DWORD dst_unused:UNUSED_PAD src0_sel:WORD_1
	v_cvt_f32_f16_e32 v2, v13
	v_pk_fma_f32 v[0:1], v[12:13], v[2:3], v[0:1] op_sel_hi:[0,1,1]
	global_store_dwordx2 v[8:9], v[0:1], off offset:512
	v_mov_b32_e32 v0, 0
.LBB29_128:                             ;   in Loop: Header=BB29_16 Depth=1
	s_or_b64 exec, exec, s[40:41]
	s_movk_i32 s40, 0x47
	v_cmp_gt_i32_e32 vcc, s40, v0
	s_mov_b64 s[40:41], -1
	s_and_saveexec_b64 s[42:43], vcc
; %bb.129:                              ;   in Loop: Header=BB29_16 Depth=1
	v_cmp_eq_u32_e32 vcc, 0, v0
	s_orn2_b64 s[40:41], vcc, exec
; %bb.130:                              ;   in Loop: Header=BB29_16 Depth=1
	s_or_b64 exec, exec, s[42:43]
	s_and_b64 exec, exec, s[40:41]
	s_cbranch_execz .LBB29_148
; %bb.131:                              ;   in Loop: Header=BB29_16 Depth=1
	v_accvgpr_read_b32 v0, a22
	v_add_u32_e32 v1, s76, v0
	v_readlane_b32 s40, v254, 59
	v_readlane_b32 s41, v254, 60
	v_cmp_gt_i32_e32 vcc, s40, v1
	v_mov_b32_e32 v0, 0x47
	v_readlane_b32 s42, v254, 61
	v_readlane_b32 s43, v254, 62
	s_and_saveexec_b64 s[40:41], vcc
	s_cbranch_execz .LBB29_133
; %bb.132:                              ;   in Loop: Header=BB29_16 Depth=1
	v_readlane_b32 s42, v254, 63
	v_accvgpr_read_b32 v0, a61
	v_mul_lo_u32 v14, s42, v1
	v_add_u32_e32 v2, 0, v0
	v_accvgpr_read_b32 v8, a60
	ds_read2st64_b32 v[0:1], v2 offset0:2 offset1:35
	ds_read2st64_b32 v[2:3], v2 offset0:68 offset1:101
	ds_read2st64_b32 v[4:5], v8 offset1:1
	ds_read2st64_b32 v[6:7], v8 offset0:33 offset1:66
	ds_read_b32 v15, v8 offset:25344
	v_add_u32_e32 v8, v38, v14
	v_ashrrev_i32_e32 v9, 31, v8
	v_lshlrev_b64 v[8:9], 3, v[8:9]
	v_readlane_b32 s42, v255, 21
	v_add_co_u32_e32 v8, vcc, s42, v8
	v_mov_b32_e32 v10, s78
	v_addc_co_u32_e32 v9, vcc, v10, v9, vcc
	s_waitcnt lgkmcnt(2)
	v_cvt_f32_f16_sdwa v11, v4 dst_sel:DWORD dst_unused:UNUSED_PAD src0_sel:WORD_1
	v_cvt_f32_f16_e32 v10, v4
	s_waitcnt lgkmcnt(1)
	v_cvt_f32_f16_sdwa v13, v6 dst_sel:DWORD dst_unused:UNUSED_PAD src0_sel:WORD_1
	v_cvt_f32_f16_e32 v12, v6
	v_mov_b32_e32 v4, v1
	v_pk_fma_f32 v[10:11], v[0:1], v[10:11], 0 op_sel_hi:[0,1,0]
	v_accvgpr_read_b32 v1, a62
	v_pk_fma_f32 v[10:11], v[4:5], v[12:13], v[10:11] op_sel_hi:[0,1,1]
	v_cvt_f32_f16_sdwa v13, v7 dst_sel:DWORD dst_unused:UNUSED_PAD src0_sel:WORD_1
	v_cvt_f32_f16_e32 v12, v7
	v_pk_fma_f32 v[6:7], v[2:3], v[12:13], v[10:11] op_sel_hi:[0,1,1]
	s_waitcnt lgkmcnt(0)
	v_cvt_f32_f16_sdwa v11, v15 dst_sel:DWORD dst_unused:UNUSED_PAD src0_sel:WORD_1
	v_cvt_f32_f16_e32 v10, v15
	v_mov_b32_e32 v12, v3
	v_pk_fma_f32 v[6:7], v[12:13], v[10:11], v[6:7] op_sel_hi:[0,1,1]
	global_store_dwordx2 v[8:9], v[6:7], off
	ds_read2st64_b32 v[6:7], v1 offset0:33 offset1:66
	ds_read_b32 v13, v1 offset:25344
	v_ashrrev_i32_e32 v1, 31, v14
	v_add_co_u32_e32 v8, vcc, v38, v14
	v_cvt_f32_f16_sdwa v11, v5 dst_sel:DWORD dst_unused:UNUSED_PAD src0_sel:WORD_1
	v_cvt_f32_f16_e32 v10, v5
	v_addc_co_u32_e32 v9, vcc, 0, v1, vcc
	v_lshlrev_b64 v[8:9], 3, v[8:9]
	v_add_co_u32_e32 v8, vcc, s42, v8
	v_mov_b32_e32 v1, s78
	v_addc_co_u32_e32 v9, vcc, v1, v9, vcc
	v_pk_fma_f32 v[0:1], v[0:1], v[10:11], 0 op_sel_hi:[0,1,0]
	s_waitcnt lgkmcnt(1)
	v_cvt_f32_f16_sdwa v11, v6 dst_sel:DWORD dst_unused:UNUSED_PAD src0_sel:WORD_1
	v_cvt_f32_f16_e32 v10, v6
	v_pk_fma_f32 v[0:1], v[4:5], v[10:11], v[0:1] op_sel_hi:[0,1,1]
	v_cvt_f32_f16_sdwa v5, v7 dst_sel:DWORD dst_unused:UNUSED_PAD src0_sel:WORD_1
	v_cvt_f32_f16_e32 v4, v7
	v_pk_fma_f32 v[0:1], v[2:3], v[4:5], v[0:1] op_sel_hi:[0,1,1]
	s_waitcnt lgkmcnt(0)
	v_cvt_f32_f16_sdwa v3, v13 dst_sel:DWORD dst_unused:UNUSED_PAD src0_sel:WORD_1
	v_cvt_f32_f16_e32 v2, v13
	v_pk_fma_f32 v[0:1], v[12:13], v[2:3], v[0:1] op_sel_hi:[0,1,1]
	global_store_dwordx2 v[8:9], v[0:1], off offset:512
	v_mov_b32_e32 v0, 0
.LBB29_133:                             ;   in Loop: Header=BB29_16 Depth=1
	s_or_b64 exec, exec, s[40:41]
	s_movk_i32 s40, 0x47
	v_cmp_gt_i32_e32 vcc, s40, v0
	s_mov_b64 s[40:41], -1
	s_and_saveexec_b64 s[42:43], vcc
; %bb.134:                              ;   in Loop: Header=BB29_16 Depth=1
	v_cmp_eq_u32_e32 vcc, 0, v0
	s_orn2_b64 s[40:41], vcc, exec
; %bb.135:                              ;   in Loop: Header=BB29_16 Depth=1
	s_or_b64 exec, exec, s[42:43]
	s_and_b64 exec, exec, s[40:41]
	s_cbranch_execz .LBB29_148
; %bb.136:                              ;   in Loop: Header=BB29_16 Depth=1
	v_accvgpr_read_b32 v0, a23
	v_add_u32_e32 v1, s76, v0
	v_readlane_b32 s40, v254, 59
	v_readlane_b32 s41, v254, 60
	v_cmp_gt_i32_e32 vcc, s40, v1
	v_mov_b32_e32 v0, 0x47
	v_readlane_b32 s42, v254, 61
	v_readlane_b32 s43, v254, 62
	s_and_saveexec_b64 s[40:41], vcc
	s_cbranch_execz .LBB29_138
; %bb.137:                              ;   in Loop: Header=BB29_16 Depth=1
	v_readlane_b32 s42, v254, 63
	v_accvgpr_read_b32 v0, a64
	v_mul_lo_u32 v14, s42, v1
	v_add_u32_e32 v2, 0, v0
	v_accvgpr_read_b32 v8, a63
	ds_read2st64_b32 v[0:1], v2 offset0:2 offset1:35
	ds_read2st64_b32 v[2:3], v2 offset0:68 offset1:101
	ds_read2st64_b32 v[4:5], v8 offset1:1
	ds_read2st64_b32 v[6:7], v8 offset0:33 offset1:66
	ds_read_b32 v15, v8 offset:25344
	v_add_u32_e32 v8, v38, v14
	v_ashrrev_i32_e32 v9, 31, v8
	v_lshlrev_b64 v[8:9], 3, v[8:9]
	v_readlane_b32 s42, v255, 21
	v_add_co_u32_e32 v8, vcc, s42, v8
	v_mov_b32_e32 v10, s78
	v_addc_co_u32_e32 v9, vcc, v10, v9, vcc
	s_waitcnt lgkmcnt(2)
	v_cvt_f32_f16_sdwa v11, v4 dst_sel:DWORD dst_unused:UNUSED_PAD src0_sel:WORD_1
	v_cvt_f32_f16_e32 v10, v4
	s_waitcnt lgkmcnt(1)
	v_cvt_f32_f16_sdwa v13, v6 dst_sel:DWORD dst_unused:UNUSED_PAD src0_sel:WORD_1
	v_cvt_f32_f16_e32 v12, v6
	v_mov_b32_e32 v4, v1
	v_pk_fma_f32 v[10:11], v[0:1], v[10:11], 0 op_sel_hi:[0,1,0]
	v_accvgpr_read_b32 v1, a65
	v_pk_fma_f32 v[10:11], v[4:5], v[12:13], v[10:11] op_sel_hi:[0,1,1]
	v_cvt_f32_f16_sdwa v13, v7 dst_sel:DWORD dst_unused:UNUSED_PAD src0_sel:WORD_1
	v_cvt_f32_f16_e32 v12, v7
	v_pk_fma_f32 v[6:7], v[2:3], v[12:13], v[10:11] op_sel_hi:[0,1,1]
	s_waitcnt lgkmcnt(0)
	v_cvt_f32_f16_sdwa v11, v15 dst_sel:DWORD dst_unused:UNUSED_PAD src0_sel:WORD_1
	v_cvt_f32_f16_e32 v10, v15
	v_mov_b32_e32 v12, v3
	v_pk_fma_f32 v[6:7], v[12:13], v[10:11], v[6:7] op_sel_hi:[0,1,1]
	global_store_dwordx2 v[8:9], v[6:7], off
	ds_read2st64_b32 v[6:7], v1 offset0:33 offset1:66
	ds_read_b32 v13, v1 offset:25344
	v_ashrrev_i32_e32 v1, 31, v14
	v_add_co_u32_e32 v8, vcc, v38, v14
	v_cvt_f32_f16_sdwa v11, v5 dst_sel:DWORD dst_unused:UNUSED_PAD src0_sel:WORD_1
	v_cvt_f32_f16_e32 v10, v5
	v_addc_co_u32_e32 v9, vcc, 0, v1, vcc
	v_lshlrev_b64 v[8:9], 3, v[8:9]
	v_add_co_u32_e32 v8, vcc, s42, v8
	v_mov_b32_e32 v1, s78
	v_addc_co_u32_e32 v9, vcc, v1, v9, vcc
	v_pk_fma_f32 v[0:1], v[0:1], v[10:11], 0 op_sel_hi:[0,1,0]
	s_waitcnt lgkmcnt(1)
	v_cvt_f32_f16_sdwa v11, v6 dst_sel:DWORD dst_unused:UNUSED_PAD src0_sel:WORD_1
	v_cvt_f32_f16_e32 v10, v6
	v_pk_fma_f32 v[0:1], v[4:5], v[10:11], v[0:1] op_sel_hi:[0,1,1]
	v_cvt_f32_f16_sdwa v5, v7 dst_sel:DWORD dst_unused:UNUSED_PAD src0_sel:WORD_1
	v_cvt_f32_f16_e32 v4, v7
	v_pk_fma_f32 v[0:1], v[2:3], v[4:5], v[0:1] op_sel_hi:[0,1,1]
	s_waitcnt lgkmcnt(0)
	v_cvt_f32_f16_sdwa v3, v13 dst_sel:DWORD dst_unused:UNUSED_PAD src0_sel:WORD_1
	v_cvt_f32_f16_e32 v2, v13
	v_pk_fma_f32 v[0:1], v[12:13], v[2:3], v[0:1] op_sel_hi:[0,1,1]
	global_store_dwordx2 v[8:9], v[0:1], off offset:512
	v_mov_b32_e32 v0, 0
.LBB29_138:                             ;   in Loop: Header=BB29_16 Depth=1
	s_or_b64 exec, exec, s[40:41]
	s_movk_i32 s40, 0x47
	v_cmp_gt_i32_e32 vcc, s40, v0
	s_mov_b64 s[40:41], -1
	s_and_saveexec_b64 s[42:43], vcc
; %bb.139:                              ;   in Loop: Header=BB29_16 Depth=1
	v_cmp_eq_u32_e32 vcc, 0, v0
	s_orn2_b64 s[40:41], vcc, exec
; %bb.140:                              ;   in Loop: Header=BB29_16 Depth=1
	s_or_b64 exec, exec, s[42:43]
	s_and_b64 exec, exec, s[40:41]
	s_cbranch_execz .LBB29_148
; %bb.141:                              ;   in Loop: Header=BB29_16 Depth=1
	v_accvgpr_read_b32 v0, a24
	v_add_u32_e32 v1, s76, v0
	v_readlane_b32 s40, v254, 59
	v_readlane_b32 s41, v254, 60
	v_cmp_gt_i32_e32 vcc, s40, v1
	v_mov_b32_e32 v0, 0x47
	v_readlane_b32 s42, v254, 61
	v_readlane_b32 s43, v254, 62
	s_and_saveexec_b64 s[40:41], vcc
	s_cbranch_execz .LBB29_143
; %bb.142:                              ;   in Loop: Header=BB29_16 Depth=1
	v_readlane_b32 s42, v254, 63
	v_accvgpr_read_b32 v0, a67
	v_mul_lo_u32 v14, s42, v1
	v_add_u32_e32 v2, 0, v0
	v_accvgpr_read_b32 v8, a66
	ds_read2st64_b32 v[0:1], v2 offset0:2 offset1:35
	ds_read2st64_b32 v[2:3], v2 offset0:68 offset1:101
	ds_read2st64_b32 v[4:5], v8 offset1:1
	ds_read2st64_b32 v[6:7], v8 offset0:33 offset1:66
	ds_read_b32 v15, v8 offset:25344
	v_add_u32_e32 v8, v38, v14
	v_ashrrev_i32_e32 v9, 31, v8
	v_lshlrev_b64 v[8:9], 3, v[8:9]
	v_readlane_b32 s42, v255, 21
	v_add_co_u32_e32 v8, vcc, s42, v8
	v_mov_b32_e32 v10, s78
	v_addc_co_u32_e32 v9, vcc, v10, v9, vcc
	s_waitcnt lgkmcnt(2)
	v_cvt_f32_f16_sdwa v11, v4 dst_sel:DWORD dst_unused:UNUSED_PAD src0_sel:WORD_1
	v_cvt_f32_f16_e32 v10, v4
	s_waitcnt lgkmcnt(1)
	v_cvt_f32_f16_sdwa v13, v6 dst_sel:DWORD dst_unused:UNUSED_PAD src0_sel:WORD_1
	v_cvt_f32_f16_e32 v12, v6
	v_mov_b32_e32 v4, v1
	v_pk_fma_f32 v[10:11], v[0:1], v[10:11], 0 op_sel_hi:[0,1,0]
	v_accvgpr_read_b32 v1, a68
	v_pk_fma_f32 v[10:11], v[4:5], v[12:13], v[10:11] op_sel_hi:[0,1,1]
	v_cvt_f32_f16_sdwa v13, v7 dst_sel:DWORD dst_unused:UNUSED_PAD src0_sel:WORD_1
	v_cvt_f32_f16_e32 v12, v7
	v_pk_fma_f32 v[6:7], v[2:3], v[12:13], v[10:11] op_sel_hi:[0,1,1]
	s_waitcnt lgkmcnt(0)
	v_cvt_f32_f16_sdwa v11, v15 dst_sel:DWORD dst_unused:UNUSED_PAD src0_sel:WORD_1
	v_cvt_f32_f16_e32 v10, v15
	v_mov_b32_e32 v12, v3
	v_pk_fma_f32 v[6:7], v[12:13], v[10:11], v[6:7] op_sel_hi:[0,1,1]
	global_store_dwordx2 v[8:9], v[6:7], off
	ds_read2st64_b32 v[6:7], v1 offset0:33 offset1:66
	ds_read_b32 v13, v1 offset:25344
	v_ashrrev_i32_e32 v1, 31, v14
	v_add_co_u32_e32 v8, vcc, v38, v14
	v_cvt_f32_f16_sdwa v11, v5 dst_sel:DWORD dst_unused:UNUSED_PAD src0_sel:WORD_1
	v_cvt_f32_f16_e32 v10, v5
	v_addc_co_u32_e32 v9, vcc, 0, v1, vcc
	v_lshlrev_b64 v[8:9], 3, v[8:9]
	v_add_co_u32_e32 v8, vcc, s42, v8
	v_mov_b32_e32 v1, s78
	v_addc_co_u32_e32 v9, vcc, v1, v9, vcc
	v_pk_fma_f32 v[0:1], v[0:1], v[10:11], 0 op_sel_hi:[0,1,0]
	s_waitcnt lgkmcnt(1)
	v_cvt_f32_f16_sdwa v11, v6 dst_sel:DWORD dst_unused:UNUSED_PAD src0_sel:WORD_1
	v_cvt_f32_f16_e32 v10, v6
	v_pk_fma_f32 v[0:1], v[4:5], v[10:11], v[0:1] op_sel_hi:[0,1,1]
	v_cvt_f32_f16_sdwa v5, v7 dst_sel:DWORD dst_unused:UNUSED_PAD src0_sel:WORD_1
	v_cvt_f32_f16_e32 v4, v7
	v_pk_fma_f32 v[0:1], v[2:3], v[4:5], v[0:1] op_sel_hi:[0,1,1]
	s_waitcnt lgkmcnt(0)
	v_cvt_f32_f16_sdwa v3, v13 dst_sel:DWORD dst_unused:UNUSED_PAD src0_sel:WORD_1
	v_cvt_f32_f16_e32 v2, v13
	v_pk_fma_f32 v[0:1], v[12:13], v[2:3], v[0:1] op_sel_hi:[0,1,1]
	global_store_dwordx2 v[8:9], v[0:1], off offset:512
	v_mov_b32_e32 v0, 0
.LBB29_143:                             ;   in Loop: Header=BB29_16 Depth=1
	s_or_b64 exec, exec, s[40:41]
	s_movk_i32 s40, 0x47
	v_cmp_gt_i32_e32 vcc, s40, v0
	s_mov_b64 s[40:41], -1
	s_and_saveexec_b64 s[42:43], vcc
; %bb.144:                              ;   in Loop: Header=BB29_16 Depth=1
	v_cmp_eq_u32_e32 vcc, 0, v0
	s_orn2_b64 s[40:41], vcc, exec
; %bb.145:                              ;   in Loop: Header=BB29_16 Depth=1
	s_or_b64 exec, exec, s[42:43]
	s_and_b64 exec, exec, s[40:41]
	s_cbranch_execz .LBB29_148
; %bb.146:                              ;   in Loop: Header=BB29_16 Depth=1
	v_accvgpr_read_b32 v0, a25
	v_add_u32_e32 v0, s76, v0
	v_readlane_b32 s40, v254, 59
	v_cmp_gt_i32_e32 vcc, s40, v0
	v_readlane_b32 s41, v254, 60
	v_readlane_b32 s42, v254, 61
	;; [unrolled: 1-line block ×3, first 2 shown]
	s_and_b64 exec, exec, vcc
	s_cbranch_execz .LBB29_148
; %bb.147:                              ;   in Loop: Header=BB29_16 Depth=1
	v_readlane_b32 s40, v254, 63
	v_mul_lo_u32 v14, s40, v0
	v_accvgpr_read_b32 v0, a69
	v_add_u32_e32 v2, 0, v0
	v_accvgpr_read_b32 v8, a70
	ds_read2st64_b32 v[0:1], v2 offset0:2 offset1:35
	ds_read2st64_b32 v[2:3], v2 offset0:68 offset1:101
	ds_read2st64_b32 v[4:5], v8 offset1:1
	ds_read2st64_b32 v[6:7], v8 offset0:33 offset1:66
	ds_read_b32 v15, v8 offset:25344
	v_add_u32_e32 v8, v38, v14
	v_ashrrev_i32_e32 v9, 31, v8
	v_lshlrev_b64 v[8:9], 3, v[8:9]
	v_readlane_b32 s40, v255, 21
	v_add_co_u32_e32 v8, vcc, s40, v8
	v_mov_b32_e32 v10, s78
	v_addc_co_u32_e32 v9, vcc, v10, v9, vcc
	s_waitcnt lgkmcnt(2)
	v_cvt_f32_f16_sdwa v11, v4 dst_sel:DWORD dst_unused:UNUSED_PAD src0_sel:WORD_1
	v_cvt_f32_f16_e32 v10, v4
	s_waitcnt lgkmcnt(1)
	v_cvt_f32_f16_sdwa v13, v6 dst_sel:DWORD dst_unused:UNUSED_PAD src0_sel:WORD_1
	v_cvt_f32_f16_e32 v12, v6
	v_mov_b32_e32 v4, v1
	v_pk_fma_f32 v[10:11], v[0:1], v[10:11], 0 op_sel_hi:[0,1,0]
	v_accvgpr_read_b32 v1, a71
	v_pk_fma_f32 v[10:11], v[4:5], v[12:13], v[10:11] op_sel_hi:[0,1,1]
	v_cvt_f32_f16_sdwa v13, v7 dst_sel:DWORD dst_unused:UNUSED_PAD src0_sel:WORD_1
	v_cvt_f32_f16_e32 v12, v7
	v_pk_fma_f32 v[6:7], v[2:3], v[12:13], v[10:11] op_sel_hi:[0,1,1]
	s_waitcnt lgkmcnt(0)
	v_cvt_f32_f16_sdwa v11, v15 dst_sel:DWORD dst_unused:UNUSED_PAD src0_sel:WORD_1
	v_cvt_f32_f16_e32 v10, v15
	v_mov_b32_e32 v12, v3
	v_pk_fma_f32 v[6:7], v[12:13], v[10:11], v[6:7] op_sel_hi:[0,1,1]
	global_store_dwordx2 v[8:9], v[6:7], off
	ds_read2st64_b32 v[6:7], v1 offset0:33 offset1:66
	ds_read_b32 v13, v1 offset:25344
	v_ashrrev_i32_e32 v1, 31, v14
	v_add_co_u32_e32 v8, vcc, v38, v14
	v_cvt_f32_f16_sdwa v11, v5 dst_sel:DWORD dst_unused:UNUSED_PAD src0_sel:WORD_1
	v_cvt_f32_f16_e32 v10, v5
	v_addc_co_u32_e32 v9, vcc, 0, v1, vcc
	v_lshlrev_b64 v[8:9], 3, v[8:9]
	v_add_co_u32_e32 v8, vcc, s40, v8
	v_mov_b32_e32 v1, s78
	v_addc_co_u32_e32 v9, vcc, v1, v9, vcc
	v_pk_fma_f32 v[0:1], v[0:1], v[10:11], 0 op_sel_hi:[0,1,0]
	s_waitcnt lgkmcnt(1)
	v_cvt_f32_f16_sdwa v11, v6 dst_sel:DWORD dst_unused:UNUSED_PAD src0_sel:WORD_1
	v_cvt_f32_f16_e32 v10, v6
	v_pk_fma_f32 v[0:1], v[4:5], v[10:11], v[0:1] op_sel_hi:[0,1,1]
	v_cvt_f32_f16_sdwa v5, v7 dst_sel:DWORD dst_unused:UNUSED_PAD src0_sel:WORD_1
	v_cvt_f32_f16_e32 v4, v7
	v_pk_fma_f32 v[0:1], v[2:3], v[4:5], v[0:1] op_sel_hi:[0,1,1]
	s_waitcnt lgkmcnt(0)
	v_cvt_f32_f16_sdwa v3, v13 dst_sel:DWORD dst_unused:UNUSED_PAD src0_sel:WORD_1
	v_cvt_f32_f16_e32 v2, v13
	v_pk_fma_f32 v[0:1], v[12:13], v[2:3], v[0:1] op_sel_hi:[0,1,1]
	global_store_dwordx2 v[8:9], v[0:1], off offset:512
.LBB29_148:                             ;   in Loop: Header=BB29_16 Depth=1
	s_or_b64 exec, exec, s[38:39]
	s_barrier
	s_branch .LBB29_15
.LBB29_149:                             ;   in Loop: Header=BB29_16 Depth=1
	s_lshl_b32 s65, s77, 4
	v_add_u32_e32 v182, s65, v115
	v_readlane_b32 s40, v254, 59
	v_cmp_le_i32_e32 vcc, s40, v182
	v_readlane_b32 s41, v254, 60
	v_readlane_b32 s42, v254, 61
	;; [unrolled: 1-line block ×3, first 2 shown]
	s_and_saveexec_b64 s[38:39], vcc
	s_xor_b64 s[38:39], exec, s[38:39]
	s_cbranch_execz .LBB29_151
; %bb.150:                              ;   in Loop: Header=BB29_16 Depth=1
	ds_write2st64_b32 v155, v237, v237 offset1:1
.LBB29_151:                             ;   in Loop: Header=BB29_16 Depth=1
	s_andn2_saveexec_b64 s[38:39], s[38:39]
	s_cbranch_execz .LBB29_153
; %bb.152:                              ;   in Loop: Header=BB29_16 Depth=1
	v_mad_u64_u32 v[0:1], s[40:41], v182, s84, v[38:39]
	v_ashrrev_i32_e32 v1, 31, v0
	v_lshlrev_b64 v[0:1], 3, v[0:1]
	v_mov_b32_e32 v2, s75
	v_add_co_u32_e32 v0, vcc, s74, v0
	v_addc_co_u32_e32 v1, vcc, v2, v1, vcc
	global_load_dwordx2 v[2:3], v[0:1], off
	s_nop 0
	global_load_dwordx2 v[0:1], v[0:1], off offset:512
	s_waitcnt vmcnt(1)
	v_cvt_f16_f32_e32 v2, v2
	v_cvt_f16_f32_e32 v3, v3
	s_waitcnt vmcnt(0)
	v_cvt_f16_f32_e32 v0, v0
	v_cvt_f16_f32_e32 v1, v1
	v_pack_b32_f16 v2, v2, v3
	v_pack_b32_f16 v0, v0, v1
	v_pk_mul_f16 v1, v123, v2
	v_pk_mul_f16 v0, v123, v0
	ds_write2st64_b32 v155, v1, v0 offset1:1
.LBB29_153:                             ;   in Loop: Header=BB29_16 Depth=1
	s_or_b64 exec, exec, s[38:39]
	v_add_u32_e32 v180, s65, v126
	v_readlane_b32 s40, v254, 59
	v_cmp_le_i32_e32 vcc, s40, v180
	v_readlane_b32 s41, v254, 60
	v_readlane_b32 s42, v254, 61
	v_readlane_b32 s43, v254, 62
	s_and_saveexec_b64 s[38:39], vcc
	s_xor_b64 s[38:39], exec, s[38:39]
	s_cbranch_execz .LBB29_155
; %bb.154:                              ;   in Loop: Header=BB29_16 Depth=1
	v_add_u32_e32 v0, 64, v155
	ds_write2st64_b32 v0, v237, v237 offset0:8 offset1:9
.LBB29_155:                             ;   in Loop: Header=BB29_16 Depth=1
	s_andn2_saveexec_b64 s[38:39], s[38:39]
	s_cbranch_execz .LBB29_157
; %bb.156:                              ;   in Loop: Header=BB29_16 Depth=1
	v_mad_u64_u32 v[0:1], s[40:41], v180, s84, v[38:39]
	v_ashrrev_i32_e32 v1, 31, v0
	v_lshlrev_b64 v[0:1], 3, v[0:1]
	v_mov_b32_e32 v2, s75
	v_add_co_u32_e32 v0, vcc, s74, v0
	v_addc_co_u32_e32 v1, vcc, v2, v1, vcc
	global_load_dwordx2 v[2:3], v[0:1], off
	s_nop 0
	global_load_dwordx2 v[0:1], v[0:1], off offset:512
	s_waitcnt vmcnt(1)
	v_cvt_f16_f32_e32 v2, v2
	v_cvt_f16_f32_e32 v3, v3
	s_waitcnt vmcnt(0)
	v_cvt_f16_f32_e32 v0, v0
	v_cvt_f16_f32_e32 v1, v1
	v_pack_b32_f16 v2, v2, v3
	v_pack_b32_f16 v0, v0, v1
	v_pk_mul_f16 v1, v123, v2
	v_pk_mul_f16 v0, v123, v0
	v_add_u32_e32 v2, 64, v155
	ds_write2st64_b32 v2, v1, v0 offset0:8 offset1:9
.LBB29_157:                             ;   in Loop: Header=BB29_16 Depth=1
	s_or_b64 exec, exec, s[38:39]
	v_add_u32_e32 v179, s65, v125
	v_readlane_b32 s40, v254, 59
	v_cmp_le_i32_e32 vcc, s40, v179
	v_readlane_b32 s41, v254, 60
	v_readlane_b32 s42, v254, 61
	v_readlane_b32 s43, v254, 62
	s_and_saveexec_b64 s[38:39], vcc
	s_xor_b64 s[38:39], exec, s[38:39]
	s_cbranch_execz .LBB29_159
; %bb.158:                              ;   in Loop: Header=BB29_16 Depth=1
	v_add_u32_e32 v0, 0x80, v155
	ds_write2st64_b32 v0, v237, v237 offset0:16 offset1:17
.LBB29_159:                             ;   in Loop: Header=BB29_16 Depth=1
	s_andn2_saveexec_b64 s[38:39], s[38:39]
	s_cbranch_execz .LBB29_161
; %bb.160:                              ;   in Loop: Header=BB29_16 Depth=1
	v_mad_u64_u32 v[0:1], s[40:41], v179, s84, v[38:39]
	v_ashrrev_i32_e32 v1, 31, v0
	v_lshlrev_b64 v[0:1], 3, v[0:1]
	v_mov_b32_e32 v2, s75
	v_add_co_u32_e32 v0, vcc, s74, v0
	v_addc_co_u32_e32 v1, vcc, v2, v1, vcc
	global_load_dwordx2 v[2:3], v[0:1], off
	s_nop 0
	global_load_dwordx2 v[0:1], v[0:1], off offset:512
	s_waitcnt vmcnt(1)
	v_cvt_f16_f32_e32 v2, v2
	v_cvt_f16_f32_e32 v3, v3
	s_waitcnt vmcnt(0)
	v_cvt_f16_f32_e32 v0, v0
	v_cvt_f16_f32_e32 v1, v1
	v_pack_b32_f16 v2, v2, v3
	v_pack_b32_f16 v0, v0, v1
	v_pk_mul_f16 v1, v123, v2
	v_pk_mul_f16 v0, v123, v0
	v_add_u32_e32 v2, 0x80, v155
	ds_write2st64_b32 v2, v1, v0 offset0:16 offset1:17
.LBB29_161:                             ;   in Loop: Header=BB29_16 Depth=1
	;; [unrolled: 39-line block ×3, first 2 shown]
	s_or_b64 exec, exec, s[38:39]
	s_waitcnt lgkmcnt(0)
	s_barrier
	ds_read2_b64 v[30:33], v127 offset1:4
	ds_read2_b64 v[26:29], v127 offset0:8 offset1:12
	ds_read2_b64 v[22:25], v127 offset0:16 offset1:20
	;; [unrolled: 1-line block ×7, first 2 shown]
	s_mov_b32 s44, 0
	s_cmp_lt_i32 s79, 2
	v_mov_b32_e32 v176, 0
	s_waitcnt lgkmcnt(0)
	s_barrier
	s_cbranch_scc1 .LBB29_174
; %bb.166:                              ;   in Loop: Header=BB29_16 Depth=1
	v_readlane_b32 s38, v254, 10
	v_mul_hi_u32 v0, s38, v182
	v_readlane_b32 s39, v254, 11
	v_add_u32_e32 v0, v182, v0
	v_lshrrev_b32_e32 v0, s39, v0
	v_readlane_b32 s48, v254, 59
	v_mul_lo_u32 v0, v0, s48
	v_sub_u32_e32 v34, v182, v0
	v_mul_hi_u32 v0, s38, v180
	v_add_u32_e32 v0, v180, v0
	v_lshrrev_b32_e32 v0, s39, v0
	v_mul_lo_u32 v0, v0, s48
	v_sub_u32_e32 v35, v180, v0
	v_mul_hi_u32 v0, s38, v179
	v_add_u32_e32 v0, v179, v0
	v_lshrrev_b32_e32 v0, s39, v0
	;; [unrolled: 5-line block ×3, first 2 shown]
	v_mul_lo_u32 v0, v0, s48
	v_sub_u32_e32 v37, v175, v0
	v_and_b32_e32 v0, 64, v236
	v_add_u32_e32 v0, 64, v0
	v_xor_b32_e32 v1, 32, v236
	v_cmp_lt_i32_e32 vcc, v1, v0
	v_cndmask_b32_e32 v1, v236, v1, vcc
	v_lshlrev_b32_e32 v177, 2, v1
	v_xor_b32_e32 v1, 16, v236
	v_cmp_lt_i32_e32 vcc, v1, v0
	v_cndmask_b32_e32 v0, v236, v1, vcc
	v_lshlrev_b32_e32 v172, 2, v0
	v_accvgpr_read_b32 v0, a8
	v_mov_b32_e32 v1, s31
	v_add_co_u32_e32 v0, vcc, s30, v0
	v_readlane_b32 s38, v255, 19
	s_add_i32 s44, s79, -1
	v_addc_co_u32_e32 v1, vcc, 0, v1, vcc
	v_readlane_b32 s39, v255, 20
	s_mov_b32 s42, s38
	s_cmp_lg_u64 s[30:31], 0
	v_mad_i64_i32 v[84:85], s[38:39], s42, v37, v[0:1]
	v_mad_i64_i32 v[86:87], s[38:39], s42, v36, v[0:1]
	;; [unrolled: 1-line block ×4, first 2 shown]
	s_cselect_b64 s[40:41], -1, 0
	s_add_u32 s38, s70, s72
	s_addc_u32 s39, s67, s73
	v_accvgpr_read_b32 v1, a72
	v_mov_b32_e32 v0, s39
	v_add_co_u32_e32 v92, vcc, s38, v1
	v_accvgpr_read_b32 v1, a73
	v_addc_co_u32_e32 v1, vcc, v1, v0, vcc
	v_accvgpr_read_b32 v34, a74
	v_add_co_u32_e32 v94, vcc, s38, v34
	v_accvgpr_read_b32 v34, a75
	v_addc_co_u32_e32 v39, vcc, v34, v0, vcc
	v_accvgpr_read_b32 v34, a76
	v_add_co_u32_e32 v96, vcc, s38, v34
	v_accvgpr_read_b32 v34, a77
	v_addc_co_u32_e32 v41, vcc, v34, v0, vcc
	v_add_co_u32_e32 v98, vcc, s38, v210
	v_addc_co_u32_e32 v43, vcc, v211, v0, vcc
	v_add_co_u32_e32 v100, vcc, s38, v212
	;; [unrolled: 2-line block ×5, first 2 shown]
	s_add_u32 s38, s66, s68
	v_addc_co_u32_e32 v97, vcc, v219, v0, vcc
	s_addc_u32 s34, s34, s69
	v_mov_b32_e32 v0, s34
	v_add_co_u32_e32 v108, vcc, s38, v220
	v_addc_co_u32_e32 v99, vcc, v221, v0, vcc
	v_add_co_u32_e32 v110, vcc, s38, v222
	v_addc_co_u32_e32 v101, vcc, v223, v0, vcc
	;; [unrolled: 2-line block ×7, first 2 shown]
	v_add_co_u32_e32 v122, vcc, s38, v234
	v_mov_b32_e32 v146, 0
	v_mov_b32_e32 v82, v80
	;; [unrolled: 1-line block ×3, first 2 shown]
	v_addc_co_u32_e32 v113, vcc, v235, v0, vcc
	v_mov_b32_e32 v0, 0
	v_mov_b32_e32 v44, 0xfeffffff
	s_mov_b32 s34, s44
	v_mov_b32_e32 v40, 0
	v_mov_b32_e32 v119, 0
	;; [unrolled: 1-line block ×31, first 2 shown]
	v_readlane_b32 s49, v254, 60
	v_readlane_b32 s50, v254, 61
	;; [unrolled: 1-line block ×3, first 2 shown]
	v_cndmask_b32_e64 v34, 0, 1, s[40:41]
	v_cmp_ne_u32_e64 s[38:39], 1, v34
	s_andn2_b64 vcc, exec, s[40:41]
	s_cbranch_vccnz .LBB29_170
.LBB29_167:                             ;   in Loop: Header=BB29_16 Depth=1
	v_mov_b32_e32 v34, 0
	v_mov_b32_e32 v35, 0
	;; [unrolled: 1-line block ×4, first 2 shown]
	s_and_saveexec_b64 s[42:43], s[4:5]
	s_cbranch_execz .LBB29_169
; %bb.168:                              ;   in Loop: Header=BB29_16 Depth=1
	flat_load_ushort v34, v[90:91]
	flat_load_ushort v35, v[88:89]
	;; [unrolled: 1-line block ×4, first 2 shown]
.LBB29_169:                             ;   in Loop: Header=BB29_16 Depth=1
	s_or_b64 exec, exec, s[42:43]
	s_waitcnt vmcnt(0) lgkmcnt(0)
	ds_write_b16 v128, v34 offset:33792
	ds_write_b16 v238, v35 offset:33792
	;; [unrolled: 1-line block ×4, first 2 shown]
.LBB29_170:                             ;   Parent Loop BB29_16 Depth=1
                                        ; =>  This Inner Loop Header: Depth=2
	v_add_co_u32_e32 v34, vcc, v108, v78
	v_addc_co_u32_e32 v35, vcc, 0, v99, vcc
	v_mov_b32_e32 v45, s93
	v_mov_b32_e32 v81, s92
	buffer_store_dword v237, off, s[0:3], 0
	buffer_store_dword v237, off, s[0:3], 0 offset:4
	buffer_store_dword v237, off, s[0:3], 0 offset:8
	;; [unrolled: 1-line block ×3, first 2 shown]
	v_cndmask_b32_e64 v35, v45, v35, s[6:7]
	v_cndmask_b32_e64 v34, v81, v34, s[6:7]
	flat_load_dwordx4 v[34:37], v[34:35]
	s_waitcnt vmcnt(0) lgkmcnt(0)
	ds_write_b128 v130, v[34:37]
	v_add_co_u32_e32 v34, vcc, v110, v78
	v_addc_co_u32_e32 v35, vcc, 0, v101, vcc
	v_cndmask_b32_e64 v35, v45, v35, s[54:55]
	v_cndmask_b32_e64 v34, v81, v34, s[54:55]
	flat_load_dwordx4 v[34:37], v[34:35]
	s_waitcnt vmcnt(0) lgkmcnt(0)
	ds_write_b128 v242, v[34:37]
	v_add_co_u32_e32 v34, vcc, v112, v78
	v_addc_co_u32_e32 v35, vcc, 0, v103, vcc
	;; [unrolled: 7-line block ×7, first 2 shown]
	v_cndmask_b32_e64 v35, v45, v35, s[20:21]
	v_cndmask_b32_e64 v34, v81, v34, s[20:21]
	flat_load_dwordx4 v[34:37], v[34:35]
	s_and_b64 vcc, exec, s[38:39]
	s_waitcnt vmcnt(0) lgkmcnt(0)
	ds_write_b128 v201, v[34:37]
	s_waitcnt lgkmcnt(0)
	s_barrier
	ds_read2_b64 v[34:37], v131 offset1:4
	s_waitcnt lgkmcnt(0)
	v_mfma_f32_16x16x16f16 a[0:3], v[34:35], v[30:31], 0
	v_mfma_f32_16x16x16f16 a[0:3], v[36:37], v[32:33], a[0:3]
	ds_read2_b64 v[34:37], v131 offset0:8 offset1:12
	s_waitcnt lgkmcnt(0)
	v_mfma_f32_16x16x16f16 a[0:3], v[34:35], v[26:27], a[0:3]
	v_mfma_f32_16x16x16f16 a[0:3], v[36:37], v[28:29], a[0:3]
	ds_read2_b64 v[34:37], v131 offset0:16 offset1:20
	;; [unrolled: 4-line block ×7, first 2 shown]
	s_waitcnt lgkmcnt(0)
	s_barrier
	v_mfma_f32_16x16x16f16 a[0:3], v[34:35], v[2:3], a[0:3]
	v_mfma_f32_16x16x16f16 a[0:3], v[36:37], v[4:5], a[0:3]
	s_cbranch_vccnz .LBB29_172
; %bb.171:                              ;   in Loop: Header=BB29_170 Depth=2
	v_add_u32_e32 v45, 0x8400, v133
	ds_read2_b32 v[204:205], v45 offset1:1
	s_nop 7
	v_accvgpr_read_b32 v37, a3
	v_accvgpr_read_b32 v36, a2
	;; [unrolled: 1-line block ×4, first 2 shown]
	s_waitcnt lgkmcnt(0)
	v_cvt_f32_f16_e32 v206, v204
	v_cvt_f32_f16_e32 v208, v205
	v_cvt_f32_f16_sdwa v209, v205 dst_sel:DWORD dst_unused:UNUSED_PAD src0_sel:WORD_1
	v_cvt_f32_f16_sdwa v207, v204 dst_sel:DWORD dst_unused:UNUSED_PAD src0_sel:WORD_1
	v_mov_b32_e32 v81, v80
	v_pk_fma_f32 v[36:37], v[80:81], v[208:209], v[36:37]
	v_pk_fma_f32 v[34:35], v[82:83], v[206:207], v[34:35]
	v_accvgpr_write_b32 a0, v34
	v_accvgpr_write_b32 a1, v35
	;; [unrolled: 1-line block ×4, first 2 shown]
.LBB29_172:                             ;   in Loop: Header=BB29_170 Depth=2
	s_nop 7
	s_nop 1
	v_accvgpr_read_b32 v207, a3
	v_accvgpr_read_b32 v204, a0
	v_add_f32_e32 v34, 0x40051340, v204
	v_max_f32_e32 v35, v44, v44
	v_max_f32_e32 v34, v35, v34
	v_accvgpr_read_b32 v205, a1
	v_cndmask_b32_e64 v34, v44, v34, s[22:23]
	v_add_f32_e32 v35, 0x40051340, v205
	v_max_f32_e32 v36, v34, v34
	v_max_f32_e32 v35, v36, v35
	v_accvgpr_read_b32 v206, a2
	v_cndmask_b32_e64 v34, v34, v35, s[24:25]
	v_add_f32_e32 v35, 0x40051340, v206
	v_max_f32_e32 v36, v34, v34
	v_max_f32_e32 v35, v36, v35
	v_cndmask_b32_e64 v34, v34, v35, s[26:27]
	v_add_f32_e32 v35, 0x40051340, v207
	v_max_f32_e32 v36, v34, v34
	v_max_f32_e32 v35, v36, v35
	v_cndmask_b32_e64 v34, v34, v35, s[28:29]
	ds_bpermute_b32 v35, v177, v34
	v_max_f32_e32 v34, v34, v34
	v_cndmask_b32_e64 v138, v206, v206, s[24:25]
	buffer_store_dword v237, off, s[0:3], 0
	buffer_store_dword v237, off, s[0:3], 0 offset:4
	buffer_store_dword v237, off, s[0:3], 0 offset:8
	;; [unrolled: 1-line block ×3, first 2 shown]
	s_add_i32 s34, s34, -1
	s_waitcnt lgkmcnt(0)
	v_max_f32_e32 v35, v35, v35
	v_max_f32_e32 v34, v34, v35
	ds_bpermute_b32 v35, v172, v34
	s_cmp_lg_u32 s34, 0
	s_waitcnt lgkmcnt(0)
	v_max_f32_e32 v35, v35, v35
	v_max_f32_e32 v36, v34, v35
	v_sub_f32_e32 v34, v204, v36
	v_mul_f32_e32 v35, 0x3fb8aa3b, v34
	v_fma_f32 v37, v34, s87, -v35
	v_rndne_f32_e32 v45, v35
	v_fmac_f32_e32 v37, 0x32a5705f, v34
	v_sub_f32_e32 v35, v35, v45
	v_add_f32_e32 v35, v35, v37
	v_exp_f32_e32 v35, v35
	v_cvt_i32_f32_e32 v37, v45
	v_cmp_ngt_f32_e32 vcc, s94, v34
	v_sub_f32_e32 v44, v44, v36
	v_ldexp_f32 v35, v35, v37
	v_cndmask_b32_e32 v35, 0, v35, vcc
	v_cmp_nlt_f32_e32 vcc, s81, v34
	v_cndmask_b32_e32 v34, v183, v35, vcc
	v_sub_f32_e32 v35, v205, v36
	v_mul_f32_e32 v37, 0x3fb8aa3b, v35
	v_fma_f32 v45, v35, s87, -v37
	v_rndne_f32_e32 v81, v37
	v_fmac_f32_e32 v45, 0x32a5705f, v35
	v_sub_f32_e32 v37, v37, v81
	v_add_f32_e32 v37, v37, v45
	v_exp_f32_e32 v37, v37
	v_cvt_i32_f32_e32 v45, v81
	v_cmp_ngt_f32_e32 vcc, s94, v35
	v_cndmask_b32_e64 v34, 0, v34, s[22:23]
	v_cndmask_b32_e64 v81, v207, v207, s[24:25]
	v_ldexp_f32 v37, v37, v45
	v_cndmask_b32_e32 v37, 0, v37, vcc
	v_cmp_nlt_f32_e32 vcc, s81, v35
	v_cndmask_b32_e32 v37, v183, v37, vcc
	v_mov_b32_e32 v35, s35
	v_add_f32_e32 v45, v37, v34
	v_cndmask_b32_e64 v205, v35, v37, s[24:25]
	v_sub_f32_e32 v37, v138, v36
	v_cndmask_b32_e64 v35, v34, v45, s[24:25]
	v_mul_f32_e32 v45, 0x3fb8aa3b, v37
	v_fma_f32 v138, v37, s87, -v45
	v_rndne_f32_e32 v157, v45
	v_fmac_f32_e32 v138, 0x32a5705f, v37
	v_sub_f32_e32 v45, v45, v157
	v_add_f32_e32 v45, v45, v138
	v_exp_f32_e32 v45, v45
	v_cvt_i32_f32_e32 v138, v157
	v_cmp_ngt_f32_e32 vcc, s94, v37
	v_cvt_f16_f32_e32 v34, v34
	v_ldexp_f32 v45, v45, v138
	v_cndmask_b32_e32 v45, 0, v45, vcc
	v_cmp_nlt_f32_e32 vcc, s81, v37
	v_cndmask_b32_e32 v37, v183, v45, vcc
	v_add_f32_e32 v45, v35, v37
	v_mov_b32_e32 v138, s35
	v_cndmask_b32_e64 v206, v138, v37, s[26:27]
	v_cndmask_b32_e64 v37, v35, v45, s[26:27]
	v_sub_f32_e32 v35, v81, v36
	v_mul_f32_e32 v45, 0x3fb8aa3b, v35
	v_fma_f32 v81, v35, s87, -v45
	v_rndne_f32_e32 v138, v45
	v_fmac_f32_e32 v81, 0x32a5705f, v35
	v_sub_f32_e32 v45, v45, v138
	v_add_f32_e32 v45, v45, v81
	v_exp_f32_e32 v45, v45
	v_cvt_i32_f32_e32 v81, v138
	v_cmp_ngt_f32_e32 vcc, s94, v35
	v_ldexp_f32 v45, v45, v81
	v_cndmask_b32_e32 v45, 0, v45, vcc
	v_cmp_nlt_f32_e32 vcc, s81, v35
	v_cndmask_b32_e32 v45, v183, v45, vcc
	v_mov_b32_e32 v35, s35
	v_add_f32_e32 v81, v37, v45
	v_cndmask_b32_e64 v35, v35, v45, s[28:29]
	v_mul_f32_e32 v45, 0x3fb8aa3b, v44
	v_cndmask_b32_e64 v37, v37, v81, s[28:29]
	v_fma_f32 v81, v44, s87, -v45
	v_rndne_f32_e32 v138, v45
	v_fmac_f32_e32 v81, 0x32a5705f, v44
	v_sub_f32_e32 v45, v45, v138
	v_add_f32_e32 v45, v45, v81
	v_exp_f32_e32 v45, v45
	v_cvt_i32_f32_e32 v81, v138
	v_cmp_ngt_f32_e32 vcc, s94, v44
	v_cvt_f16_f32_e32 v35, v35
	v_ldexp_f32 v45, v45, v81
	v_cndmask_b32_e32 v45, 0, v45, vcc
	v_cmp_nlt_f32_e32 vcc, s81, v44
	v_cndmask_b32_e32 v45, v183, v45, vcc
	v_cmp_le_f32_e32 vcc, s95, v44
	v_cndmask_b32_e32 v44, 0, v45, vcc
	v_cvt_f16_f32_e32 v207, v44
	v_fmac_f32_e32 v37, v0, v44
	v_pk_mul_f16 v161, v207, v121 op_sel_hi:[0,1]
	v_pk_mul_f16 v121, v207, v140 op_sel_hi:[0,1]
	v_cvt_f16_f32_e32 v140, v205
	v_pk_mul_f16 v0, v207, v144 op_sel_hi:[0,1]
	v_pk_mul_f16 v144, v207, v145 op_sel_hi:[0,1]
	;; [unrolled: 1-line block ×3, first 2 shown]
	v_pack_b32_f16 v34, v34, v140
	v_cvt_f16_f32_e32 v140, v206
	v_pk_mul_f16 v142, v207, v143 op_sel_hi:[0,1]
	v_mov_b32_e32 v145, s93
	v_pk_mul_f16 v185, v207, v166 op_sel_hi:[0,1]
	v_pack_b32_f16 v35, v140, v35
	v_add_co_u32_e32 v140, vcc, v92, v78
	v_addc_co_u32_e32 v143, vcc, 0, v1, vcc
	v_pk_mul_f16 v166, v207, v171 op_sel_hi:[0,1]
	v_cndmask_b32_e64 v171, v145, v143, s[6:7]
	v_mov_b32_e32 v143, s92
	v_pk_mul_f16 v181, v207, v168 op_sel_hi:[0,1]
	v_pk_mul_f16 v168, v207, v170 op_sel_hi:[0,1]
	v_cndmask_b32_e64 v170, v143, v140, s[6:7]
	v_pk_mul_f16 v204, v207, v174 op_sel_hi:[0,1]
	v_pk_mul_f16 v174, v207, v176 op_sel_hi:[0,1]
	;; [unrolled: 1-line block ×22, first 2 shown]
	flat_load_dwordx4 v[206:209], v[170:171]
	v_add_co_u32_e32 v140, vcc, v94, v78
	v_addc_co_u32_e32 v146, vcc, 0, v39, vcc
	v_cndmask_b32_e64 v171, v145, v146, s[54:55]
	v_cndmask_b32_e64 v170, v143, v140, s[54:55]
	v_add_co_u32_e32 v140, vcc, v96, v78
	v_addc_co_u32_e32 v146, vcc, 0, v41, vcc
	v_cvt_f32_f16_sdwa v205, v173 dst_sel:DWORD dst_unused:UNUSED_PAD src0_sel:WORD_1
	s_waitcnt vmcnt(0) lgkmcnt(0)
	ds_write_b128 v130, v[206:209]
	flat_load_dwordx4 v[206:209], v[170:171]
	v_cndmask_b32_e64 v171, v145, v146, s[10:11]
	v_cndmask_b32_e64 v170, v143, v140, s[10:11]
	v_add_co_u32_e32 v140, vcc, v98, v78
	v_addc_co_u32_e32 v146, vcc, 0, v43, vcc
	s_waitcnt vmcnt(0) lgkmcnt(0)
	ds_write_b128 v242, v[206:209]
	flat_load_dwordx4 v[206:209], v[170:171]
	v_cndmask_b32_e64 v171, v145, v146, s[12:13]
	v_cndmask_b32_e64 v170, v143, v140, s[12:13]
	v_add_co_u32_e32 v140, vcc, v100, v78
	v_addc_co_u32_e32 v146, vcc, 0, v79, vcc
	;; [unrolled: 7-line block ×5, first 2 shown]
	v_add_co_u32_e32 v84, vcc, s99, v84
	v_addc_co_u32_e32 v85, vcc, 0, v85, vcc
	v_add_co_u32_e32 v86, vcc, s99, v86
	v_addc_co_u32_e32 v87, vcc, 0, v87, vcc
	;; [unrolled: 2-line block ×4, first 2 shown]
	v_add_co_u32_e32 v92, vcc, s36, v92
	s_waitcnt vmcnt(0) lgkmcnt(0)
	ds_write_b128 v250, v[206:209]
	flat_load_dwordx4 v[206:209], v[170:171]
	v_cndmask_b32_e64 v171, v145, v146, s[20:21]
	v_cndmask_b32_e64 v170, v143, v140, s[20:21]
	s_waitcnt vmcnt(0) lgkmcnt(0)
	ds_write_b128 v252, v[206:209]
	flat_load_dwordx4 v[206:209], v[170:171]
	s_waitcnt vmcnt(0) lgkmcnt(0)
	ds_write_b128 v201, v[206:209]
	s_waitcnt lgkmcnt(0)
	s_barrier
	ds_read_u16 v140, v135 offset:528
	ds_read_u16 v143, v135 offset:1056
	ds_read_u16 v145, v136
	ds_read_u16 v146, v136 offset:32
	v_cvt_f32_f16_e32 v206, v204
	v_cvt_f32_f16_sdwa v207, v204 dst_sel:DWORD dst_unused:UNUSED_PAD src0_sel:WORD_1
	v_cvt_f32_f16_e32 v208, v174
	s_waitcnt lgkmcnt(1)
	v_perm_b32 v171, v145, v143, s33
	ds_read_u16 v143, v134
	ds_read_u16 v145, v134 offset:32
	v_cvt_f32_f16_sdwa v209, v174 dst_sel:DWORD dst_unused:UNUSED_PAD src0_sel:WORD_1
	v_accvgpr_write_b32 a0, v206
	v_accvgpr_write_b32 a1, v207
	s_waitcnt lgkmcnt(1)
	v_perm_b32 v170, v140, v143, s33
	v_accvgpr_write_b32 a2, v208
	v_accvgpr_write_b32 a3, v209
	v_cvt_f32_f16_e32 v204, v173
	v_cvt_f32_f16_e32 v206, v169
	v_mfma_f32_16x16x16f16 a[0:3], v[170:171], v[34:35], a[0:3]
	v_cvt_f32_f16_sdwa v207, v169 dst_sel:DWORD dst_unused:UNUSED_PAD src0_sel:WORD_1
	s_nop 7
	s_nop 1
	v_accvgpr_read_b32 v140, a0
	v_accvgpr_read_b32 v143, a1
	v_cvt_f16_f32_e32 v140, v140
	v_cvt_f16_f32_e32 v143, v143
	v_accvgpr_read_b32 v148, a2
	v_accvgpr_read_b32 v151, a3
	v_accvgpr_write_b32 a0, v204
	v_pack_b32_f16 v174, v140, v143
	ds_read_u16 v140, v199 offset:528
	ds_read_u16 v143, v199 offset:1056
	v_accvgpr_write_b32 a1, v205
	v_accvgpr_write_b32 a2, v206
	;; [unrolled: 1-line block ×3, first 2 shown]
	s_waitcnt lgkmcnt(1)
	v_perm_b32 v170, v140, v145, s33
	s_waitcnt lgkmcnt(0)
	v_perm_b32 v171, v146, v143, s33
	v_cvt_f32_f16_e32 v204, v185
	v_cvt_f32_f16_sdwa v205, v185 dst_sel:DWORD dst_unused:UNUSED_PAD src0_sel:WORD_1
	v_mfma_f32_16x16x16f16 a[0:3], v[170:171], v[34:35], a[0:3]
	v_cvt_f32_f16_e32 v206, v166
	v_cvt_f32_f16_sdwa v207, v166 dst_sel:DWORD dst_unused:UNUSED_PAD src0_sel:WORD_1
	v_cvt_f16_f32_e32 v148, v148
	v_cvt_f16_f32_e32 v151, v151
	v_pack_b32_f16 v176, v148, v151
	s_nop 5
	v_accvgpr_read_b32 v140, a0
	v_accvgpr_read_b32 v143, a1
	v_accvgpr_read_b32 v145, a2
	v_accvgpr_read_b32 v146, a3
	v_cvt_f16_f32_e32 v140, v140
	v_cvt_f16_f32_e32 v143, v143
	v_cvt_f16_f32_e32 v145, v145
	v_cvt_f16_f32_e32 v146, v146
	v_accvgpr_write_b32 a0, v204
	v_pack_b32_f16 v173, v140, v143
	v_accvgpr_write_b32 a1, v205
	v_pack_b32_f16 v169, v145, v146
	ds_read_u16 v140, v134 offset:64
	ds_read_u16 v143, v203 offset:528
	ds_read_u16 v145, v203 offset:1056
	ds_read_u16 v146, v136 offset:64
	v_accvgpr_write_b32 a2, v206
	v_accvgpr_write_b32 a3, v207
	s_waitcnt lgkmcnt(2)
	v_perm_b32 v170, v143, v140, s33
	v_cvt_f32_f16_e32 v204, v181
	s_waitcnt lgkmcnt(0)
	v_perm_b32 v171, v146, v145, s33
	v_cvt_f32_f16_sdwa v205, v181 dst_sel:DWORD dst_unused:UNUSED_PAD src0_sel:WORD_1
	v_cvt_f32_f16_e32 v206, v168
	v_mfma_f32_16x16x16f16 a[0:3], v[170:171], v[34:35], a[0:3]
	v_cvt_f32_f16_sdwa v207, v168 dst_sel:DWORD dst_unused:UNUSED_PAD src0_sel:WORD_1
	s_nop 7
	s_nop 1
	v_accvgpr_read_b32 v140, a0
	v_accvgpr_read_b32 v143, a1
	v_accvgpr_read_b32 v145, a2
	v_accvgpr_read_b32 v146, a3
	v_cvt_f16_f32_e32 v140, v140
	v_cvt_f16_f32_e32 v143, v143
	v_cvt_f16_f32_e32 v145, v145
	v_cvt_f16_f32_e32 v146, v146
	v_accvgpr_write_b32 a0, v204
	v_pack_b32_f16 v166, v140, v143
	v_accvgpr_write_b32 a1, v205
	v_pack_b32_f16 v171, v145, v146
	ds_read_u16 v140, v134 offset:96
	ds_read_u16 v143, v196 offset:528
	ds_read_u16 v145, v196 offset:1056
	ds_read_u16 v146, v136 offset:96
	v_accvgpr_write_b32 a2, v206
	v_accvgpr_write_b32 a3, v207
	s_waitcnt lgkmcnt(2)
	v_perm_b32 v208, v143, v140, s33
	v_cvt_f32_f16_e32 v204, v150
	s_waitcnt lgkmcnt(0)
	v_perm_b32 v209, v146, v145, s33
	v_cvt_f32_f16_sdwa v205, v150 dst_sel:DWORD dst_unused:UNUSED_PAD src0_sel:WORD_1
	v_cvt_f32_f16_e32 v206, v45
	v_mfma_f32_16x16x16f16 a[0:3], v[208:209], v[34:35], a[0:3]
	v_cvt_f32_f16_sdwa v207, v45 dst_sel:DWORD dst_unused:UNUSED_PAD src0_sel:WORD_1
	s_nop 7
	;; [unrolled: 29-line block ×13, first 2 shown]
	s_nop 1
	v_accvgpr_read_b32 v0, a0
	v_accvgpr_read_b32 v44, a1
	;; [unrolled: 1-line block ×4, first 2 shown]
	v_cvt_f16_f32_e32 v0, v0
	v_cvt_f16_f32_e32 v44, v44
	;; [unrolled: 1-line block ×4, first 2 shown]
	v_accvgpr_write_b32 a0, v204
	v_pack_b32_f16 v119, v0, v44
	v_accvgpr_write_b32 a1, v205
	v_pack_b32_f16 v162, v45, v138
	ds_read_u16 v0, v134 offset:480
	ds_read_u16 v44, v189 offset:528
	;; [unrolled: 1-line block ×4, first 2 shown]
	v_accvgpr_write_b32 a2, v206
	v_accvgpr_write_b32 a3, v207
	s_waitcnt lgkmcnt(2)
	v_perm_b32 v44, v44, v0, s33
	s_waitcnt lgkmcnt(0)
	v_perm_b32 v45, v138, v45, s33
	s_barrier
	s_nop 0
	v_mfma_f32_16x16x16f16 a[0:3], v[44:45], v[34:35], a[0:3]
	s_nop 7
	s_nop 2
	v_accvgpr_read_b32 v0, a0
	v_accvgpr_read_b32 v34, a1
	v_cvt_f16_f32_e32 v0, v0
	v_cvt_f16_f32_e32 v34, v34
	v_accvgpr_read_b32 v35, a2
	v_accvgpr_read_b32 v40, a3
	v_cvt_f16_f32_e32 v35, v35
	v_pack_b32_f16 v146, v0, v34
	v_mov_b32_e32 v0, s37
	v_addc_co_u32_e32 v1, vcc, v1, v0, vcc
	v_add_co_u32_e32 v94, vcc, s36, v94
	v_addc_co_u32_e32 v39, vcc, v39, v0, vcc
	v_add_co_u32_e32 v96, vcc, s36, v96
	;; [unrolled: 2-line block ×8, first 2 shown]
	v_mov_b32_e32 v0, s9
	v_addc_co_u32_e32 v99, vcc, v99, v0, vcc
	v_add_co_u32_e32 v110, vcc, s8, v110
	v_addc_co_u32_e32 v101, vcc, v101, v0, vcc
	v_add_co_u32_e32 v112, vcc, s8, v112
	;; [unrolled: 2-line block ×5, first 2 shown]
	v_cvt_f16_f32_e32 v40, v40
	v_addc_co_u32_e32 v109, vcc, v109, v0, vcc
	v_add_co_u32_e32 v120, vcc, s8, v120
	v_addc_co_u32_e32 v111, vcc, v111, v0, vcc
	v_add_co_u32_e32 v122, vcc, s8, v122
	v_pack_b32_f16 v40, v35, v40
	v_addc_co_u32_e32 v113, vcc, v113, v0, vcc
	s_cbranch_scc0 .LBB29_175
; %bb.173:                              ;   in Loop: Header=BB29_170 Depth=2
	v_mov_b32_e32 v0, v37
	v_mov_b32_e32 v44, v36
	v_cndmask_b32_e64 v34, 0, 1, s[40:41]
	v_cmp_ne_u32_e64 s[38:39], 1, v34
	s_andn2_b64 vcc, exec, s[40:41]
	s_cbranch_vccz .LBB29_167
	s_branch .LBB29_170
.LBB29_174:                             ;   in Loop: Header=BB29_16 Depth=1
	v_mov_b32_e32 v37, 0
	v_mov_b32_e32 v36, 0xfeffffff
	;; [unrolled: 1-line block ×33, first 2 shown]
	s_branch .LBB29_176
.LBB29_175:                             ;   in Loop: Header=BB29_16 Depth=1
	v_mov_b32_e32 v157, 0x3ecccdef
	v_mov_b32_e32 v159, 0x37000000
.LBB29_176:                             ;   in Loop: Header=BB29_16 Depth=1
	s_lshl_b32 s34, s44, 6
	v_readlane_b32 s38, v254, 4
	s_sub_i32 s60, s38, s34
	s_cmp_lg_u64 s[30:31], 0
	s_cselect_b64 s[56:57], -1, 0
	s_cmp_eq_u64 s[30:31], 0
	v_readlane_b32 s39, v254, 5
	s_cbranch_scc1 .LBB29_182
; %bb.177:                              ;   in Loop: Header=BB29_16 Depth=1
	v_cmp_le_i32_e32 vcc, s60, v38
                                        ; implicit-def: $sgpr40
	s_and_saveexec_b64 s[38:39], vcc
	s_xor_b64 s[38:39], exec, s[38:39]
	s_cbranch_execz .LBB29_179
; %bb.178:                              ;   in Loop: Header=BB29_16 Depth=1
	ds_write_b16 v128, v237 offset:33792
	ds_write_b16 v238, v237 offset:33792
	s_mov_b32 s40, 0
                                        ; implicit-def: $vgpr182
                                        ; implicit-def: $vgpr180
                                        ; implicit-def: $vgpr179
                                        ; implicit-def: $vgpr175
.LBB29_179:                             ;   in Loop: Header=BB29_16 Depth=1
	s_or_saveexec_b64 s[38:39], s[38:39]
	v_mov_b32_e32 v0, s40
	v_mov_b32_e32 v1, s40
	s_xor_b64 exec, exec, s[38:39]
	s_cbranch_execz .LBB29_181
; %bb.180:                              ;   in Loop: Header=BB29_16 Depth=1
	s_lshl_b64 s[40:41], s[34:35], 1
	s_add_u32 s30, s30, s40
	s_addc_u32 s31, s31, s41
	v_lshlrev_b32_e32 v0, 1, v38
	v_add_co_u32_e32 v39, vcc, s30, v0
	v_mov_b32_e32 v0, s31
	v_readlane_b32 s44, v254, 10
	v_addc_co_u32_e32 v41, vcc, 0, v0, vcc
	v_mul_hi_u32 v0, s44, v182
	v_readlane_b32 s45, v254, 11
	v_add_u32_e32 v0, v182, v0
	v_lshrrev_b32_e32 v0, s45, v0
	v_readlane_b32 s40, v254, 59
	v_readlane_b32 s42, v254, 61
	v_mul_lo_u32 v0, v0, s40
	v_readlane_b32 s30, v255, 17
	v_sub_u32_e32 v0, v182, v0
	v_readlane_b32 s31, v255, 18
	s_mov_b32 s42, s30
	v_mad_i64_i32 v[0:1], s[30:31], v0, s42, 0
	v_lshlrev_b64 v[0:1], 1, v[0:1]
	v_add_co_u32_e32 v0, vcc, v39, v0
	v_addc_co_u32_e32 v1, vcc, v41, v1, vcc
	flat_load_ushort v34, v[0:1]
	v_mul_hi_u32 v0, s44, v180
	v_add_u32_e32 v0, v180, v0
	v_lshrrev_b32_e32 v0, s45, v0
	v_mul_lo_u32 v0, v0, s40
	v_sub_u32_e32 v0, v180, v0
	v_mad_i64_i32 v[0:1], s[30:31], v0, s42, 0
	v_lshlrev_b64 v[0:1], 1, v[0:1]
	v_add_co_u32_e32 v0, vcc, v39, v0
	v_addc_co_u32_e32 v1, vcc, v41, v1, vcc
	flat_load_ushort v0, v[0:1]
	v_readlane_b32 s41, v254, 60
	v_readlane_b32 s43, v254, 62
	s_waitcnt vmcnt(0) lgkmcnt(0)
	ds_write_b16 v128, v34 offset:33792
	ds_write_b16 v238, v0 offset:33792
	v_mul_hi_u32 v0, s44, v179
	v_add_u32_e32 v0, v179, v0
	v_lshrrev_b32_e32 v0, s45, v0
	v_mul_lo_u32 v0, v0, s40
	v_sub_u32_e32 v0, v179, v0
	v_mad_i64_i32 v[0:1], s[30:31], v0, s42, 0
	v_lshlrev_b64 v[0:1], 1, v[0:1]
	v_add_co_u32_e32 v0, vcc, v39, v0
	v_addc_co_u32_e32 v1, vcc, v41, v1, vcc
	flat_load_ushort v0, v[0:1]
	v_mul_hi_u32 v1, s44, v175
	v_add_u32_e32 v1, v175, v1
	v_lshrrev_b32_e32 v1, s45, v1
	v_mul_lo_u32 v1, v1, s40
	v_sub_u32_e32 v1, v175, v1
	v_mad_i64_i32 v[34:35], s[30:31], v1, s42, 0
	v_lshlrev_b64 v[34:35], 1, v[34:35]
	v_add_co_u32_e32 v34, vcc, v39, v34
	v_addc_co_u32_e32 v35, vcc, v41, v35, vcc
	flat_load_ushort v1, v[34:35]
.LBB29_181:                             ;   in Loop: Header=BB29_16 Depth=1
	s_or_b64 exec, exec, s[38:39]
	s_waitcnt vmcnt(0) lgkmcnt(0)
	ds_write_b16 v239, v0 offset:33792
	ds_write_b16 v240, v1 offset:33792
.LBB29_182:                             ;   in Loop: Header=BB29_16 Depth=1
	s_mul_i32 s30, s34, s97
	s_mul_hi_u32 s31, s34, s96
	s_add_i32 s31, s31, s30
	s_mul_i32 s30, s34, s96
	s_lshl_b64 s[38:39], s[30:31], 2
	s_add_u32 s31, s80, s38
	s_addc_u32 s30, s64, s39
	v_add_co_u32_e32 v0, vcc, s31, v62
	v_mov_b32_e32 v1, s30
	v_addc_co_u32_e32 v34, vcc, v1, v63, vcc
	v_lshlrev_b32_e32 v1, 2, v42
	v_add_co_u32_e32 v0, vcc, v0, v1
	v_cmp_gt_i32_e64 s[46:47], s60, v129
	v_addc_co_u32_e32 v34, vcc, 0, v34, vcc
	v_mov_b32_e32 v39, s93
	v_mov_b32_e32 v41, s92
	buffer_store_dword v237, off, s[0:3], 0
	buffer_store_dword v237, off, s[0:3], 0 offset:4
	buffer_store_dword v237, off, s[0:3], 0 offset:8
	;; [unrolled: 1-line block ×3, first 2 shown]
	v_cndmask_b32_e64 v35, v39, v34, s[46:47]
	v_cndmask_b32_e64 v34, v41, v0, s[46:47]
	flat_load_dwordx4 v[82:85], v[34:35]
	v_add_co_u32_e32 v0, vcc, s31, v64
	v_mov_b32_e32 v34, s30
	v_addc_co_u32_e32 v34, vcc, v34, v65, vcc
	v_add_co_u32_e32 v0, vcc, v0, v1
	v_cmp_gt_i32_e64 s[44:45], s60, v241
	v_addc_co_u32_e32 v34, vcc, 0, v34, vcc
	v_cndmask_b32_e64 v35, v39, v34, s[44:45]
	v_cndmask_b32_e64 v34, v41, v0, s[44:45]
	v_add_co_u32_e32 v0, vcc, s31, v66
	v_cmp_gt_i32_e64 s[48:49], s60, v243
	v_cmp_gt_i32_e64 s[50:51], s60, v245
	;; [unrolled: 1-line block ×6, first 2 shown]
	s_waitcnt vmcnt(0) lgkmcnt(0)
	ds_write_b128 v130, v[82:85]
	flat_load_dwordx4 v[82:85], v[34:35]
	v_mov_b32_e32 v34, s30
	v_addc_co_u32_e32 v34, vcc, v34, v67, vcc
	v_add_co_u32_e32 v0, vcc, v0, v1
	v_addc_co_u32_e32 v34, vcc, 0, v34, vcc
	v_cndmask_b32_e64 v35, v39, v34, s[48:49]
	v_cndmask_b32_e64 v34, v41, v0, s[48:49]
	v_add_co_u32_e32 v0, vcc, s31, v68
	s_waitcnt vmcnt(0) lgkmcnt(0)
	ds_write_b128 v242, v[82:85]
	flat_load_dwordx4 v[82:85], v[34:35]
	v_mov_b32_e32 v34, s30
	v_addc_co_u32_e32 v34, vcc, v34, v69, vcc
	v_add_co_u32_e32 v0, vcc, v0, v1
	v_addc_co_u32_e32 v34, vcc, 0, v34, vcc
	v_cndmask_b32_e64 v35, v39, v34, s[50:51]
	v_cndmask_b32_e64 v34, v41, v0, s[50:51]
	v_add_co_u32_e32 v0, vcc, s31, v70
	;; [unrolled: 10-line block ×5, first 2 shown]
	s_waitcnt vmcnt(0) lgkmcnt(0)
	ds_write_b128 v250, v[82:85]
	flat_load_dwordx4 v[82:85], v[34:35]
	v_mov_b32_e32 v34, s30
	v_addc_co_u32_e32 v34, vcc, v34, v77, vcc
	v_add_co_u32_e32 v0, vcc, v0, v1
	v_addc_co_u32_e32 v34, vcc, 0, v34, vcc
	v_cndmask_b32_e64 v35, v39, v34, s[38:39]
	v_cndmask_b32_e64 v34, v41, v0, s[38:39]
	s_andn2_b64 vcc, exec, s[56:57]
	s_waitcnt vmcnt(0) lgkmcnt(0)
	ds_write_b128 v252, v[82:85]
	flat_load_dwordx4 v[82:85], v[34:35]
	s_waitcnt vmcnt(0) lgkmcnt(0)
	ds_write_b128 v201, v[82:85]
	s_waitcnt lgkmcnt(0)
	s_barrier
	ds_read2_b64 v[82:85], v131 offset1:4
	s_waitcnt lgkmcnt(0)
	v_mfma_f32_16x16x16f16 a[0:3], v[82:83], v[30:31], 0
	v_mfma_f32_16x16x16f16 a[0:3], v[84:85], v[32:33], a[0:3]
	ds_read2_b64 v[30:33], v131 offset0:8 offset1:12
	s_waitcnt lgkmcnt(0)
	v_mfma_f32_16x16x16f16 a[0:3], v[30:31], v[26:27], a[0:3]
	v_mfma_f32_16x16x16f16 a[0:3], v[32:33], v[28:29], a[0:3]
	ds_read2_b64 v[26:29], v131 offset0:16 offset1:20
	;; [unrolled: 4-line block ×7, first 2 shown]
	s_waitcnt lgkmcnt(0)
	s_barrier
	v_mfma_f32_16x16x16f16 a[0:3], v[6:7], v[2:3], a[0:3]
	v_mfma_f32_16x16x16f16 a[0:3], v[8:9], v[4:5], a[0:3]
	s_cbranch_vccnz .LBB29_184
; %bb.183:                              ;   in Loop: Header=BB29_16 Depth=1
	v_add_u32_e32 v0, 0x8400, v133
	ds_read2_b32 v[6:7], v0 offset1:1
	s_nop 7
	v_accvgpr_read_b32 v5, a3
	v_accvgpr_read_b32 v4, a2
	;; [unrolled: 1-line block ×4, first 2 shown]
	s_waitcnt lgkmcnt(0)
	v_cvt_f32_f16_e32 v8, v6
	v_cvt_f32_f16_e32 v10, v7
	v_cvt_f32_f16_sdwa v11, v7 dst_sel:DWORD dst_unused:UNUSED_PAD src0_sel:WORD_1
	v_cvt_f32_f16_sdwa v9, v6 dst_sel:DWORD dst_unused:UNUSED_PAD src0_sel:WORD_1
	v_pk_fma_f32 v[4:5], v[80:81], v[10:11], v[4:5] op_sel_hi:[0,1,1]
	v_pk_fma_f32 v[2:3], v[80:81], v[8:9], v[2:3] op_sel_hi:[0,1,1]
	v_accvgpr_write_b32 a0, v2
	v_accvgpr_write_b32 a1, v3
	;; [unrolled: 1-line block ×4, first 2 shown]
.LBB29_184:                             ;   in Loop: Header=BB29_16 Depth=1
	s_nop 7
	s_nop 1
	v_accvgpr_read_b32 v7, a3
	v_accvgpr_read_b32 v4, a0
	v_add_f32_e32 v0, 0x40051340, v4
	v_max_f32_e32 v2, v36, v36
	v_cmp_gt_u32_e32 vcc, s60, v132
	v_max_f32_e32 v0, v2, v0
	v_accvgpr_read_b32 v5, a1
	v_cndmask_b32_e32 v0, v36, v0, vcc
	v_add_f32_e32 v2, 0x40051340, v5
	v_max_f32_e32 v3, v0, v0
	v_cmp_gt_u32_e64 s[56:57], s60, v184
	v_max_f32_e32 v2, v3, v2
	v_accvgpr_read_b32 v6, a2
	v_cndmask_b32_e64 v0, v0, v2, s[56:57]
	v_add_f32_e32 v2, 0x40051340, v6
	v_max_f32_e32 v3, v0, v0
	v_cmp_gt_u32_e64 s[58:59], s60, v188
	v_max_f32_e32 v2, v3, v2
	v_cndmask_b32_e64 v0, v0, v2, s[58:59]
	v_add_f32_e32 v2, 0x40051340, v7
	v_max_f32_e32 v3, v0, v0
	v_cmp_gt_u32_e64 s[60:61], s60, v186
	v_max_f32_e32 v2, v3, v2
	v_cndmask_b32_e64 v0, v0, v2, s[60:61]
	v_and_b32_e32 v2, 64, v236
	v_add_u32_e32 v2, 64, v2
	v_xor_b32_e32 v3, 32, v236
	v_cmp_lt_i32_e64 s[62:63], v3, v2
	v_cndmask_b32_e64 v3, v236, v3, s[62:63]
	v_lshlrev_b32_e32 v39, 2, v3
	ds_bpermute_b32 v3, v39, v0
	v_max_f32_e32 v0, v0, v0
	v_cndmask_b32_e64 v6, v6, v6, s[56:57]
	v_cndmask_b32_e64 v7, v7, v7, s[56:57]
	s_mul_i32 s30, s34, s83
	s_waitcnt lgkmcnt(0)
	v_max_f32_e32 v3, v3, v3
	v_max_f32_e32 v0, v0, v3
	v_xor_b32_e32 v3, 16, v236
	v_cmp_lt_i32_e64 s[62:63], v3, v2
	v_cndmask_b32_e64 v2, v236, v3, s[62:63]
	v_lshlrev_b32_e32 v41, 2, v2
	ds_bpermute_b32 v2, v41, v0
	s_mul_hi_u32 s31, s34, s82
	s_add_i32 s31, s31, s30
	s_mul_i32 s30, s34, s82
	buffer_store_dword v237, off, s[0:3], 0
	buffer_store_dword v237, off, s[0:3], 0 offset:4
	buffer_store_dword v237, off, s[0:3], 0 offset:8
	;; [unrolled: 1-line block ×3, first 2 shown]
	s_waitcnt lgkmcnt(0)
	v_max_f32_e32 v2, v2, v2
	v_max_f32_e32 v2, v0, v2
	v_sub_f32_e32 v0, v4, v2
	v_mul_f32_e32 v3, 0x3fb8aa3b, v0
	v_fma_f32 v4, v0, s87, -v3
	v_rndne_f32_e32 v8, v3
	v_fmac_f32_e32 v4, 0x32a5705f, v0
	v_sub_f32_e32 v3, v3, v8
	v_add_f32_e32 v3, v3, v4
	v_exp_f32_e32 v3, v3
	v_cvt_i32_f32_e32 v4, v8
	v_cmp_ngt_f32_e64 s[62:63], s94, v0
	v_ldexp_f32 v3, v3, v4
	v_cndmask_b32_e64 v3, 0, v3, s[62:63]
	v_cmp_nlt_f32_e64 s[62:63], s81, v0
	v_cndmask_b32_e64 v0, v183, v3, s[62:63]
	v_sub_f32_e32 v3, v5, v2
	v_mul_f32_e32 v4, 0x3fb8aa3b, v3
	v_fma_f32 v5, v3, s87, -v4
	v_rndne_f32_e32 v8, v4
	v_fmac_f32_e32 v5, 0x32a5705f, v3
	v_sub_f32_e32 v4, v4, v8
	v_add_f32_e32 v4, v4, v5
	v_exp_f32_e32 v4, v4
	v_cvt_i32_f32_e32 v5, v8
	v_cndmask_b32_e32 v0, 0, v0, vcc
	v_cmp_ngt_f32_e32 vcc, s94, v3
	v_ldexp_f32 v4, v4, v5
	v_cndmask_b32_e32 v4, 0, v4, vcc
	v_cmp_nlt_f32_e32 vcc, s81, v3
	v_cndmask_b32_e32 v4, v183, v4, vcc
	v_mov_b32_e32 v3, s35
	v_add_f32_e32 v5, v4, v0
	v_cndmask_b32_e64 v34, v3, v4, s[56:57]
	v_sub_f32_e32 v4, v6, v2
	v_cndmask_b32_e64 v3, v0, v5, s[56:57]
	v_mul_f32_e32 v5, 0x3fb8aa3b, v4
	v_fma_f32 v6, v4, s87, -v5
	v_rndne_f32_e32 v8, v5
	v_fmac_f32_e32 v6, 0x32a5705f, v4
	v_sub_f32_e32 v5, v5, v8
	v_add_f32_e32 v5, v5, v6
	v_exp_f32_e32 v5, v5
	v_cvt_i32_f32_e32 v6, v8
	v_cmp_ngt_f32_e32 vcc, s94, v4
	v_cvt_f16_f32_e32 v0, v0
	v_cvt_f16_f32_e32 v34, v34
	v_ldexp_f32 v5, v5, v6
	v_cndmask_b32_e32 v5, 0, v5, vcc
	v_cmp_nlt_f32_e32 vcc, s81, v4
	v_cndmask_b32_e32 v5, v183, v5, vcc
	v_add_f32_e32 v6, v3, v5
	v_mov_b32_e32 v4, s35
	v_cndmask_b32_e64 v35, v4, v5, s[58:59]
	v_cndmask_b32_e64 v4, v3, v6, s[58:59]
	v_sub_f32_e32 v3, v7, v2
	v_mul_f32_e32 v5, 0x3fb8aa3b, v3
	v_fma_f32 v6, v3, s87, -v5
	v_rndne_f32_e32 v7, v5
	v_fmac_f32_e32 v6, 0x32a5705f, v3
	v_sub_f32_e32 v5, v5, v7
	v_add_f32_e32 v5, v5, v6
	v_exp_f32_e32 v5, v5
	v_cvt_i32_f32_e32 v6, v7
	v_cmp_ngt_f32_e32 vcc, s94, v3
	v_pack_b32_f16 v34, v0, v34
	v_cvt_f16_f32_e32 v0, v35
	v_ldexp_f32 v5, v5, v6
	v_cndmask_b32_e32 v5, 0, v5, vcc
	v_cmp_nlt_f32_e32 vcc, s81, v3
	v_cndmask_b32_e32 v5, v183, v5, vcc
	v_add_f32_e32 v6, v4, v5
	v_mov_b32_e32 v3, s35
	v_cndmask_b32_e64 v43, v3, v5, s[60:61]
	v_cndmask_b32_e64 v3, v4, v6, s[60:61]
	v_sub_f32_e32 v4, v36, v2
	v_mul_f32_e32 v5, 0x3fb8aa3b, v4
	v_fma_f32 v6, v4, s87, -v5
	v_rndne_f32_e32 v7, v5
	v_fmac_f32_e32 v6, 0x32a5705f, v4
	v_sub_f32_e32 v5, v5, v7
	v_add_f32_e32 v5, v5, v6
	v_exp_f32_e32 v5, v5
	v_cvt_i32_f32_e32 v6, v7
	v_cmp_ngt_f32_e32 vcc, s94, v4
	v_cvt_f16_f32_e32 v35, v43
	s_lshl_b64 s[56:57], s[30:31], 2
	v_ldexp_f32 v5, v5, v6
	v_cndmask_b32_e32 v5, 0, v5, vcc
	v_cmp_nlt_f32_e32 vcc, s81, v4
	v_cndmask_b32_e32 v5, v183, v5, vcc
	v_cmp_le_f32_e32 vcc, s95, v4
	v_cndmask_b32_e32 v4, 0, v5, vcc
	v_cvt_f16_f32_e32 v33, v4
	s_add_u32 s31, s91, s56
	s_addc_u32 s30, s98, s57
	v_fmac_f32_e32 v3, v37, v4
	v_pk_mul_f16 v37, v33, v174 op_sel_hi:[0,1]
	v_pk_mul_f16 v4, v33, v176 op_sel_hi:[0,1]
	;; [unrolled: 1-line block ×32, first 2 shown]
	v_pack_b32_f16 v35, v0, v35
	v_add_co_u32_e32 v0, vcc, s31, v46
	v_mov_b32_e32 v40, s30
	v_addc_co_u32_e32 v40, vcc, v40, v47, vcc
	v_add_co_u32_e32 v0, vcc, v0, v1
	v_addc_co_u32_e32 v40, vcc, 0, v40, vcc
	v_mov_b32_e32 v43, s93
	v_cndmask_b32_e64 v45, v43, v40, s[46:47]
	v_mov_b32_e32 v40, s92
	v_cndmask_b32_e64 v44, v40, v0, s[46:47]
	flat_load_dwordx4 v[80:83], v[44:45]
	v_add_co_u32_e32 v0, vcc, s31, v48
	v_mov_b32_e32 v44, s30
	v_addc_co_u32_e32 v44, vcc, v44, v49, vcc
	v_add_co_u32_e32 v0, vcc, v0, v1
	v_addc_co_u32_e32 v44, vcc, 0, v44, vcc
	v_cndmask_b32_e64 v45, v43, v44, s[44:45]
	v_cndmask_b32_e64 v44, v40, v0, s[44:45]
	v_add_co_u32_e32 v0, vcc, s31, v50
	s_cmp_eq_u64 s[88:89], 0
	s_waitcnt vmcnt(0) lgkmcnt(0)
	ds_write_b128 v130, v[80:83]
	flat_load_dwordx4 v[80:83], v[44:45]
	v_mov_b32_e32 v44, s30
	v_addc_co_u32_e32 v44, vcc, v44, v51, vcc
	v_add_co_u32_e32 v0, vcc, v0, v1
	v_addc_co_u32_e32 v44, vcc, 0, v44, vcc
	v_cndmask_b32_e64 v45, v43, v44, s[48:49]
	v_cndmask_b32_e64 v44, v40, v0, s[48:49]
	v_add_co_u32_e32 v0, vcc, s31, v52
	s_waitcnt vmcnt(0) lgkmcnt(0)
	ds_write_b128 v242, v[80:83]
	flat_load_dwordx4 v[80:83], v[44:45]
	v_mov_b32_e32 v44, s30
	v_addc_co_u32_e32 v44, vcc, v44, v53, vcc
	v_add_co_u32_e32 v0, vcc, v0, v1
	v_addc_co_u32_e32 v44, vcc, 0, v44, vcc
	v_cndmask_b32_e64 v45, v43, v44, s[50:51]
	v_cndmask_b32_e64 v44, v40, v0, s[50:51]
	v_add_co_u32_e32 v0, vcc, s31, v54
	;; [unrolled: 10-line block ×4, first 2 shown]
	v_readlane_b32 s42, v255, 11
	v_readlane_b32 s43, v255, 12
	s_waitcnt vmcnt(0) lgkmcnt(0)
	ds_write_b128 v248, v[80:83]
	flat_load_dwordx4 v[80:83], v[44:45]
	v_mov_b32_e32 v44, s30
	v_addc_co_u32_e32 v44, vcc, v44, v59, vcc
	v_add_co_u32_e32 v0, vcc, v0, v1
	v_addc_co_u32_e32 v44, vcc, 0, v44, vcc
	v_cndmask_b32_e64 v45, v43, v44, s[40:41]
	v_cndmask_b32_e64 v44, v40, v0, s[40:41]
	v_add_co_u32_e32 v0, vcc, s31, v60
	s_waitcnt vmcnt(0) lgkmcnt(0)
	ds_write_b128 v250, v[80:83]
	flat_load_dwordx4 v[80:83], v[44:45]
	v_mov_b32_e32 v44, s30
	v_addc_co_u32_e32 v44, vcc, v44, v61, vcc
	v_add_co_u32_e32 v0, vcc, v0, v1
	v_addc_co_u32_e32 v1, vcc, 0, v44, vcc
	v_cndmask_b32_e64 v1, v43, v1, s[38:39]
	v_cndmask_b32_e64 v0, v40, v0, s[38:39]
	s_cselect_b64 s[30:31], -1, 0
	s_xor_b64 s[38:39], s[42:43], -1
	s_or_b64 s[30:31], s[38:39], s[30:31]
	s_waitcnt vmcnt(0) lgkmcnt(0)
	ds_write_b128 v252, v[80:83]
	flat_load_dwordx4 v[80:83], v[0:1]
	s_waitcnt vmcnt(0) lgkmcnt(0)
	ds_write_b128 v201, v[80:83]
	s_waitcnt lgkmcnt(0)
	s_barrier
	ds_read_u16 v0, v135 offset:528
	ds_read_u16 v1, v135 offset:1056
	v_cvt_f32_f16_e32 v80, v37
	v_cvt_f32_f16_sdwa v81, v37 dst_sel:DWORD dst_unused:UNUSED_PAD src0_sel:WORD_1
	v_cvt_f32_f16_e32 v82, v4
	v_cvt_f32_f16_sdwa v83, v4 dst_sel:DWORD dst_unused:UNUSED_PAD src0_sel:WORD_1
	ds_read_u16 v4, v136
	ds_read_u16 v37, v136 offset:32
	v_accvgpr_write_b32 a0, v80
	v_accvgpr_write_b32 a1, v81
	;; [unrolled: 1-line block ×3, first 2 shown]
	s_waitcnt lgkmcnt(1)
	v_perm_b32 v1, v4, v1, s33
	ds_read_u16 v4, v134
	ds_read_u16 v40, v134 offset:32
	v_accvgpr_write_b32 a3, v83
	v_cvt_f32_f16_e32 v80, v6
	v_cvt_f32_f16_sdwa v81, v6 dst_sel:DWORD dst_unused:UNUSED_PAD src0_sel:WORD_1
	s_waitcnt lgkmcnt(1)
	v_perm_b32 v0, v0, v4, s33
	v_cvt_f32_f16_e32 v82, v5
	v_cvt_f32_f16_sdwa v83, v5 dst_sel:DWORD dst_unused:UNUSED_PAD src0_sel:WORD_1
	v_mfma_f32_16x16x16f16 a[0:3], v[0:1], v[34:35], a[0:3]
	s_nop 7
	s_nop 2
	v_accvgpr_read_b32 v4, a2
	v_accvgpr_read_b32 v0, a0
	;; [unrolled: 1-line block ×3, first 2 shown]
	v_cvt_f16_f32_e32 v43, v4
	v_accvgpr_read_b32 v4, a3
	v_cvt_f16_f32_e32 v0, v0
	v_cvt_f16_f32_e32 v1, v1
	;; [unrolled: 1-line block ×3, first 2 shown]
	v_accvgpr_write_b32 a0, v80
	v_accvgpr_write_b32 a1, v81
	v_pack_b32_f16 v4, v0, v1
	v_pack_b32_f16 v1, v43, v44
	ds_read_u16 v0, v199 offset:528
	ds_read_u16 v43, v199 offset:1056
	v_accvgpr_write_b32 a2, v82
	v_accvgpr_write_b32 a3, v83
	v_cvt_f32_f16_e32 v80, v8
	s_waitcnt lgkmcnt(1)
	v_perm_b32 v44, v0, v40, s33
	s_waitcnt lgkmcnt(0)
	v_perm_b32 v45, v37, v43, s33
	v_cvt_f32_f16_sdwa v81, v8 dst_sel:DWORD dst_unused:UNUSED_PAD src0_sel:WORD_1
	v_cvt_f32_f16_e32 v82, v7
	v_mfma_f32_16x16x16f16 a[0:3], v[44:45], v[34:35], a[0:3]
	v_cvt_f32_f16_sdwa v83, v7 dst_sel:DWORD dst_unused:UNUSED_PAD src0_sel:WORD_1
	s_nop 7
	s_nop 1
	v_accvgpr_read_b32 v6, a2
	v_accvgpr_read_b32 v0, a0
	v_accvgpr_read_b32 v5, a1
	v_cvt_f16_f32_e32 v37, v6
	v_accvgpr_read_b32 v6, a3
	v_cvt_f16_f32_e32 v0, v0
	v_cvt_f16_f32_e32 v5, v5
	v_cvt_f16_f32_e32 v40, v6
	v_accvgpr_write_b32 a0, v80
	v_accvgpr_write_b32 a1, v81
	v_pack_b32_f16 v6, v0, v5
	v_pack_b32_f16 v5, v37, v40
	ds_read_u16 v0, v134 offset:64
	ds_read_u16 v37, v203 offset:528
	ds_read_u16 v40, v203 offset:1056
	ds_read_u16 v43, v136 offset:64
	v_accvgpr_write_b32 a2, v82
	v_accvgpr_write_b32 a3, v83
	s_waitcnt lgkmcnt(2)
	v_perm_b32 v44, v37, v0, s33
	v_cvt_f32_f16_e32 v80, v10
	s_waitcnt lgkmcnt(0)
	v_perm_b32 v45, v43, v40, s33
	v_cvt_f32_f16_sdwa v81, v10 dst_sel:DWORD dst_unused:UNUSED_PAD src0_sel:WORD_1
	v_cvt_f32_f16_e32 v82, v9
	v_mfma_f32_16x16x16f16 a[0:3], v[44:45], v[34:35], a[0:3]
	v_cvt_f32_f16_sdwa v83, v9 dst_sel:DWORD dst_unused:UNUSED_PAD src0_sel:WORD_1
	s_nop 7
	s_nop 1
	v_accvgpr_read_b32 v8, a2
	v_accvgpr_read_b32 v0, a0
	v_accvgpr_read_b32 v7, a1
	v_cvt_f16_f32_e32 v37, v8
	v_accvgpr_read_b32 v8, a3
	v_cvt_f16_f32_e32 v0, v0
	v_cvt_f16_f32_e32 v7, v7
	v_cvt_f16_f32_e32 v40, v8
	v_accvgpr_write_b32 a0, v80
	v_accvgpr_write_b32 a1, v81
	v_pack_b32_f16 v8, v0, v7
	v_pack_b32_f16 v7, v37, v40
	ds_read_u16 v0, v134 offset:96
	ds_read_u16 v37, v196 offset:528
	ds_read_u16 v40, v196 offset:1056
	ds_read_u16 v43, v136 offset:96
	v_accvgpr_write_b32 a2, v82
	v_accvgpr_write_b32 a3, v83
	s_waitcnt lgkmcnt(2)
	v_perm_b32 v44, v37, v0, s33
	v_cvt_f32_f16_e32 v80, v12
	;; [unrolled: 29-line block ×13, first 2 shown]
	s_waitcnt lgkmcnt(0)
	v_perm_b32 v45, v43, v40, s33
	v_cvt_f32_f16_sdwa v81, v36 dst_sel:DWORD dst_unused:UNUSED_PAD src0_sel:WORD_1
	v_cvt_f32_f16_e32 v82, v33
	v_mfma_f32_16x16x16f16 a[0:3], v[44:45], v[34:35], a[0:3]
	v_cvt_f32_f16_sdwa v83, v33 dst_sel:DWORD dst_unused:UNUSED_PAD src0_sel:WORD_1
	s_nop 7
	s_nop 1
	v_accvgpr_read_b32 v32, a2
	v_accvgpr_read_b32 v0, a0
	v_accvgpr_read_b32 v31, a1
	v_cvt_f16_f32_e32 v37, v32
	v_accvgpr_read_b32 v32, a3
	v_cvt_f16_f32_e32 v0, v0
	v_cvt_f16_f32_e32 v31, v31
	;; [unrolled: 1-line block ×3, first 2 shown]
	v_accvgpr_write_b32 a0, v80
	v_accvgpr_write_b32 a1, v81
	v_pack_b32_f16 v32, v0, v31
	v_pack_b32_f16 v31, v37, v40
	ds_read_u16 v0, v134 offset:480
	ds_read_u16 v40, v189 offset:528
	;; [unrolled: 1-line block ×4, first 2 shown]
	v_accvgpr_write_b32 a2, v82
	v_accvgpr_write_b32 a3, v83
	s_waitcnt lgkmcnt(2)
	v_perm_b32 v36, v40, v0, s33
	s_waitcnt lgkmcnt(0)
	v_perm_b32 v37, v43, v37, s33
	s_barrier
	s_nop 0
	v_mfma_f32_16x16x16f16 a[0:3], v[36:37], v[34:35], a[0:3]
	s_nop 7
	s_nop 2
	v_accvgpr_read_b32 v0, a0
	v_accvgpr_read_b32 v33, a1
	v_cvt_f16_f32_e32 v0, v0
	v_cvt_f16_f32_e32 v33, v33
	v_accvgpr_read_b32 v34, a2
	v_cvt_f16_f32_e32 v35, v34
	v_accvgpr_read_b32 v34, a3
	v_cvt_f16_f32_e32 v36, v34
	v_pack_b32_f16 v34, v0, v33
	ds_bpermute_b32 v0, v39, v3
	v_pack_b32_f16 v33, v35, v36
	s_waitcnt lgkmcnt(0)
	v_add_f32_e32 v0, v3, v0
	ds_bpermute_b32 v3, v41, v0
	s_waitcnt lgkmcnt(0)
	v_add_f32_e32 v3, v0, v3
	s_and_saveexec_b64 s[38:39], s[30:31]
	s_xor_b64 s[30:31], exec, s[38:39]
	s_andn2_saveexec_b64 s[30:31], s[30:31]
	s_cbranch_execz .LBB29_186
; %bb.185:                              ;   in Loop: Header=BB29_16 Depth=1
	global_load_dword v0, v237, s[88:89]
	v_max_f32_e32 v36, v2, v2
	s_waitcnt vmcnt(0)
	v_max_f32_e32 v35, v0, v0
	v_max_f32_e32 v36, v36, v35
	v_sub_f32_e32 v2, v2, v36
	v_mul_f32_e32 v35, 0x3fb8aa3b, v2
	v_fma_f32 v37, v2, s87, -v35
	v_rndne_f32_e32 v40, v35
	v_fmac_f32_e32 v37, 0x32a5705f, v2
	v_sub_f32_e32 v35, v35, v40
	v_add_f32_e32 v35, v35, v37
	v_exp_f32_e32 v35, v35
	v_cvt_i32_f32_e32 v37, v40
	v_cmp_ngt_f32_e32 vcc, s94, v2
	v_sub_f32_e32 v0, v0, v36
	v_ldexp_f32 v35, v35, v37
	v_cndmask_b32_e32 v35, 0, v35, vcc
	v_cmp_nlt_f32_e32 vcc, s81, v2
	v_cndmask_b32_e32 v35, v183, v35, vcc
	v_cmp_le_f32_e32 vcc, s95, v2
	v_cndmask_b32_e32 v2, 0, v35, vcc
	v_cvt_f16_f32_e32 v35, v2
	v_cmp_ngt_f32_e32 vcc, s94, v0
	v_pk_mul_f16 v4, v35, v4 op_sel_hi:[0,1]
	v_pk_mul_f16 v1, v35, v1 op_sel_hi:[0,1]
	;; [unrolled: 1-line block ×32, first 2 shown]
	v_mul_f32_e32 v35, 0x3fb8aa3b, v0
	v_fma_f32 v37, v0, s87, -v35
	v_rndne_f32_e32 v40, v35
	v_fmac_f32_e32 v37, 0x32a5705f, v0
	v_sub_f32_e32 v35, v35, v40
	v_add_f32_e32 v35, v35, v37
	v_exp_f32_e32 v35, v35
	v_cvt_i32_f32_e32 v37, v40
	v_ldexp_f32 v35, v35, v37
	v_cndmask_b32_e32 v35, 0, v35, vcc
	v_cmp_nlt_f32_e32 vcc, s81, v0
	v_cndmask_b32_e32 v37, v183, v35, vcc
	v_fmac_f32_e32 v37, v3, v2
	v_pk_mov_b32 v[2:3], v[36:37], v[36:37] op_sel:[0,1]
.LBB29_186:                             ;   in Loop: Header=BB29_16 Depth=1
	s_or_b64 exec, exec, s[30:31]
	s_mov_b64 s[30:31], exec
	v_readlane_b32 s38, v255, 15
	v_readlane_b32 s39, v255, 16
	s_and_b64 s[38:39], s[30:31], s[38:39]
	s_mov_b64 exec, s[38:39]
	s_cbranch_execz .LBB29_188
; %bb.187:                              ;   in Loop: Header=BB29_16 Depth=1
	v_add_u32_e32 v0, 0, v153
	ds_write2_b32 v0, v2, v3 offset0:128 offset1:129
.LBB29_188:                             ;   in Loop: Header=BB29_16 Depth=1
	s_or_b64 exec, exec, s[30:31]
	s_waitcnt lgkmcnt(0)
	s_barrier
	s_mov_b64 s[30:31], exec
	v_readlane_b32 s38, v255, 13
	v_readlane_b32 s39, v255, 14
	s_and_b64 s[38:39], s[30:31], s[38:39]
	s_xor_b64 s[30:31], s[38:39], s[30:31]
	s_mov_b64 exec, s[38:39]
	s_cbranch_execz .LBB29_190
; %bb.189:                              ;   in Loop: Header=BB29_16 Depth=1
	s_barrier
	s_waitcnt lgkmcnt(0)
                                        ; implicit-def: $vgpr39
                                        ; implicit-def: $vgpr41
.LBB29_190:                             ;   in Loop: Header=BB29_16 Depth=1
	s_andn2_saveexec_b64 s[30:31], s[30:31]
	s_cbranch_execz .LBB29_192
; %bb.191:                              ;   in Loop: Header=BB29_16 Depth=1
	v_add_u32_e32 v0, 0, v153
	ds_read_b64 v[2:3], v0 offset:512
	s_waitcnt lgkmcnt(0)
	s_barrier
	ds_bpermute_b32 v35, v39, v2
	v_max_f32_e32 v36, v2, v2
	s_waitcnt lgkmcnt(0)
	v_max_f32_e32 v35, v35, v35
	v_max_f32_e32 v35, v36, v35
	ds_bpermute_b32 v36, v41, v35
	s_waitcnt lgkmcnt(0)
	v_max_f32_e32 v36, v36, v36
	v_max_f32_e32 v35, v35, v36
	v_sub_f32_e32 v2, v2, v35
	v_mul_f32_e32 v35, 0x3fb8aa3b, v2
	v_fma_f32 v36, v2, s87, -v35
	v_rndne_f32_e32 v37, v35
	v_fmac_f32_e32 v36, 0x32a5705f, v2
	v_sub_f32_e32 v35, v35, v37
	v_add_f32_e32 v35, v35, v36
	v_cvt_i32_f32_e32 v37, v37
	v_exp_f32_e32 v35, v35
	v_cmp_ngt_f32_e32 vcc, s94, v2
	v_ldexp_f32 v35, v35, v37
	v_cndmask_b32_e32 v35, 0, v35, vcc
	v_cmp_nlt_f32_e32 vcc, s81, v2
	v_cndmask_b32_e32 v2, v183, v35, vcc
	v_mul_f32_e32 v35, v3, v2
	ds_bpermute_b32 v35, v39, v35
	s_waitcnt lgkmcnt(0)
	v_fmac_f32_e32 v35, v3, v2
	ds_bpermute_b32 v3, v41, v35
	s_waitcnt lgkmcnt(0)
	v_add_f32_e32 v3, v35, v3
	ds_write_b64 v0, v[2:3] offset:512
.LBB29_192:                             ;   in Loop: Header=BB29_16 Depth=1
	s_or_b64 exec, exec, s[30:31]
	ds_write2_b32 v154, v4, v1 offset1:1
	ds_write2_b32 v154, v6, v5 offset0:8 offset1:9
	ds_write2_b32 v154, v8, v7 offset0:16 offset1:17
	;; [unrolled: 1-line block ×15, first 2 shown]
	s_waitcnt lgkmcnt(0)
	s_barrier
	s_and_saveexec_b64 s[30:31], s[42:43]
	s_cbranch_execz .LBB29_14
; %bb.193:                              ;   in Loop: Header=BB29_16 Depth=1
	v_add_u32_e32 v1, s65, v137
	v_readlane_b32 s40, v254, 59
	v_cmp_gt_i32_e32 vcc, s40, v1
	v_mov_b32_e32 v0, 0x47
	v_readlane_b32 s41, v254, 60
	v_readlane_b32 s42, v254, 61
	;; [unrolled: 1-line block ×3, first 2 shown]
	s_and_saveexec_b64 s[38:39], vcc
	s_cbranch_execz .LBB29_195
; %bb.194:                              ;   in Loop: Header=BB29_16 Depth=1
	v_readlane_b32 s34, v254, 63
	v_mul_lo_u32 v5, s34, v1
	v_accvgpr_read_b32 v0, a26
	v_add_u32_e32 v0, 0, v0
	v_add_u32_e32 v10, v38, v5
	ds_read2_b32 v[2:3], v0 offset0:128 offset1:129
	ds_read2st64_b32 v[6:7], v0 offset0:35 offset1:68
	ds_read_b32 v4, v0 offset:25856
	ds_read2st64_b32 v[8:9], v156 offset1:1
	ds_read2st64_b32 v[0:1], v156 offset0:33 offset1:66
	ds_read_b32 v16, v156 offset:25344
	v_ashrrev_i32_e32 v11, 31, v10
	v_lshlrev_b64 v[10:11], 3, v[10:11]
	v_readlane_b32 s34, v255, 21
	v_add_co_u32_e32 v10, vcc, s34, v10
	v_mov_b32_e32 v12, s78
	v_addc_co_u32_e32 v11, vcc, v12, v11, vcc
	s_waitcnt lgkmcnt(2)
	v_cvt_f32_f16_sdwa v13, v8 dst_sel:DWORD dst_unused:UNUSED_PAD src0_sel:WORD_1
	v_cvt_f32_f16_e32 v12, v8
	s_waitcnt lgkmcnt(1)
	v_cvt_f32_f16_sdwa v15, v0 dst_sel:DWORD dst_unused:UNUSED_PAD src0_sel:WORD_1
	v_cvt_f32_f16_e32 v14, v0
	v_mov_b32_e32 v8, v7
	v_pk_fma_f32 v[12:13], v[2:3], v[12:13], 0 op_sel_hi:[0,1,0]
	v_pk_fma_f32 v[12:13], v[6:7], v[14:15], v[12:13] op_sel_hi:[0,1,1]
	v_cvt_f32_f16_sdwa v15, v1 dst_sel:DWORD dst_unused:UNUSED_PAD src0_sel:WORD_1
	v_cvt_f32_f16_e32 v14, v1
	v_pk_fma_f32 v[0:1], v[8:9], v[14:15], v[12:13] op_sel_hi:[0,1,1]
	s_waitcnt lgkmcnt(0)
	v_cvt_f32_f16_sdwa v13, v16 dst_sel:DWORD dst_unused:UNUSED_PAD src0_sel:WORD_1
	v_cvt_f32_f16_e32 v12, v16
	v_pk_fma_f32 v[0:1], v[4:5], v[12:13], v[0:1] op_sel_hi:[0,1,1]
	v_div_scale_f32 v7, s[40:41], v3, v3, v1
	v_rcp_f32_e32 v12, v7
	v_fma_f32 v13, -v7, v12, 1.0
	v_fmac_f32_e32 v12, v13, v12
	v_div_scale_f32 v13, vcc, v1, v3, v1
	v_mul_f32_e32 v14, v13, v12
	v_fma_f32 v15, -v7, v14, v13
	v_fmac_f32_e32 v14, v15, v12
	v_fma_f32 v7, -v7, v14, v13
	v_div_fmas_f32 v7, v7, v12, v14
	v_div_fixup_f32 v1, v7, v3, v1
	v_div_scale_f32 v7, s[40:41], v3, v3, v0
	v_rcp_f32_e32 v12, v7
	v_fma_f32 v13, -v7, v12, 1.0
	v_fmac_f32_e32 v12, v13, v12
	v_div_scale_f32 v13, vcc, v0, v3, v0
	v_mul_f32_e32 v14, v13, v12
	v_fma_f32 v15, -v7, v14, v13
	v_fmac_f32_e32 v14, v15, v12
	v_fma_f32 v7, -v7, v14, v13
	v_div_fmas_f32 v7, v7, v12, v14
	v_div_fixup_f32 v0, v7, v3, v0
	global_store_dwordx2 v[10:11], v[0:1], off
	ds_read2st64_b32 v[10:11], v158 offset0:33 offset1:66
	ds_read_b32 v16, v158 offset:25344
	v_cvt_f32_f16_sdwa v13, v9 dst_sel:DWORD dst_unused:UNUSED_PAD src0_sel:WORD_1
	v_cvt_f32_f16_e32 v12, v9
	v_ashrrev_i32_e32 v1, 31, v5
	s_waitcnt lgkmcnt(1)
	v_cvt_f32_f16_sdwa v15, v10 dst_sel:DWORD dst_unused:UNUSED_PAD src0_sel:WORD_1
	v_cvt_f32_f16_e32 v14, v10
	v_pk_fma_f32 v[12:13], v[2:3], v[12:13], 0 op_sel_hi:[0,1,0]
	v_add_co_u32_e32 v0, vcc, v38, v5
	v_pk_fma_f32 v[6:7], v[6:7], v[14:15], v[12:13] op_sel_hi:[0,1,1]
	v_cvt_f32_f16_sdwa v13, v11 dst_sel:DWORD dst_unused:UNUSED_PAD src0_sel:WORD_1
	v_cvt_f32_f16_e32 v12, v11
	v_addc_co_u32_e32 v1, vcc, 0, v1, vcc
	v_lshlrev_b64 v[0:1], 3, v[0:1]
	v_pk_fma_f32 v[6:7], v[8:9], v[12:13], v[6:7] op_sel_hi:[0,1,1]
	s_waitcnt lgkmcnt(0)
	v_cvt_f32_f16_sdwa v9, v16 dst_sel:DWORD dst_unused:UNUSED_PAD src0_sel:WORD_1
	v_cvt_f32_f16_e32 v8, v16
	v_add_co_u32_e32 v0, vcc, s34, v0
	v_mov_b32_e32 v5, s78
	v_addc_co_u32_e32 v1, vcc, v5, v1, vcc
	v_pk_fma_f32 v[4:5], v[4:5], v[8:9], v[6:7] op_sel_hi:[0,1,1]
	v_div_scale_f32 v2, s[40:41], v3, v3, v5
	v_rcp_f32_e32 v6, v2
	v_fma_f32 v7, -v2, v6, 1.0
	v_fmac_f32_e32 v6, v7, v6
	v_div_scale_f32 v7, vcc, v5, v3, v5
	v_mul_f32_e32 v8, v7, v6
	v_fma_f32 v9, -v2, v8, v7
	v_fmac_f32_e32 v8, v9, v6
	v_fma_f32 v2, -v2, v8, v7
	v_div_fmas_f32 v2, v2, v6, v8
	v_div_fixup_f32 v5, v2, v3, v5
	v_div_scale_f32 v2, s[40:41], v3, v3, v4
	v_rcp_f32_e32 v6, v2
	v_fma_f32 v7, -v2, v6, 1.0
	v_fmac_f32_e32 v6, v7, v6
	v_div_scale_f32 v7, vcc, v4, v3, v4
	v_mul_f32_e32 v8, v7, v6
	v_fma_f32 v9, -v2, v8, v7
	v_fmac_f32_e32 v8, v9, v6
	v_fma_f32 v2, -v2, v8, v7
	v_div_fmas_f32 v2, v2, v6, v8
	v_div_fixup_f32 v4, v2, v3, v4
	global_store_dwordx2 v[0:1], v[4:5], off offset:512
	v_mov_b32_e32 v0, 0
.LBB29_195:                             ;   in Loop: Header=BB29_16 Depth=1
	s_or_b64 exec, exec, s[38:39]
	s_movk_i32 s34, 0x47
	v_cmp_gt_i32_e32 vcc, s34, v0
	s_mov_b64 s[38:39], -1
	s_and_saveexec_b64 s[40:41], vcc
; %bb.196:                              ;   in Loop: Header=BB29_16 Depth=1
	v_cmp_eq_u32_e32 vcc, 0, v0
	s_orn2_b64 s[38:39], vcc, exec
; %bb.197:                              ;   in Loop: Header=BB29_16 Depth=1
	s_or_b64 exec, exec, s[40:41]
	s_and_b64 exec, exec, s[38:39]
	s_cbranch_execz .LBB29_14
; %bb.198:                              ;   in Loop: Header=BB29_16 Depth=1
	v_accvgpr_read_b32 v0, a9
	v_add_u32_e32 v1, s65, v0
	v_readlane_b32 s40, v254, 59
	v_cmp_gt_i32_e32 vcc, s40, v1
	v_mov_b32_e32 v0, 0x47
	v_readlane_b32 s41, v254, 60
	v_readlane_b32 s42, v254, 61
	;; [unrolled: 1-line block ×3, first 2 shown]
	s_and_saveexec_b64 s[38:39], vcc
	s_cbranch_execz .LBB29_200
; %bb.199:                              ;   in Loop: Header=BB29_16 Depth=1
	v_readlane_b32 s34, v254, 63
	v_accvgpr_read_b32 v0, a28
	v_mul_lo_u32 v5, s34, v1
	v_add_u32_e32 v0, 0, v0
	v_accvgpr_read_b32 v10, a27
	ds_read2_b32 v[2:3], v0 offset0:128 offset1:129
	ds_read2st64_b32 v[6:7], v0 offset0:35 offset1:68
	ds_read_b32 v4, v0 offset:25856
	ds_read2st64_b32 v[8:9], v10 offset1:1
	ds_read2st64_b32 v[0:1], v10 offset0:33 offset1:66
	ds_read_b32 v16, v10 offset:25344
	v_add_u32_e32 v10, v38, v5
	v_ashrrev_i32_e32 v11, 31, v10
	v_lshlrev_b64 v[10:11], 3, v[10:11]
	v_readlane_b32 s34, v255, 21
	v_add_co_u32_e32 v10, vcc, s34, v10
	v_mov_b32_e32 v12, s78
	v_addc_co_u32_e32 v11, vcc, v12, v11, vcc
	s_waitcnt lgkmcnt(2)
	v_cvt_f32_f16_sdwa v13, v8 dst_sel:DWORD dst_unused:UNUSED_PAD src0_sel:WORD_1
	v_cvt_f32_f16_e32 v12, v8
	s_waitcnt lgkmcnt(1)
	v_cvt_f32_f16_sdwa v15, v0 dst_sel:DWORD dst_unused:UNUSED_PAD src0_sel:WORD_1
	v_cvt_f32_f16_e32 v14, v0
	v_mov_b32_e32 v8, v7
	v_pk_fma_f32 v[12:13], v[2:3], v[12:13], 0 op_sel_hi:[0,1,0]
	v_pk_fma_f32 v[12:13], v[6:7], v[14:15], v[12:13] op_sel_hi:[0,1,1]
	v_cvt_f32_f16_sdwa v15, v1 dst_sel:DWORD dst_unused:UNUSED_PAD src0_sel:WORD_1
	v_cvt_f32_f16_e32 v14, v1
	v_pk_fma_f32 v[0:1], v[8:9], v[14:15], v[12:13] op_sel_hi:[0,1,1]
	s_waitcnt lgkmcnt(0)
	v_cvt_f32_f16_sdwa v13, v16 dst_sel:DWORD dst_unused:UNUSED_PAD src0_sel:WORD_1
	v_cvt_f32_f16_e32 v12, v16
	v_pk_fma_f32 v[0:1], v[4:5], v[12:13], v[0:1] op_sel_hi:[0,1,1]
	v_div_scale_f32 v7, s[40:41], v3, v3, v1
	v_rcp_f32_e32 v12, v7
	v_fma_f32 v13, -v7, v12, 1.0
	v_fmac_f32_e32 v12, v13, v12
	v_div_scale_f32 v13, vcc, v1, v3, v1
	v_mul_f32_e32 v14, v13, v12
	v_fma_f32 v15, -v7, v14, v13
	v_fmac_f32_e32 v14, v15, v12
	v_fma_f32 v7, -v7, v14, v13
	v_div_fmas_f32 v7, v7, v12, v14
	v_div_fixup_f32 v1, v7, v3, v1
	v_div_scale_f32 v7, s[40:41], v3, v3, v0
	v_rcp_f32_e32 v12, v7
	v_fma_f32 v13, -v7, v12, 1.0
	v_fmac_f32_e32 v12, v13, v12
	v_div_scale_f32 v13, vcc, v0, v3, v0
	v_mul_f32_e32 v14, v13, v12
	v_fma_f32 v15, -v7, v14, v13
	v_fmac_f32_e32 v14, v15, v12
	v_fma_f32 v7, -v7, v14, v13
	v_div_fmas_f32 v7, v7, v12, v14
	v_div_fixup_f32 v0, v7, v3, v0
	global_store_dwordx2 v[10:11], v[0:1], off
	v_accvgpr_read_b32 v0, a29
	ds_read2st64_b32 v[10:11], v0 offset0:33 offset1:66
	ds_read_b32 v16, v0 offset:25344
	v_cvt_f32_f16_sdwa v13, v9 dst_sel:DWORD dst_unused:UNUSED_PAD src0_sel:WORD_1
	v_cvt_f32_f16_e32 v12, v9
	v_ashrrev_i32_e32 v1, 31, v5
	s_waitcnt lgkmcnt(1)
	v_cvt_f32_f16_sdwa v15, v10 dst_sel:DWORD dst_unused:UNUSED_PAD src0_sel:WORD_1
	v_cvt_f32_f16_e32 v14, v10
	v_pk_fma_f32 v[12:13], v[2:3], v[12:13], 0 op_sel_hi:[0,1,0]
	v_add_co_u32_e32 v0, vcc, v38, v5
	v_pk_fma_f32 v[6:7], v[6:7], v[14:15], v[12:13] op_sel_hi:[0,1,1]
	v_cvt_f32_f16_sdwa v13, v11 dst_sel:DWORD dst_unused:UNUSED_PAD src0_sel:WORD_1
	v_cvt_f32_f16_e32 v12, v11
	v_addc_co_u32_e32 v1, vcc, 0, v1, vcc
	v_lshlrev_b64 v[0:1], 3, v[0:1]
	v_pk_fma_f32 v[6:7], v[8:9], v[12:13], v[6:7] op_sel_hi:[0,1,1]
	s_waitcnt lgkmcnt(0)
	v_cvt_f32_f16_sdwa v9, v16 dst_sel:DWORD dst_unused:UNUSED_PAD src0_sel:WORD_1
	v_cvt_f32_f16_e32 v8, v16
	v_add_co_u32_e32 v0, vcc, s34, v0
	v_mov_b32_e32 v5, s78
	v_addc_co_u32_e32 v1, vcc, v5, v1, vcc
	v_pk_fma_f32 v[4:5], v[4:5], v[8:9], v[6:7] op_sel_hi:[0,1,1]
	v_div_scale_f32 v2, s[40:41], v3, v3, v5
	v_rcp_f32_e32 v6, v2
	v_fma_f32 v7, -v2, v6, 1.0
	v_fmac_f32_e32 v6, v7, v6
	v_div_scale_f32 v7, vcc, v5, v3, v5
	v_mul_f32_e32 v8, v7, v6
	v_fma_f32 v9, -v2, v8, v7
	v_fmac_f32_e32 v8, v9, v6
	v_fma_f32 v2, -v2, v8, v7
	v_div_fmas_f32 v2, v2, v6, v8
	v_div_fixup_f32 v5, v2, v3, v5
	v_div_scale_f32 v2, s[40:41], v3, v3, v4
	v_rcp_f32_e32 v6, v2
	v_fma_f32 v7, -v2, v6, 1.0
	v_fmac_f32_e32 v6, v7, v6
	v_div_scale_f32 v7, vcc, v4, v3, v4
	v_mul_f32_e32 v8, v7, v6
	v_fma_f32 v9, -v2, v8, v7
	v_fmac_f32_e32 v8, v9, v6
	v_fma_f32 v2, -v2, v8, v7
	v_div_fmas_f32 v2, v2, v6, v8
	v_div_fixup_f32 v4, v2, v3, v4
	global_store_dwordx2 v[0:1], v[4:5], off offset:512
	v_mov_b32_e32 v0, 0
.LBB29_200:                             ;   in Loop: Header=BB29_16 Depth=1
	s_or_b64 exec, exec, s[38:39]
	s_movk_i32 s34, 0x47
	v_cmp_gt_i32_e32 vcc, s34, v0
	s_mov_b64 s[38:39], -1
	s_and_saveexec_b64 s[40:41], vcc
; %bb.201:                              ;   in Loop: Header=BB29_16 Depth=1
	v_cmp_eq_u32_e32 vcc, 0, v0
	s_orn2_b64 s[38:39], vcc, exec
; %bb.202:                              ;   in Loop: Header=BB29_16 Depth=1
	s_or_b64 exec, exec, s[40:41]
	s_and_b64 exec, exec, s[38:39]
	s_cbranch_execz .LBB29_14
; %bb.203:                              ;   in Loop: Header=BB29_16 Depth=1
	v_accvgpr_read_b32 v0, a12
	v_add_u32_e32 v1, s65, v0
	v_readlane_b32 s40, v254, 59
	v_cmp_gt_i32_e32 vcc, s40, v1
	v_mov_b32_e32 v0, 0x47
	v_readlane_b32 s41, v254, 60
	v_readlane_b32 s42, v254, 61
	;; [unrolled: 1-line block ×3, first 2 shown]
	s_and_saveexec_b64 s[38:39], vcc
	s_cbranch_execz .LBB29_205
; %bb.204:                              ;   in Loop: Header=BB29_16 Depth=1
	v_readlane_b32 s34, v254, 63
	v_accvgpr_read_b32 v0, a31
	v_mul_lo_u32 v5, s34, v1
	v_add_u32_e32 v0, 0, v0
	v_accvgpr_read_b32 v10, a30
	ds_read2_b32 v[2:3], v0 offset0:128 offset1:129
	ds_read2st64_b32 v[6:7], v0 offset0:35 offset1:68
	ds_read_b32 v4, v0 offset:25856
	ds_read2st64_b32 v[8:9], v10 offset1:1
	ds_read2st64_b32 v[0:1], v10 offset0:33 offset1:66
	ds_read_b32 v16, v10 offset:25344
	v_add_u32_e32 v10, v38, v5
	v_ashrrev_i32_e32 v11, 31, v10
	v_lshlrev_b64 v[10:11], 3, v[10:11]
	v_readlane_b32 s34, v255, 21
	v_add_co_u32_e32 v10, vcc, s34, v10
	v_mov_b32_e32 v12, s78
	v_addc_co_u32_e32 v11, vcc, v12, v11, vcc
	s_waitcnt lgkmcnt(2)
	v_cvt_f32_f16_sdwa v13, v8 dst_sel:DWORD dst_unused:UNUSED_PAD src0_sel:WORD_1
	v_cvt_f32_f16_e32 v12, v8
	s_waitcnt lgkmcnt(1)
	v_cvt_f32_f16_sdwa v15, v0 dst_sel:DWORD dst_unused:UNUSED_PAD src0_sel:WORD_1
	v_cvt_f32_f16_e32 v14, v0
	v_mov_b32_e32 v8, v7
	v_pk_fma_f32 v[12:13], v[2:3], v[12:13], 0 op_sel_hi:[0,1,0]
	v_pk_fma_f32 v[12:13], v[6:7], v[14:15], v[12:13] op_sel_hi:[0,1,1]
	v_cvt_f32_f16_sdwa v15, v1 dst_sel:DWORD dst_unused:UNUSED_PAD src0_sel:WORD_1
	v_cvt_f32_f16_e32 v14, v1
	v_pk_fma_f32 v[0:1], v[8:9], v[14:15], v[12:13] op_sel_hi:[0,1,1]
	s_waitcnt lgkmcnt(0)
	v_cvt_f32_f16_sdwa v13, v16 dst_sel:DWORD dst_unused:UNUSED_PAD src0_sel:WORD_1
	v_cvt_f32_f16_e32 v12, v16
	v_pk_fma_f32 v[0:1], v[4:5], v[12:13], v[0:1] op_sel_hi:[0,1,1]
	v_div_scale_f32 v7, s[40:41], v3, v3, v1
	v_rcp_f32_e32 v12, v7
	v_fma_f32 v13, -v7, v12, 1.0
	v_fmac_f32_e32 v12, v13, v12
	v_div_scale_f32 v13, vcc, v1, v3, v1
	v_mul_f32_e32 v14, v13, v12
	v_fma_f32 v15, -v7, v14, v13
	v_fmac_f32_e32 v14, v15, v12
	v_fma_f32 v7, -v7, v14, v13
	v_div_fmas_f32 v7, v7, v12, v14
	v_div_fixup_f32 v1, v7, v3, v1
	v_div_scale_f32 v7, s[40:41], v3, v3, v0
	v_rcp_f32_e32 v12, v7
	v_fma_f32 v13, -v7, v12, 1.0
	v_fmac_f32_e32 v12, v13, v12
	v_div_scale_f32 v13, vcc, v0, v3, v0
	v_mul_f32_e32 v14, v13, v12
	v_fma_f32 v15, -v7, v14, v13
	v_fmac_f32_e32 v14, v15, v12
	v_fma_f32 v7, -v7, v14, v13
	v_div_fmas_f32 v7, v7, v12, v14
	v_div_fixup_f32 v0, v7, v3, v0
	global_store_dwordx2 v[10:11], v[0:1], off
	v_accvgpr_read_b32 v0, a32
	ds_read2st64_b32 v[10:11], v0 offset0:33 offset1:66
	ds_read_b32 v16, v0 offset:25344
	v_cvt_f32_f16_sdwa v13, v9 dst_sel:DWORD dst_unused:UNUSED_PAD src0_sel:WORD_1
	v_cvt_f32_f16_e32 v12, v9
	v_ashrrev_i32_e32 v1, 31, v5
	s_waitcnt lgkmcnt(1)
	v_cvt_f32_f16_sdwa v15, v10 dst_sel:DWORD dst_unused:UNUSED_PAD src0_sel:WORD_1
	v_cvt_f32_f16_e32 v14, v10
	v_pk_fma_f32 v[12:13], v[2:3], v[12:13], 0 op_sel_hi:[0,1,0]
	v_add_co_u32_e32 v0, vcc, v38, v5
	v_pk_fma_f32 v[6:7], v[6:7], v[14:15], v[12:13] op_sel_hi:[0,1,1]
	v_cvt_f32_f16_sdwa v13, v11 dst_sel:DWORD dst_unused:UNUSED_PAD src0_sel:WORD_1
	v_cvt_f32_f16_e32 v12, v11
	v_addc_co_u32_e32 v1, vcc, 0, v1, vcc
	v_lshlrev_b64 v[0:1], 3, v[0:1]
	v_pk_fma_f32 v[6:7], v[8:9], v[12:13], v[6:7] op_sel_hi:[0,1,1]
	s_waitcnt lgkmcnt(0)
	v_cvt_f32_f16_sdwa v9, v16 dst_sel:DWORD dst_unused:UNUSED_PAD src0_sel:WORD_1
	v_cvt_f32_f16_e32 v8, v16
	v_add_co_u32_e32 v0, vcc, s34, v0
	v_mov_b32_e32 v5, s78
	v_addc_co_u32_e32 v1, vcc, v5, v1, vcc
	v_pk_fma_f32 v[4:5], v[4:5], v[8:9], v[6:7] op_sel_hi:[0,1,1]
	v_div_scale_f32 v2, s[40:41], v3, v3, v5
	v_rcp_f32_e32 v6, v2
	v_fma_f32 v7, -v2, v6, 1.0
	v_fmac_f32_e32 v6, v7, v6
	v_div_scale_f32 v7, vcc, v5, v3, v5
	v_mul_f32_e32 v8, v7, v6
	v_fma_f32 v9, -v2, v8, v7
	v_fmac_f32_e32 v8, v9, v6
	v_fma_f32 v2, -v2, v8, v7
	v_div_fmas_f32 v2, v2, v6, v8
	v_div_fixup_f32 v5, v2, v3, v5
	v_div_scale_f32 v2, s[40:41], v3, v3, v4
	v_rcp_f32_e32 v6, v2
	v_fma_f32 v7, -v2, v6, 1.0
	v_fmac_f32_e32 v6, v7, v6
	v_div_scale_f32 v7, vcc, v4, v3, v4
	v_mul_f32_e32 v8, v7, v6
	v_fma_f32 v9, -v2, v8, v7
	v_fmac_f32_e32 v8, v9, v6
	v_fma_f32 v2, -v2, v8, v7
	v_div_fmas_f32 v2, v2, v6, v8
	v_div_fixup_f32 v4, v2, v3, v4
	global_store_dwordx2 v[0:1], v[4:5], off offset:512
	v_mov_b32_e32 v0, 0
.LBB29_205:                             ;   in Loop: Header=BB29_16 Depth=1
	s_or_b64 exec, exec, s[38:39]
	s_movk_i32 s34, 0x47
	v_cmp_gt_i32_e32 vcc, s34, v0
	s_mov_b64 s[38:39], -1
	s_and_saveexec_b64 s[40:41], vcc
; %bb.206:                              ;   in Loop: Header=BB29_16 Depth=1
	v_cmp_eq_u32_e32 vcc, 0, v0
	s_orn2_b64 s[38:39], vcc, exec
; %bb.207:                              ;   in Loop: Header=BB29_16 Depth=1
	s_or_b64 exec, exec, s[40:41]
	s_and_b64 exec, exec, s[38:39]
	s_cbranch_execz .LBB29_14
; %bb.208:                              ;   in Loop: Header=BB29_16 Depth=1
	v_accvgpr_read_b32 v0, a13
	v_add_u32_e32 v1, s65, v0
	v_readlane_b32 s40, v254, 59
	v_cmp_gt_i32_e32 vcc, s40, v1
	v_mov_b32_e32 v0, 0x47
	v_readlane_b32 s41, v254, 60
	v_readlane_b32 s42, v254, 61
	;; [unrolled: 1-line block ×3, first 2 shown]
	s_and_saveexec_b64 s[38:39], vcc
	s_cbranch_execz .LBB29_210
; %bb.209:                              ;   in Loop: Header=BB29_16 Depth=1
	v_readlane_b32 s34, v254, 63
	v_accvgpr_read_b32 v0, a34
	v_mul_lo_u32 v5, s34, v1
	v_add_u32_e32 v0, 0, v0
	v_accvgpr_read_b32 v10, a33
	ds_read2_b32 v[2:3], v0 offset0:128 offset1:129
	ds_read2st64_b32 v[6:7], v0 offset0:35 offset1:68
	ds_read_b32 v4, v0 offset:25856
	ds_read2st64_b32 v[8:9], v10 offset1:1
	ds_read2st64_b32 v[0:1], v10 offset0:33 offset1:66
	ds_read_b32 v16, v10 offset:25344
	v_add_u32_e32 v10, v38, v5
	v_ashrrev_i32_e32 v11, 31, v10
	v_lshlrev_b64 v[10:11], 3, v[10:11]
	v_readlane_b32 s34, v255, 21
	v_add_co_u32_e32 v10, vcc, s34, v10
	v_mov_b32_e32 v12, s78
	v_addc_co_u32_e32 v11, vcc, v12, v11, vcc
	s_waitcnt lgkmcnt(2)
	v_cvt_f32_f16_sdwa v13, v8 dst_sel:DWORD dst_unused:UNUSED_PAD src0_sel:WORD_1
	v_cvt_f32_f16_e32 v12, v8
	s_waitcnt lgkmcnt(1)
	v_cvt_f32_f16_sdwa v15, v0 dst_sel:DWORD dst_unused:UNUSED_PAD src0_sel:WORD_1
	v_cvt_f32_f16_e32 v14, v0
	v_mov_b32_e32 v8, v7
	v_pk_fma_f32 v[12:13], v[2:3], v[12:13], 0 op_sel_hi:[0,1,0]
	v_pk_fma_f32 v[12:13], v[6:7], v[14:15], v[12:13] op_sel_hi:[0,1,1]
	v_cvt_f32_f16_sdwa v15, v1 dst_sel:DWORD dst_unused:UNUSED_PAD src0_sel:WORD_1
	v_cvt_f32_f16_e32 v14, v1
	v_pk_fma_f32 v[0:1], v[8:9], v[14:15], v[12:13] op_sel_hi:[0,1,1]
	s_waitcnt lgkmcnt(0)
	v_cvt_f32_f16_sdwa v13, v16 dst_sel:DWORD dst_unused:UNUSED_PAD src0_sel:WORD_1
	v_cvt_f32_f16_e32 v12, v16
	v_pk_fma_f32 v[0:1], v[4:5], v[12:13], v[0:1] op_sel_hi:[0,1,1]
	v_div_scale_f32 v7, s[40:41], v3, v3, v1
	v_rcp_f32_e32 v12, v7
	v_fma_f32 v13, -v7, v12, 1.0
	v_fmac_f32_e32 v12, v13, v12
	v_div_scale_f32 v13, vcc, v1, v3, v1
	v_mul_f32_e32 v14, v13, v12
	v_fma_f32 v15, -v7, v14, v13
	v_fmac_f32_e32 v14, v15, v12
	v_fma_f32 v7, -v7, v14, v13
	v_div_fmas_f32 v7, v7, v12, v14
	v_div_fixup_f32 v1, v7, v3, v1
	v_div_scale_f32 v7, s[40:41], v3, v3, v0
	v_rcp_f32_e32 v12, v7
	v_fma_f32 v13, -v7, v12, 1.0
	v_fmac_f32_e32 v12, v13, v12
	v_div_scale_f32 v13, vcc, v0, v3, v0
	v_mul_f32_e32 v14, v13, v12
	v_fma_f32 v15, -v7, v14, v13
	v_fmac_f32_e32 v14, v15, v12
	v_fma_f32 v7, -v7, v14, v13
	v_div_fmas_f32 v7, v7, v12, v14
	v_div_fixup_f32 v0, v7, v3, v0
	global_store_dwordx2 v[10:11], v[0:1], off
	v_accvgpr_read_b32 v0, a35
	ds_read2st64_b32 v[10:11], v0 offset0:33 offset1:66
	ds_read_b32 v16, v0 offset:25344
	v_cvt_f32_f16_sdwa v13, v9 dst_sel:DWORD dst_unused:UNUSED_PAD src0_sel:WORD_1
	v_cvt_f32_f16_e32 v12, v9
	v_ashrrev_i32_e32 v1, 31, v5
	s_waitcnt lgkmcnt(1)
	v_cvt_f32_f16_sdwa v15, v10 dst_sel:DWORD dst_unused:UNUSED_PAD src0_sel:WORD_1
	v_cvt_f32_f16_e32 v14, v10
	v_pk_fma_f32 v[12:13], v[2:3], v[12:13], 0 op_sel_hi:[0,1,0]
	v_add_co_u32_e32 v0, vcc, v38, v5
	v_pk_fma_f32 v[6:7], v[6:7], v[14:15], v[12:13] op_sel_hi:[0,1,1]
	v_cvt_f32_f16_sdwa v13, v11 dst_sel:DWORD dst_unused:UNUSED_PAD src0_sel:WORD_1
	v_cvt_f32_f16_e32 v12, v11
	v_addc_co_u32_e32 v1, vcc, 0, v1, vcc
	v_lshlrev_b64 v[0:1], 3, v[0:1]
	v_pk_fma_f32 v[6:7], v[8:9], v[12:13], v[6:7] op_sel_hi:[0,1,1]
	s_waitcnt lgkmcnt(0)
	v_cvt_f32_f16_sdwa v9, v16 dst_sel:DWORD dst_unused:UNUSED_PAD src0_sel:WORD_1
	v_cvt_f32_f16_e32 v8, v16
	v_add_co_u32_e32 v0, vcc, s34, v0
	v_mov_b32_e32 v5, s78
	v_addc_co_u32_e32 v1, vcc, v5, v1, vcc
	v_pk_fma_f32 v[4:5], v[4:5], v[8:9], v[6:7] op_sel_hi:[0,1,1]
	v_div_scale_f32 v2, s[40:41], v3, v3, v5
	v_rcp_f32_e32 v6, v2
	v_fma_f32 v7, -v2, v6, 1.0
	v_fmac_f32_e32 v6, v7, v6
	v_div_scale_f32 v7, vcc, v5, v3, v5
	v_mul_f32_e32 v8, v7, v6
	v_fma_f32 v9, -v2, v8, v7
	v_fmac_f32_e32 v8, v9, v6
	v_fma_f32 v2, -v2, v8, v7
	v_div_fmas_f32 v2, v2, v6, v8
	v_div_fixup_f32 v5, v2, v3, v5
	v_div_scale_f32 v2, s[40:41], v3, v3, v4
	v_rcp_f32_e32 v6, v2
	v_fma_f32 v7, -v2, v6, 1.0
	v_fmac_f32_e32 v6, v7, v6
	v_div_scale_f32 v7, vcc, v4, v3, v4
	v_mul_f32_e32 v8, v7, v6
	v_fma_f32 v9, -v2, v8, v7
	v_fmac_f32_e32 v8, v9, v6
	v_fma_f32 v2, -v2, v8, v7
	v_div_fmas_f32 v2, v2, v6, v8
	v_div_fixup_f32 v4, v2, v3, v4
	global_store_dwordx2 v[0:1], v[4:5], off offset:512
	v_mov_b32_e32 v0, 0
.LBB29_210:                             ;   in Loop: Header=BB29_16 Depth=1
	s_or_b64 exec, exec, s[38:39]
	s_movk_i32 s34, 0x47
	v_cmp_gt_i32_e32 vcc, s34, v0
	s_mov_b64 s[38:39], -1
	s_and_saveexec_b64 s[40:41], vcc
; %bb.211:                              ;   in Loop: Header=BB29_16 Depth=1
	v_cmp_eq_u32_e32 vcc, 0, v0
	s_orn2_b64 s[38:39], vcc, exec
; %bb.212:                              ;   in Loop: Header=BB29_16 Depth=1
	s_or_b64 exec, exec, s[40:41]
	s_and_b64 exec, exec, s[38:39]
	s_cbranch_execz .LBB29_14
; %bb.213:                              ;   in Loop: Header=BB29_16 Depth=1
	v_accvgpr_read_b32 v0, a14
	v_add_u32_e32 v1, s65, v0
	v_readlane_b32 s40, v254, 59
	v_cmp_gt_i32_e32 vcc, s40, v1
	v_mov_b32_e32 v0, 0x47
	v_readlane_b32 s41, v254, 60
	v_readlane_b32 s42, v254, 61
	;; [unrolled: 1-line block ×3, first 2 shown]
	s_and_saveexec_b64 s[38:39], vcc
	s_cbranch_execz .LBB29_215
; %bb.214:                              ;   in Loop: Header=BB29_16 Depth=1
	v_readlane_b32 s34, v254, 63
	v_accvgpr_read_b32 v0, a37
	v_mul_lo_u32 v5, s34, v1
	v_add_u32_e32 v0, 0, v0
	v_accvgpr_read_b32 v10, a36
	ds_read2_b32 v[2:3], v0 offset0:128 offset1:129
	ds_read2st64_b32 v[6:7], v0 offset0:35 offset1:68
	ds_read_b32 v4, v0 offset:25856
	ds_read2st64_b32 v[8:9], v10 offset1:1
	ds_read2st64_b32 v[0:1], v10 offset0:33 offset1:66
	ds_read_b32 v16, v10 offset:25344
	v_add_u32_e32 v10, v38, v5
	v_ashrrev_i32_e32 v11, 31, v10
	v_lshlrev_b64 v[10:11], 3, v[10:11]
	v_readlane_b32 s34, v255, 21
	v_add_co_u32_e32 v10, vcc, s34, v10
	v_mov_b32_e32 v12, s78
	v_addc_co_u32_e32 v11, vcc, v12, v11, vcc
	s_waitcnt lgkmcnt(2)
	v_cvt_f32_f16_sdwa v13, v8 dst_sel:DWORD dst_unused:UNUSED_PAD src0_sel:WORD_1
	v_cvt_f32_f16_e32 v12, v8
	s_waitcnt lgkmcnt(1)
	v_cvt_f32_f16_sdwa v15, v0 dst_sel:DWORD dst_unused:UNUSED_PAD src0_sel:WORD_1
	v_cvt_f32_f16_e32 v14, v0
	v_mov_b32_e32 v8, v7
	v_pk_fma_f32 v[12:13], v[2:3], v[12:13], 0 op_sel_hi:[0,1,0]
	v_pk_fma_f32 v[12:13], v[6:7], v[14:15], v[12:13] op_sel_hi:[0,1,1]
	v_cvt_f32_f16_sdwa v15, v1 dst_sel:DWORD dst_unused:UNUSED_PAD src0_sel:WORD_1
	v_cvt_f32_f16_e32 v14, v1
	v_pk_fma_f32 v[0:1], v[8:9], v[14:15], v[12:13] op_sel_hi:[0,1,1]
	s_waitcnt lgkmcnt(0)
	v_cvt_f32_f16_sdwa v13, v16 dst_sel:DWORD dst_unused:UNUSED_PAD src0_sel:WORD_1
	v_cvt_f32_f16_e32 v12, v16
	v_pk_fma_f32 v[0:1], v[4:5], v[12:13], v[0:1] op_sel_hi:[0,1,1]
	v_div_scale_f32 v7, s[40:41], v3, v3, v1
	v_rcp_f32_e32 v12, v7
	v_fma_f32 v13, -v7, v12, 1.0
	v_fmac_f32_e32 v12, v13, v12
	v_div_scale_f32 v13, vcc, v1, v3, v1
	v_mul_f32_e32 v14, v13, v12
	v_fma_f32 v15, -v7, v14, v13
	v_fmac_f32_e32 v14, v15, v12
	v_fma_f32 v7, -v7, v14, v13
	v_div_fmas_f32 v7, v7, v12, v14
	v_div_fixup_f32 v1, v7, v3, v1
	v_div_scale_f32 v7, s[40:41], v3, v3, v0
	v_rcp_f32_e32 v12, v7
	v_fma_f32 v13, -v7, v12, 1.0
	v_fmac_f32_e32 v12, v13, v12
	v_div_scale_f32 v13, vcc, v0, v3, v0
	v_mul_f32_e32 v14, v13, v12
	v_fma_f32 v15, -v7, v14, v13
	v_fmac_f32_e32 v14, v15, v12
	v_fma_f32 v7, -v7, v14, v13
	v_div_fmas_f32 v7, v7, v12, v14
	v_div_fixup_f32 v0, v7, v3, v0
	global_store_dwordx2 v[10:11], v[0:1], off
	v_accvgpr_read_b32 v0, a38
	ds_read2st64_b32 v[10:11], v0 offset0:33 offset1:66
	ds_read_b32 v16, v0 offset:25344
	v_cvt_f32_f16_sdwa v13, v9 dst_sel:DWORD dst_unused:UNUSED_PAD src0_sel:WORD_1
	v_cvt_f32_f16_e32 v12, v9
	v_ashrrev_i32_e32 v1, 31, v5
	s_waitcnt lgkmcnt(1)
	v_cvt_f32_f16_sdwa v15, v10 dst_sel:DWORD dst_unused:UNUSED_PAD src0_sel:WORD_1
	v_cvt_f32_f16_e32 v14, v10
	v_pk_fma_f32 v[12:13], v[2:3], v[12:13], 0 op_sel_hi:[0,1,0]
	v_add_co_u32_e32 v0, vcc, v38, v5
	v_pk_fma_f32 v[6:7], v[6:7], v[14:15], v[12:13] op_sel_hi:[0,1,1]
	v_cvt_f32_f16_sdwa v13, v11 dst_sel:DWORD dst_unused:UNUSED_PAD src0_sel:WORD_1
	v_cvt_f32_f16_e32 v12, v11
	v_addc_co_u32_e32 v1, vcc, 0, v1, vcc
	v_lshlrev_b64 v[0:1], 3, v[0:1]
	v_pk_fma_f32 v[6:7], v[8:9], v[12:13], v[6:7] op_sel_hi:[0,1,1]
	s_waitcnt lgkmcnt(0)
	v_cvt_f32_f16_sdwa v9, v16 dst_sel:DWORD dst_unused:UNUSED_PAD src0_sel:WORD_1
	v_cvt_f32_f16_e32 v8, v16
	v_add_co_u32_e32 v0, vcc, s34, v0
	v_mov_b32_e32 v5, s78
	v_addc_co_u32_e32 v1, vcc, v5, v1, vcc
	v_pk_fma_f32 v[4:5], v[4:5], v[8:9], v[6:7] op_sel_hi:[0,1,1]
	v_div_scale_f32 v2, s[40:41], v3, v3, v5
	v_rcp_f32_e32 v6, v2
	v_fma_f32 v7, -v2, v6, 1.0
	v_fmac_f32_e32 v6, v7, v6
	v_div_scale_f32 v7, vcc, v5, v3, v5
	v_mul_f32_e32 v8, v7, v6
	v_fma_f32 v9, -v2, v8, v7
	v_fmac_f32_e32 v8, v9, v6
	v_fma_f32 v2, -v2, v8, v7
	v_div_fmas_f32 v2, v2, v6, v8
	v_div_fixup_f32 v5, v2, v3, v5
	v_div_scale_f32 v2, s[40:41], v3, v3, v4
	v_rcp_f32_e32 v6, v2
	v_fma_f32 v7, -v2, v6, 1.0
	v_fmac_f32_e32 v6, v7, v6
	v_div_scale_f32 v7, vcc, v4, v3, v4
	v_mul_f32_e32 v8, v7, v6
	v_fma_f32 v9, -v2, v8, v7
	v_fmac_f32_e32 v8, v9, v6
	v_fma_f32 v2, -v2, v8, v7
	v_div_fmas_f32 v2, v2, v6, v8
	v_div_fixup_f32 v4, v2, v3, v4
	global_store_dwordx2 v[0:1], v[4:5], off offset:512
	v_mov_b32_e32 v0, 0
.LBB29_215:                             ;   in Loop: Header=BB29_16 Depth=1
	s_or_b64 exec, exec, s[38:39]
	s_movk_i32 s34, 0x47
	v_cmp_gt_i32_e32 vcc, s34, v0
	s_mov_b64 s[38:39], -1
	s_and_saveexec_b64 s[40:41], vcc
; %bb.216:                              ;   in Loop: Header=BB29_16 Depth=1
	v_cmp_eq_u32_e32 vcc, 0, v0
	s_orn2_b64 s[38:39], vcc, exec
; %bb.217:                              ;   in Loop: Header=BB29_16 Depth=1
	s_or_b64 exec, exec, s[40:41]
	s_and_b64 exec, exec, s[38:39]
	s_cbranch_execz .LBB29_14
; %bb.218:                              ;   in Loop: Header=BB29_16 Depth=1
	v_accvgpr_read_b32 v0, a15
	v_add_u32_e32 v1, s65, v0
	v_readlane_b32 s40, v254, 59
	v_cmp_gt_i32_e32 vcc, s40, v1
	v_mov_b32_e32 v0, 0x47
	v_readlane_b32 s41, v254, 60
	v_readlane_b32 s42, v254, 61
	;; [unrolled: 1-line block ×3, first 2 shown]
	s_and_saveexec_b64 s[38:39], vcc
	s_cbranch_execz .LBB29_220
; %bb.219:                              ;   in Loop: Header=BB29_16 Depth=1
	v_readlane_b32 s34, v254, 63
	v_accvgpr_read_b32 v0, a40
	v_mul_lo_u32 v5, s34, v1
	v_add_u32_e32 v0, 0, v0
	v_accvgpr_read_b32 v10, a39
	ds_read2_b32 v[2:3], v0 offset0:128 offset1:129
	ds_read2st64_b32 v[6:7], v0 offset0:35 offset1:68
	ds_read_b32 v4, v0 offset:25856
	ds_read2st64_b32 v[8:9], v10 offset1:1
	ds_read2st64_b32 v[0:1], v10 offset0:33 offset1:66
	ds_read_b32 v16, v10 offset:25344
	v_add_u32_e32 v10, v38, v5
	v_ashrrev_i32_e32 v11, 31, v10
	v_lshlrev_b64 v[10:11], 3, v[10:11]
	v_readlane_b32 s34, v255, 21
	v_add_co_u32_e32 v10, vcc, s34, v10
	v_mov_b32_e32 v12, s78
	v_addc_co_u32_e32 v11, vcc, v12, v11, vcc
	s_waitcnt lgkmcnt(2)
	v_cvt_f32_f16_sdwa v13, v8 dst_sel:DWORD dst_unused:UNUSED_PAD src0_sel:WORD_1
	v_cvt_f32_f16_e32 v12, v8
	s_waitcnt lgkmcnt(1)
	v_cvt_f32_f16_sdwa v15, v0 dst_sel:DWORD dst_unused:UNUSED_PAD src0_sel:WORD_1
	v_cvt_f32_f16_e32 v14, v0
	v_mov_b32_e32 v8, v7
	v_pk_fma_f32 v[12:13], v[2:3], v[12:13], 0 op_sel_hi:[0,1,0]
	v_pk_fma_f32 v[12:13], v[6:7], v[14:15], v[12:13] op_sel_hi:[0,1,1]
	v_cvt_f32_f16_sdwa v15, v1 dst_sel:DWORD dst_unused:UNUSED_PAD src0_sel:WORD_1
	v_cvt_f32_f16_e32 v14, v1
	v_pk_fma_f32 v[0:1], v[8:9], v[14:15], v[12:13] op_sel_hi:[0,1,1]
	s_waitcnt lgkmcnt(0)
	v_cvt_f32_f16_sdwa v13, v16 dst_sel:DWORD dst_unused:UNUSED_PAD src0_sel:WORD_1
	v_cvt_f32_f16_e32 v12, v16
	v_pk_fma_f32 v[0:1], v[4:5], v[12:13], v[0:1] op_sel_hi:[0,1,1]
	v_div_scale_f32 v7, s[40:41], v3, v3, v1
	v_rcp_f32_e32 v12, v7
	v_fma_f32 v13, -v7, v12, 1.0
	v_fmac_f32_e32 v12, v13, v12
	v_div_scale_f32 v13, vcc, v1, v3, v1
	v_mul_f32_e32 v14, v13, v12
	v_fma_f32 v15, -v7, v14, v13
	v_fmac_f32_e32 v14, v15, v12
	v_fma_f32 v7, -v7, v14, v13
	v_div_fmas_f32 v7, v7, v12, v14
	v_div_fixup_f32 v1, v7, v3, v1
	v_div_scale_f32 v7, s[40:41], v3, v3, v0
	v_rcp_f32_e32 v12, v7
	v_fma_f32 v13, -v7, v12, 1.0
	v_fmac_f32_e32 v12, v13, v12
	v_div_scale_f32 v13, vcc, v0, v3, v0
	v_mul_f32_e32 v14, v13, v12
	v_fma_f32 v15, -v7, v14, v13
	v_fmac_f32_e32 v14, v15, v12
	v_fma_f32 v7, -v7, v14, v13
	v_div_fmas_f32 v7, v7, v12, v14
	v_div_fixup_f32 v0, v7, v3, v0
	global_store_dwordx2 v[10:11], v[0:1], off
	v_accvgpr_read_b32 v0, a41
	ds_read2st64_b32 v[10:11], v0 offset0:33 offset1:66
	ds_read_b32 v16, v0 offset:25344
	v_cvt_f32_f16_sdwa v13, v9 dst_sel:DWORD dst_unused:UNUSED_PAD src0_sel:WORD_1
	v_cvt_f32_f16_e32 v12, v9
	v_ashrrev_i32_e32 v1, 31, v5
	s_waitcnt lgkmcnt(1)
	v_cvt_f32_f16_sdwa v15, v10 dst_sel:DWORD dst_unused:UNUSED_PAD src0_sel:WORD_1
	v_cvt_f32_f16_e32 v14, v10
	v_pk_fma_f32 v[12:13], v[2:3], v[12:13], 0 op_sel_hi:[0,1,0]
	v_add_co_u32_e32 v0, vcc, v38, v5
	v_pk_fma_f32 v[6:7], v[6:7], v[14:15], v[12:13] op_sel_hi:[0,1,1]
	v_cvt_f32_f16_sdwa v13, v11 dst_sel:DWORD dst_unused:UNUSED_PAD src0_sel:WORD_1
	v_cvt_f32_f16_e32 v12, v11
	v_addc_co_u32_e32 v1, vcc, 0, v1, vcc
	v_lshlrev_b64 v[0:1], 3, v[0:1]
	v_pk_fma_f32 v[6:7], v[8:9], v[12:13], v[6:7] op_sel_hi:[0,1,1]
	s_waitcnt lgkmcnt(0)
	v_cvt_f32_f16_sdwa v9, v16 dst_sel:DWORD dst_unused:UNUSED_PAD src0_sel:WORD_1
	v_cvt_f32_f16_e32 v8, v16
	v_add_co_u32_e32 v0, vcc, s34, v0
	v_mov_b32_e32 v5, s78
	v_addc_co_u32_e32 v1, vcc, v5, v1, vcc
	v_pk_fma_f32 v[4:5], v[4:5], v[8:9], v[6:7] op_sel_hi:[0,1,1]
	v_div_scale_f32 v2, s[40:41], v3, v3, v5
	v_rcp_f32_e32 v6, v2
	v_fma_f32 v7, -v2, v6, 1.0
	v_fmac_f32_e32 v6, v7, v6
	v_div_scale_f32 v7, vcc, v5, v3, v5
	v_mul_f32_e32 v8, v7, v6
	v_fma_f32 v9, -v2, v8, v7
	v_fmac_f32_e32 v8, v9, v6
	v_fma_f32 v2, -v2, v8, v7
	v_div_fmas_f32 v2, v2, v6, v8
	v_div_fixup_f32 v5, v2, v3, v5
	v_div_scale_f32 v2, s[40:41], v3, v3, v4
	v_rcp_f32_e32 v6, v2
	v_fma_f32 v7, -v2, v6, 1.0
	v_fmac_f32_e32 v6, v7, v6
	v_div_scale_f32 v7, vcc, v4, v3, v4
	v_mul_f32_e32 v8, v7, v6
	v_fma_f32 v9, -v2, v8, v7
	v_fmac_f32_e32 v8, v9, v6
	v_fma_f32 v2, -v2, v8, v7
	v_div_fmas_f32 v2, v2, v6, v8
	v_div_fixup_f32 v4, v2, v3, v4
	global_store_dwordx2 v[0:1], v[4:5], off offset:512
	v_mov_b32_e32 v0, 0
.LBB29_220:                             ;   in Loop: Header=BB29_16 Depth=1
	s_or_b64 exec, exec, s[38:39]
	s_movk_i32 s34, 0x47
	v_cmp_gt_i32_e32 vcc, s34, v0
	s_mov_b64 s[38:39], -1
	s_and_saveexec_b64 s[40:41], vcc
; %bb.221:                              ;   in Loop: Header=BB29_16 Depth=1
	v_cmp_eq_u32_e32 vcc, 0, v0
	s_orn2_b64 s[38:39], vcc, exec
; %bb.222:                              ;   in Loop: Header=BB29_16 Depth=1
	s_or_b64 exec, exec, s[40:41]
	s_and_b64 exec, exec, s[38:39]
	s_cbranch_execz .LBB29_14
; %bb.223:                              ;   in Loop: Header=BB29_16 Depth=1
	v_accvgpr_read_b32 v0, a16
	v_add_u32_e32 v1, s65, v0
	v_readlane_b32 s40, v254, 59
	v_cmp_gt_i32_e32 vcc, s40, v1
	v_mov_b32_e32 v0, 0x47
	v_readlane_b32 s41, v254, 60
	v_readlane_b32 s42, v254, 61
	;; [unrolled: 1-line block ×3, first 2 shown]
	s_and_saveexec_b64 s[38:39], vcc
	s_cbranch_execz .LBB29_225
; %bb.224:                              ;   in Loop: Header=BB29_16 Depth=1
	v_readlane_b32 s34, v254, 63
	v_accvgpr_read_b32 v0, a43
	v_mul_lo_u32 v5, s34, v1
	v_add_u32_e32 v0, 0, v0
	v_accvgpr_read_b32 v10, a42
	ds_read2_b32 v[2:3], v0 offset0:128 offset1:129
	ds_read2st64_b32 v[6:7], v0 offset0:35 offset1:68
	ds_read_b32 v4, v0 offset:25856
	ds_read2st64_b32 v[8:9], v10 offset1:1
	ds_read2st64_b32 v[0:1], v10 offset0:33 offset1:66
	ds_read_b32 v16, v10 offset:25344
	v_add_u32_e32 v10, v38, v5
	v_ashrrev_i32_e32 v11, 31, v10
	v_lshlrev_b64 v[10:11], 3, v[10:11]
	v_readlane_b32 s34, v255, 21
	v_add_co_u32_e32 v10, vcc, s34, v10
	v_mov_b32_e32 v12, s78
	v_addc_co_u32_e32 v11, vcc, v12, v11, vcc
	s_waitcnt lgkmcnt(2)
	v_cvt_f32_f16_sdwa v13, v8 dst_sel:DWORD dst_unused:UNUSED_PAD src0_sel:WORD_1
	v_cvt_f32_f16_e32 v12, v8
	s_waitcnt lgkmcnt(1)
	v_cvt_f32_f16_sdwa v15, v0 dst_sel:DWORD dst_unused:UNUSED_PAD src0_sel:WORD_1
	v_cvt_f32_f16_e32 v14, v0
	v_mov_b32_e32 v8, v7
	v_pk_fma_f32 v[12:13], v[2:3], v[12:13], 0 op_sel_hi:[0,1,0]
	v_pk_fma_f32 v[12:13], v[6:7], v[14:15], v[12:13] op_sel_hi:[0,1,1]
	v_cvt_f32_f16_sdwa v15, v1 dst_sel:DWORD dst_unused:UNUSED_PAD src0_sel:WORD_1
	v_cvt_f32_f16_e32 v14, v1
	v_pk_fma_f32 v[0:1], v[8:9], v[14:15], v[12:13] op_sel_hi:[0,1,1]
	s_waitcnt lgkmcnt(0)
	v_cvt_f32_f16_sdwa v13, v16 dst_sel:DWORD dst_unused:UNUSED_PAD src0_sel:WORD_1
	v_cvt_f32_f16_e32 v12, v16
	v_pk_fma_f32 v[0:1], v[4:5], v[12:13], v[0:1] op_sel_hi:[0,1,1]
	v_div_scale_f32 v7, s[40:41], v3, v3, v1
	v_rcp_f32_e32 v12, v7
	v_fma_f32 v13, -v7, v12, 1.0
	v_fmac_f32_e32 v12, v13, v12
	v_div_scale_f32 v13, vcc, v1, v3, v1
	v_mul_f32_e32 v14, v13, v12
	v_fma_f32 v15, -v7, v14, v13
	v_fmac_f32_e32 v14, v15, v12
	v_fma_f32 v7, -v7, v14, v13
	v_div_fmas_f32 v7, v7, v12, v14
	v_div_fixup_f32 v1, v7, v3, v1
	v_div_scale_f32 v7, s[40:41], v3, v3, v0
	v_rcp_f32_e32 v12, v7
	v_fma_f32 v13, -v7, v12, 1.0
	v_fmac_f32_e32 v12, v13, v12
	v_div_scale_f32 v13, vcc, v0, v3, v0
	v_mul_f32_e32 v14, v13, v12
	v_fma_f32 v15, -v7, v14, v13
	v_fmac_f32_e32 v14, v15, v12
	v_fma_f32 v7, -v7, v14, v13
	v_div_fmas_f32 v7, v7, v12, v14
	v_div_fixup_f32 v0, v7, v3, v0
	global_store_dwordx2 v[10:11], v[0:1], off
	v_accvgpr_read_b32 v0, a44
	ds_read2st64_b32 v[10:11], v0 offset0:33 offset1:66
	ds_read_b32 v16, v0 offset:25344
	v_cvt_f32_f16_sdwa v13, v9 dst_sel:DWORD dst_unused:UNUSED_PAD src0_sel:WORD_1
	v_cvt_f32_f16_e32 v12, v9
	v_ashrrev_i32_e32 v1, 31, v5
	s_waitcnt lgkmcnt(1)
	v_cvt_f32_f16_sdwa v15, v10 dst_sel:DWORD dst_unused:UNUSED_PAD src0_sel:WORD_1
	v_cvt_f32_f16_e32 v14, v10
	v_pk_fma_f32 v[12:13], v[2:3], v[12:13], 0 op_sel_hi:[0,1,0]
	v_add_co_u32_e32 v0, vcc, v38, v5
	v_pk_fma_f32 v[6:7], v[6:7], v[14:15], v[12:13] op_sel_hi:[0,1,1]
	v_cvt_f32_f16_sdwa v13, v11 dst_sel:DWORD dst_unused:UNUSED_PAD src0_sel:WORD_1
	v_cvt_f32_f16_e32 v12, v11
	v_addc_co_u32_e32 v1, vcc, 0, v1, vcc
	v_lshlrev_b64 v[0:1], 3, v[0:1]
	v_pk_fma_f32 v[6:7], v[8:9], v[12:13], v[6:7] op_sel_hi:[0,1,1]
	s_waitcnt lgkmcnt(0)
	v_cvt_f32_f16_sdwa v9, v16 dst_sel:DWORD dst_unused:UNUSED_PAD src0_sel:WORD_1
	v_cvt_f32_f16_e32 v8, v16
	v_add_co_u32_e32 v0, vcc, s34, v0
	v_mov_b32_e32 v5, s78
	v_addc_co_u32_e32 v1, vcc, v5, v1, vcc
	v_pk_fma_f32 v[4:5], v[4:5], v[8:9], v[6:7] op_sel_hi:[0,1,1]
	v_div_scale_f32 v2, s[40:41], v3, v3, v5
	v_rcp_f32_e32 v6, v2
	v_fma_f32 v7, -v2, v6, 1.0
	v_fmac_f32_e32 v6, v7, v6
	v_div_scale_f32 v7, vcc, v5, v3, v5
	v_mul_f32_e32 v8, v7, v6
	v_fma_f32 v9, -v2, v8, v7
	v_fmac_f32_e32 v8, v9, v6
	v_fma_f32 v2, -v2, v8, v7
	v_div_fmas_f32 v2, v2, v6, v8
	v_div_fixup_f32 v5, v2, v3, v5
	v_div_scale_f32 v2, s[40:41], v3, v3, v4
	v_rcp_f32_e32 v6, v2
	v_fma_f32 v7, -v2, v6, 1.0
	v_fmac_f32_e32 v6, v7, v6
	v_div_scale_f32 v7, vcc, v4, v3, v4
	v_mul_f32_e32 v8, v7, v6
	v_fma_f32 v9, -v2, v8, v7
	v_fmac_f32_e32 v8, v9, v6
	v_fma_f32 v2, -v2, v8, v7
	v_div_fmas_f32 v2, v2, v6, v8
	v_div_fixup_f32 v4, v2, v3, v4
	global_store_dwordx2 v[0:1], v[4:5], off offset:512
	v_mov_b32_e32 v0, 0
.LBB29_225:                             ;   in Loop: Header=BB29_16 Depth=1
	s_or_b64 exec, exec, s[38:39]
	s_movk_i32 s34, 0x47
	v_cmp_gt_i32_e32 vcc, s34, v0
	s_mov_b64 s[38:39], -1
	s_and_saveexec_b64 s[40:41], vcc
; %bb.226:                              ;   in Loop: Header=BB29_16 Depth=1
	v_cmp_eq_u32_e32 vcc, 0, v0
	s_orn2_b64 s[38:39], vcc, exec
; %bb.227:                              ;   in Loop: Header=BB29_16 Depth=1
	s_or_b64 exec, exec, s[40:41]
	s_and_b64 exec, exec, s[38:39]
	s_cbranch_execz .LBB29_14
; %bb.228:                              ;   in Loop: Header=BB29_16 Depth=1
	v_accvgpr_read_b32 v0, a17
	v_add_u32_e32 v1, s65, v0
	v_readlane_b32 s40, v254, 59
	v_cmp_gt_i32_e32 vcc, s40, v1
	v_mov_b32_e32 v0, 0x47
	v_readlane_b32 s41, v254, 60
	v_readlane_b32 s42, v254, 61
	v_readlane_b32 s43, v254, 62
	s_and_saveexec_b64 s[38:39], vcc
	s_cbranch_execz .LBB29_230
; %bb.229:                              ;   in Loop: Header=BB29_16 Depth=1
	v_readlane_b32 s34, v254, 63
	v_accvgpr_read_b32 v0, a46
	v_mul_lo_u32 v5, s34, v1
	v_add_u32_e32 v0, 0, v0
	v_accvgpr_read_b32 v10, a45
	ds_read2_b32 v[2:3], v0 offset0:128 offset1:129
	ds_read2st64_b32 v[6:7], v0 offset0:35 offset1:68
	ds_read_b32 v4, v0 offset:25856
	ds_read2st64_b32 v[8:9], v10 offset1:1
	ds_read2st64_b32 v[0:1], v10 offset0:33 offset1:66
	ds_read_b32 v16, v10 offset:25344
	v_add_u32_e32 v10, v38, v5
	v_ashrrev_i32_e32 v11, 31, v10
	v_lshlrev_b64 v[10:11], 3, v[10:11]
	v_readlane_b32 s34, v255, 21
	v_add_co_u32_e32 v10, vcc, s34, v10
	v_mov_b32_e32 v12, s78
	v_addc_co_u32_e32 v11, vcc, v12, v11, vcc
	s_waitcnt lgkmcnt(2)
	v_cvt_f32_f16_sdwa v13, v8 dst_sel:DWORD dst_unused:UNUSED_PAD src0_sel:WORD_1
	v_cvt_f32_f16_e32 v12, v8
	s_waitcnt lgkmcnt(1)
	v_cvt_f32_f16_sdwa v15, v0 dst_sel:DWORD dst_unused:UNUSED_PAD src0_sel:WORD_1
	v_cvt_f32_f16_e32 v14, v0
	v_mov_b32_e32 v8, v7
	v_pk_fma_f32 v[12:13], v[2:3], v[12:13], 0 op_sel_hi:[0,1,0]
	v_pk_fma_f32 v[12:13], v[6:7], v[14:15], v[12:13] op_sel_hi:[0,1,1]
	v_cvt_f32_f16_sdwa v15, v1 dst_sel:DWORD dst_unused:UNUSED_PAD src0_sel:WORD_1
	v_cvt_f32_f16_e32 v14, v1
	v_pk_fma_f32 v[0:1], v[8:9], v[14:15], v[12:13] op_sel_hi:[0,1,1]
	s_waitcnt lgkmcnt(0)
	v_cvt_f32_f16_sdwa v13, v16 dst_sel:DWORD dst_unused:UNUSED_PAD src0_sel:WORD_1
	v_cvt_f32_f16_e32 v12, v16
	v_pk_fma_f32 v[0:1], v[4:5], v[12:13], v[0:1] op_sel_hi:[0,1,1]
	v_div_scale_f32 v7, s[40:41], v3, v3, v1
	v_rcp_f32_e32 v12, v7
	v_fma_f32 v13, -v7, v12, 1.0
	v_fmac_f32_e32 v12, v13, v12
	v_div_scale_f32 v13, vcc, v1, v3, v1
	v_mul_f32_e32 v14, v13, v12
	v_fma_f32 v15, -v7, v14, v13
	v_fmac_f32_e32 v14, v15, v12
	v_fma_f32 v7, -v7, v14, v13
	v_div_fmas_f32 v7, v7, v12, v14
	v_div_fixup_f32 v1, v7, v3, v1
	v_div_scale_f32 v7, s[40:41], v3, v3, v0
	v_rcp_f32_e32 v12, v7
	v_fma_f32 v13, -v7, v12, 1.0
	v_fmac_f32_e32 v12, v13, v12
	v_div_scale_f32 v13, vcc, v0, v3, v0
	v_mul_f32_e32 v14, v13, v12
	v_fma_f32 v15, -v7, v14, v13
	v_fmac_f32_e32 v14, v15, v12
	v_fma_f32 v7, -v7, v14, v13
	v_div_fmas_f32 v7, v7, v12, v14
	v_div_fixup_f32 v0, v7, v3, v0
	global_store_dwordx2 v[10:11], v[0:1], off
	v_accvgpr_read_b32 v0, a47
	ds_read2st64_b32 v[10:11], v0 offset0:33 offset1:66
	ds_read_b32 v16, v0 offset:25344
	v_cvt_f32_f16_sdwa v13, v9 dst_sel:DWORD dst_unused:UNUSED_PAD src0_sel:WORD_1
	v_cvt_f32_f16_e32 v12, v9
	v_ashrrev_i32_e32 v1, 31, v5
	s_waitcnt lgkmcnt(1)
	v_cvt_f32_f16_sdwa v15, v10 dst_sel:DWORD dst_unused:UNUSED_PAD src0_sel:WORD_1
	v_cvt_f32_f16_e32 v14, v10
	v_pk_fma_f32 v[12:13], v[2:3], v[12:13], 0 op_sel_hi:[0,1,0]
	v_add_co_u32_e32 v0, vcc, v38, v5
	v_pk_fma_f32 v[6:7], v[6:7], v[14:15], v[12:13] op_sel_hi:[0,1,1]
	v_cvt_f32_f16_sdwa v13, v11 dst_sel:DWORD dst_unused:UNUSED_PAD src0_sel:WORD_1
	v_cvt_f32_f16_e32 v12, v11
	v_addc_co_u32_e32 v1, vcc, 0, v1, vcc
	v_lshlrev_b64 v[0:1], 3, v[0:1]
	v_pk_fma_f32 v[6:7], v[8:9], v[12:13], v[6:7] op_sel_hi:[0,1,1]
	s_waitcnt lgkmcnt(0)
	v_cvt_f32_f16_sdwa v9, v16 dst_sel:DWORD dst_unused:UNUSED_PAD src0_sel:WORD_1
	v_cvt_f32_f16_e32 v8, v16
	v_add_co_u32_e32 v0, vcc, s34, v0
	v_mov_b32_e32 v5, s78
	v_addc_co_u32_e32 v1, vcc, v5, v1, vcc
	v_pk_fma_f32 v[4:5], v[4:5], v[8:9], v[6:7] op_sel_hi:[0,1,1]
	v_div_scale_f32 v2, s[40:41], v3, v3, v5
	v_rcp_f32_e32 v6, v2
	v_fma_f32 v7, -v2, v6, 1.0
	v_fmac_f32_e32 v6, v7, v6
	v_div_scale_f32 v7, vcc, v5, v3, v5
	v_mul_f32_e32 v8, v7, v6
	v_fma_f32 v9, -v2, v8, v7
	v_fmac_f32_e32 v8, v9, v6
	v_fma_f32 v2, -v2, v8, v7
	v_div_fmas_f32 v2, v2, v6, v8
	v_div_fixup_f32 v5, v2, v3, v5
	v_div_scale_f32 v2, s[40:41], v3, v3, v4
	v_rcp_f32_e32 v6, v2
	v_fma_f32 v7, -v2, v6, 1.0
	v_fmac_f32_e32 v6, v7, v6
	v_div_scale_f32 v7, vcc, v4, v3, v4
	v_mul_f32_e32 v8, v7, v6
	v_fma_f32 v9, -v2, v8, v7
	v_fmac_f32_e32 v8, v9, v6
	v_fma_f32 v2, -v2, v8, v7
	v_div_fmas_f32 v2, v2, v6, v8
	v_div_fixup_f32 v4, v2, v3, v4
	global_store_dwordx2 v[0:1], v[4:5], off offset:512
	v_mov_b32_e32 v0, 0
.LBB29_230:                             ;   in Loop: Header=BB29_16 Depth=1
	s_or_b64 exec, exec, s[38:39]
	s_movk_i32 s34, 0x47
	v_cmp_gt_i32_e32 vcc, s34, v0
	s_mov_b64 s[38:39], -1
	s_and_saveexec_b64 s[40:41], vcc
; %bb.231:                              ;   in Loop: Header=BB29_16 Depth=1
	v_cmp_eq_u32_e32 vcc, 0, v0
	s_orn2_b64 s[38:39], vcc, exec
; %bb.232:                              ;   in Loop: Header=BB29_16 Depth=1
	s_or_b64 exec, exec, s[40:41]
	s_and_b64 exec, exec, s[38:39]
	s_cbranch_execz .LBB29_14
; %bb.233:                              ;   in Loop: Header=BB29_16 Depth=1
	v_accvgpr_read_b32 v0, a18
	v_add_u32_e32 v1, s65, v0
	v_readlane_b32 s40, v254, 59
	v_cmp_gt_i32_e32 vcc, s40, v1
	v_mov_b32_e32 v0, 0x47
	v_readlane_b32 s41, v254, 60
	v_readlane_b32 s42, v254, 61
	;; [unrolled: 1-line block ×3, first 2 shown]
	s_and_saveexec_b64 s[38:39], vcc
	s_cbranch_execz .LBB29_235
; %bb.234:                              ;   in Loop: Header=BB29_16 Depth=1
	v_readlane_b32 s34, v254, 63
	v_accvgpr_read_b32 v0, a49
	v_mul_lo_u32 v5, s34, v1
	v_add_u32_e32 v0, 0, v0
	v_accvgpr_read_b32 v10, a48
	ds_read2_b32 v[2:3], v0 offset0:128 offset1:129
	ds_read2st64_b32 v[6:7], v0 offset0:35 offset1:68
	ds_read_b32 v4, v0 offset:25856
	ds_read2st64_b32 v[8:9], v10 offset1:1
	ds_read2st64_b32 v[0:1], v10 offset0:33 offset1:66
	ds_read_b32 v16, v10 offset:25344
	v_add_u32_e32 v10, v38, v5
	v_ashrrev_i32_e32 v11, 31, v10
	v_lshlrev_b64 v[10:11], 3, v[10:11]
	v_readlane_b32 s34, v255, 21
	v_add_co_u32_e32 v10, vcc, s34, v10
	v_mov_b32_e32 v12, s78
	v_addc_co_u32_e32 v11, vcc, v12, v11, vcc
	s_waitcnt lgkmcnt(2)
	v_cvt_f32_f16_sdwa v13, v8 dst_sel:DWORD dst_unused:UNUSED_PAD src0_sel:WORD_1
	v_cvt_f32_f16_e32 v12, v8
	s_waitcnt lgkmcnt(1)
	v_cvt_f32_f16_sdwa v15, v0 dst_sel:DWORD dst_unused:UNUSED_PAD src0_sel:WORD_1
	v_cvt_f32_f16_e32 v14, v0
	v_mov_b32_e32 v8, v7
	v_pk_fma_f32 v[12:13], v[2:3], v[12:13], 0 op_sel_hi:[0,1,0]
	v_pk_fma_f32 v[12:13], v[6:7], v[14:15], v[12:13] op_sel_hi:[0,1,1]
	v_cvt_f32_f16_sdwa v15, v1 dst_sel:DWORD dst_unused:UNUSED_PAD src0_sel:WORD_1
	v_cvt_f32_f16_e32 v14, v1
	v_pk_fma_f32 v[0:1], v[8:9], v[14:15], v[12:13] op_sel_hi:[0,1,1]
	s_waitcnt lgkmcnt(0)
	v_cvt_f32_f16_sdwa v13, v16 dst_sel:DWORD dst_unused:UNUSED_PAD src0_sel:WORD_1
	v_cvt_f32_f16_e32 v12, v16
	v_pk_fma_f32 v[0:1], v[4:5], v[12:13], v[0:1] op_sel_hi:[0,1,1]
	v_div_scale_f32 v7, s[40:41], v3, v3, v1
	v_rcp_f32_e32 v12, v7
	v_fma_f32 v13, -v7, v12, 1.0
	v_fmac_f32_e32 v12, v13, v12
	v_div_scale_f32 v13, vcc, v1, v3, v1
	v_mul_f32_e32 v14, v13, v12
	v_fma_f32 v15, -v7, v14, v13
	v_fmac_f32_e32 v14, v15, v12
	v_fma_f32 v7, -v7, v14, v13
	v_div_fmas_f32 v7, v7, v12, v14
	v_div_fixup_f32 v1, v7, v3, v1
	v_div_scale_f32 v7, s[40:41], v3, v3, v0
	v_rcp_f32_e32 v12, v7
	v_fma_f32 v13, -v7, v12, 1.0
	v_fmac_f32_e32 v12, v13, v12
	v_div_scale_f32 v13, vcc, v0, v3, v0
	v_mul_f32_e32 v14, v13, v12
	v_fma_f32 v15, -v7, v14, v13
	v_fmac_f32_e32 v14, v15, v12
	v_fma_f32 v7, -v7, v14, v13
	v_div_fmas_f32 v7, v7, v12, v14
	v_div_fixup_f32 v0, v7, v3, v0
	global_store_dwordx2 v[10:11], v[0:1], off
	v_accvgpr_read_b32 v0, a50
	ds_read2st64_b32 v[10:11], v0 offset0:33 offset1:66
	ds_read_b32 v16, v0 offset:25344
	v_cvt_f32_f16_sdwa v13, v9 dst_sel:DWORD dst_unused:UNUSED_PAD src0_sel:WORD_1
	v_cvt_f32_f16_e32 v12, v9
	v_ashrrev_i32_e32 v1, 31, v5
	s_waitcnt lgkmcnt(1)
	v_cvt_f32_f16_sdwa v15, v10 dst_sel:DWORD dst_unused:UNUSED_PAD src0_sel:WORD_1
	v_cvt_f32_f16_e32 v14, v10
	v_pk_fma_f32 v[12:13], v[2:3], v[12:13], 0 op_sel_hi:[0,1,0]
	v_add_co_u32_e32 v0, vcc, v38, v5
	v_pk_fma_f32 v[6:7], v[6:7], v[14:15], v[12:13] op_sel_hi:[0,1,1]
	v_cvt_f32_f16_sdwa v13, v11 dst_sel:DWORD dst_unused:UNUSED_PAD src0_sel:WORD_1
	v_cvt_f32_f16_e32 v12, v11
	v_addc_co_u32_e32 v1, vcc, 0, v1, vcc
	v_lshlrev_b64 v[0:1], 3, v[0:1]
	v_pk_fma_f32 v[6:7], v[8:9], v[12:13], v[6:7] op_sel_hi:[0,1,1]
	s_waitcnt lgkmcnt(0)
	v_cvt_f32_f16_sdwa v9, v16 dst_sel:DWORD dst_unused:UNUSED_PAD src0_sel:WORD_1
	v_cvt_f32_f16_e32 v8, v16
	v_add_co_u32_e32 v0, vcc, s34, v0
	v_mov_b32_e32 v5, s78
	v_addc_co_u32_e32 v1, vcc, v5, v1, vcc
	v_pk_fma_f32 v[4:5], v[4:5], v[8:9], v[6:7] op_sel_hi:[0,1,1]
	v_div_scale_f32 v2, s[40:41], v3, v3, v5
	v_rcp_f32_e32 v6, v2
	v_fma_f32 v7, -v2, v6, 1.0
	v_fmac_f32_e32 v6, v7, v6
	v_div_scale_f32 v7, vcc, v5, v3, v5
	v_mul_f32_e32 v8, v7, v6
	v_fma_f32 v9, -v2, v8, v7
	v_fmac_f32_e32 v8, v9, v6
	v_fma_f32 v2, -v2, v8, v7
	v_div_fmas_f32 v2, v2, v6, v8
	v_div_fixup_f32 v5, v2, v3, v5
	v_div_scale_f32 v2, s[40:41], v3, v3, v4
	v_rcp_f32_e32 v6, v2
	v_fma_f32 v7, -v2, v6, 1.0
	v_fmac_f32_e32 v6, v7, v6
	v_div_scale_f32 v7, vcc, v4, v3, v4
	v_mul_f32_e32 v8, v7, v6
	v_fma_f32 v9, -v2, v8, v7
	v_fmac_f32_e32 v8, v9, v6
	v_fma_f32 v2, -v2, v8, v7
	v_div_fmas_f32 v2, v2, v6, v8
	v_div_fixup_f32 v4, v2, v3, v4
	global_store_dwordx2 v[0:1], v[4:5], off offset:512
	v_mov_b32_e32 v0, 0
.LBB29_235:                             ;   in Loop: Header=BB29_16 Depth=1
	s_or_b64 exec, exec, s[38:39]
	s_movk_i32 s34, 0x47
	v_cmp_gt_i32_e32 vcc, s34, v0
	s_mov_b64 s[38:39], -1
	s_and_saveexec_b64 s[40:41], vcc
; %bb.236:                              ;   in Loop: Header=BB29_16 Depth=1
	v_cmp_eq_u32_e32 vcc, 0, v0
	s_orn2_b64 s[38:39], vcc, exec
; %bb.237:                              ;   in Loop: Header=BB29_16 Depth=1
	s_or_b64 exec, exec, s[40:41]
	s_and_b64 exec, exec, s[38:39]
	s_cbranch_execz .LBB29_14
; %bb.238:                              ;   in Loop: Header=BB29_16 Depth=1
	v_accvgpr_read_b32 v0, a19
	v_add_u32_e32 v1, s65, v0
	v_readlane_b32 s40, v254, 59
	v_cmp_gt_i32_e32 vcc, s40, v1
	v_mov_b32_e32 v0, 0x47
	v_readlane_b32 s41, v254, 60
	v_readlane_b32 s42, v254, 61
	;; [unrolled: 1-line block ×3, first 2 shown]
	s_and_saveexec_b64 s[38:39], vcc
	s_cbranch_execz .LBB29_240
; %bb.239:                              ;   in Loop: Header=BB29_16 Depth=1
	v_readlane_b32 s34, v254, 63
	v_accvgpr_read_b32 v0, a52
	v_mul_lo_u32 v5, s34, v1
	v_add_u32_e32 v0, 0, v0
	v_accvgpr_read_b32 v10, a51
	ds_read2_b32 v[2:3], v0 offset0:128 offset1:129
	ds_read2st64_b32 v[6:7], v0 offset0:35 offset1:68
	ds_read_b32 v4, v0 offset:25856
	ds_read2st64_b32 v[8:9], v10 offset1:1
	ds_read2st64_b32 v[0:1], v10 offset0:33 offset1:66
	ds_read_b32 v16, v10 offset:25344
	v_add_u32_e32 v10, v38, v5
	v_ashrrev_i32_e32 v11, 31, v10
	v_lshlrev_b64 v[10:11], 3, v[10:11]
	v_readlane_b32 s34, v255, 21
	v_add_co_u32_e32 v10, vcc, s34, v10
	v_mov_b32_e32 v12, s78
	v_addc_co_u32_e32 v11, vcc, v12, v11, vcc
	s_waitcnt lgkmcnt(2)
	v_cvt_f32_f16_sdwa v13, v8 dst_sel:DWORD dst_unused:UNUSED_PAD src0_sel:WORD_1
	v_cvt_f32_f16_e32 v12, v8
	s_waitcnt lgkmcnt(1)
	v_cvt_f32_f16_sdwa v15, v0 dst_sel:DWORD dst_unused:UNUSED_PAD src0_sel:WORD_1
	v_cvt_f32_f16_e32 v14, v0
	v_mov_b32_e32 v8, v7
	v_pk_fma_f32 v[12:13], v[2:3], v[12:13], 0 op_sel_hi:[0,1,0]
	v_pk_fma_f32 v[12:13], v[6:7], v[14:15], v[12:13] op_sel_hi:[0,1,1]
	v_cvt_f32_f16_sdwa v15, v1 dst_sel:DWORD dst_unused:UNUSED_PAD src0_sel:WORD_1
	v_cvt_f32_f16_e32 v14, v1
	v_pk_fma_f32 v[0:1], v[8:9], v[14:15], v[12:13] op_sel_hi:[0,1,1]
	s_waitcnt lgkmcnt(0)
	v_cvt_f32_f16_sdwa v13, v16 dst_sel:DWORD dst_unused:UNUSED_PAD src0_sel:WORD_1
	v_cvt_f32_f16_e32 v12, v16
	v_pk_fma_f32 v[0:1], v[4:5], v[12:13], v[0:1] op_sel_hi:[0,1,1]
	v_div_scale_f32 v7, s[40:41], v3, v3, v1
	v_rcp_f32_e32 v12, v7
	v_fma_f32 v13, -v7, v12, 1.0
	v_fmac_f32_e32 v12, v13, v12
	v_div_scale_f32 v13, vcc, v1, v3, v1
	v_mul_f32_e32 v14, v13, v12
	v_fma_f32 v15, -v7, v14, v13
	v_fmac_f32_e32 v14, v15, v12
	v_fma_f32 v7, -v7, v14, v13
	v_div_fmas_f32 v7, v7, v12, v14
	v_div_fixup_f32 v1, v7, v3, v1
	v_div_scale_f32 v7, s[40:41], v3, v3, v0
	v_rcp_f32_e32 v12, v7
	v_fma_f32 v13, -v7, v12, 1.0
	v_fmac_f32_e32 v12, v13, v12
	v_div_scale_f32 v13, vcc, v0, v3, v0
	v_mul_f32_e32 v14, v13, v12
	v_fma_f32 v15, -v7, v14, v13
	v_fmac_f32_e32 v14, v15, v12
	v_fma_f32 v7, -v7, v14, v13
	v_div_fmas_f32 v7, v7, v12, v14
	v_div_fixup_f32 v0, v7, v3, v0
	global_store_dwordx2 v[10:11], v[0:1], off
	v_accvgpr_read_b32 v0, a53
	ds_read2st64_b32 v[10:11], v0 offset0:33 offset1:66
	ds_read_b32 v16, v0 offset:25344
	v_cvt_f32_f16_sdwa v13, v9 dst_sel:DWORD dst_unused:UNUSED_PAD src0_sel:WORD_1
	v_cvt_f32_f16_e32 v12, v9
	v_ashrrev_i32_e32 v1, 31, v5
	s_waitcnt lgkmcnt(1)
	v_cvt_f32_f16_sdwa v15, v10 dst_sel:DWORD dst_unused:UNUSED_PAD src0_sel:WORD_1
	v_cvt_f32_f16_e32 v14, v10
	v_pk_fma_f32 v[12:13], v[2:3], v[12:13], 0 op_sel_hi:[0,1,0]
	v_add_co_u32_e32 v0, vcc, v38, v5
	v_pk_fma_f32 v[6:7], v[6:7], v[14:15], v[12:13] op_sel_hi:[0,1,1]
	v_cvt_f32_f16_sdwa v13, v11 dst_sel:DWORD dst_unused:UNUSED_PAD src0_sel:WORD_1
	v_cvt_f32_f16_e32 v12, v11
	v_addc_co_u32_e32 v1, vcc, 0, v1, vcc
	v_lshlrev_b64 v[0:1], 3, v[0:1]
	v_pk_fma_f32 v[6:7], v[8:9], v[12:13], v[6:7] op_sel_hi:[0,1,1]
	s_waitcnt lgkmcnt(0)
	v_cvt_f32_f16_sdwa v9, v16 dst_sel:DWORD dst_unused:UNUSED_PAD src0_sel:WORD_1
	v_cvt_f32_f16_e32 v8, v16
	v_add_co_u32_e32 v0, vcc, s34, v0
	v_mov_b32_e32 v5, s78
	v_addc_co_u32_e32 v1, vcc, v5, v1, vcc
	v_pk_fma_f32 v[4:5], v[4:5], v[8:9], v[6:7] op_sel_hi:[0,1,1]
	v_div_scale_f32 v2, s[40:41], v3, v3, v5
	v_rcp_f32_e32 v6, v2
	v_fma_f32 v7, -v2, v6, 1.0
	v_fmac_f32_e32 v6, v7, v6
	v_div_scale_f32 v7, vcc, v5, v3, v5
	v_mul_f32_e32 v8, v7, v6
	v_fma_f32 v9, -v2, v8, v7
	v_fmac_f32_e32 v8, v9, v6
	v_fma_f32 v2, -v2, v8, v7
	v_div_fmas_f32 v2, v2, v6, v8
	v_div_fixup_f32 v5, v2, v3, v5
	v_div_scale_f32 v2, s[40:41], v3, v3, v4
	v_rcp_f32_e32 v6, v2
	v_fma_f32 v7, -v2, v6, 1.0
	v_fmac_f32_e32 v6, v7, v6
	v_div_scale_f32 v7, vcc, v4, v3, v4
	v_mul_f32_e32 v8, v7, v6
	v_fma_f32 v9, -v2, v8, v7
	v_fmac_f32_e32 v8, v9, v6
	v_fma_f32 v2, -v2, v8, v7
	v_div_fmas_f32 v2, v2, v6, v8
	v_div_fixup_f32 v4, v2, v3, v4
	global_store_dwordx2 v[0:1], v[4:5], off offset:512
	v_mov_b32_e32 v0, 0
.LBB29_240:                             ;   in Loop: Header=BB29_16 Depth=1
	s_or_b64 exec, exec, s[38:39]
	s_movk_i32 s34, 0x47
	v_cmp_gt_i32_e32 vcc, s34, v0
	s_mov_b64 s[38:39], -1
	s_and_saveexec_b64 s[40:41], vcc
; %bb.241:                              ;   in Loop: Header=BB29_16 Depth=1
	v_cmp_eq_u32_e32 vcc, 0, v0
	s_orn2_b64 s[38:39], vcc, exec
; %bb.242:                              ;   in Loop: Header=BB29_16 Depth=1
	s_or_b64 exec, exec, s[40:41]
	s_and_b64 exec, exec, s[38:39]
	s_cbranch_execz .LBB29_14
; %bb.243:                              ;   in Loop: Header=BB29_16 Depth=1
	v_accvgpr_read_b32 v0, a20
	v_add_u32_e32 v1, s65, v0
	v_readlane_b32 s40, v254, 59
	v_cmp_gt_i32_e32 vcc, s40, v1
	v_mov_b32_e32 v0, 0x47
	v_readlane_b32 s41, v254, 60
	v_readlane_b32 s42, v254, 61
	;; [unrolled: 1-line block ×3, first 2 shown]
	s_and_saveexec_b64 s[38:39], vcc
	s_cbranch_execz .LBB29_245
; %bb.244:                              ;   in Loop: Header=BB29_16 Depth=1
	v_readlane_b32 s34, v254, 63
	v_accvgpr_read_b32 v0, a55
	v_mul_lo_u32 v5, s34, v1
	v_add_u32_e32 v0, 0, v0
	v_accvgpr_read_b32 v10, a54
	ds_read2_b32 v[2:3], v0 offset0:128 offset1:129
	ds_read2st64_b32 v[6:7], v0 offset0:35 offset1:68
	ds_read_b32 v4, v0 offset:25856
	ds_read2st64_b32 v[8:9], v10 offset1:1
	ds_read2st64_b32 v[0:1], v10 offset0:33 offset1:66
	ds_read_b32 v16, v10 offset:25344
	v_add_u32_e32 v10, v38, v5
	v_ashrrev_i32_e32 v11, 31, v10
	v_lshlrev_b64 v[10:11], 3, v[10:11]
	v_readlane_b32 s34, v255, 21
	v_add_co_u32_e32 v10, vcc, s34, v10
	v_mov_b32_e32 v12, s78
	v_addc_co_u32_e32 v11, vcc, v12, v11, vcc
	s_waitcnt lgkmcnt(2)
	v_cvt_f32_f16_sdwa v13, v8 dst_sel:DWORD dst_unused:UNUSED_PAD src0_sel:WORD_1
	v_cvt_f32_f16_e32 v12, v8
	s_waitcnt lgkmcnt(1)
	v_cvt_f32_f16_sdwa v15, v0 dst_sel:DWORD dst_unused:UNUSED_PAD src0_sel:WORD_1
	v_cvt_f32_f16_e32 v14, v0
	v_mov_b32_e32 v8, v7
	v_pk_fma_f32 v[12:13], v[2:3], v[12:13], 0 op_sel_hi:[0,1,0]
	v_pk_fma_f32 v[12:13], v[6:7], v[14:15], v[12:13] op_sel_hi:[0,1,1]
	v_cvt_f32_f16_sdwa v15, v1 dst_sel:DWORD dst_unused:UNUSED_PAD src0_sel:WORD_1
	v_cvt_f32_f16_e32 v14, v1
	v_pk_fma_f32 v[0:1], v[8:9], v[14:15], v[12:13] op_sel_hi:[0,1,1]
	s_waitcnt lgkmcnt(0)
	v_cvt_f32_f16_sdwa v13, v16 dst_sel:DWORD dst_unused:UNUSED_PAD src0_sel:WORD_1
	v_cvt_f32_f16_e32 v12, v16
	v_pk_fma_f32 v[0:1], v[4:5], v[12:13], v[0:1] op_sel_hi:[0,1,1]
	v_div_scale_f32 v7, s[40:41], v3, v3, v1
	v_rcp_f32_e32 v12, v7
	v_fma_f32 v13, -v7, v12, 1.0
	v_fmac_f32_e32 v12, v13, v12
	v_div_scale_f32 v13, vcc, v1, v3, v1
	v_mul_f32_e32 v14, v13, v12
	v_fma_f32 v15, -v7, v14, v13
	v_fmac_f32_e32 v14, v15, v12
	v_fma_f32 v7, -v7, v14, v13
	v_div_fmas_f32 v7, v7, v12, v14
	v_div_fixup_f32 v1, v7, v3, v1
	v_div_scale_f32 v7, s[40:41], v3, v3, v0
	v_rcp_f32_e32 v12, v7
	v_fma_f32 v13, -v7, v12, 1.0
	v_fmac_f32_e32 v12, v13, v12
	v_div_scale_f32 v13, vcc, v0, v3, v0
	v_mul_f32_e32 v14, v13, v12
	v_fma_f32 v15, -v7, v14, v13
	v_fmac_f32_e32 v14, v15, v12
	v_fma_f32 v7, -v7, v14, v13
	v_div_fmas_f32 v7, v7, v12, v14
	v_div_fixup_f32 v0, v7, v3, v0
	global_store_dwordx2 v[10:11], v[0:1], off
	v_accvgpr_read_b32 v0, a56
	ds_read2st64_b32 v[10:11], v0 offset0:33 offset1:66
	ds_read_b32 v16, v0 offset:25344
	v_cvt_f32_f16_sdwa v13, v9 dst_sel:DWORD dst_unused:UNUSED_PAD src0_sel:WORD_1
	v_cvt_f32_f16_e32 v12, v9
	v_ashrrev_i32_e32 v1, 31, v5
	s_waitcnt lgkmcnt(1)
	v_cvt_f32_f16_sdwa v15, v10 dst_sel:DWORD dst_unused:UNUSED_PAD src0_sel:WORD_1
	v_cvt_f32_f16_e32 v14, v10
	v_pk_fma_f32 v[12:13], v[2:3], v[12:13], 0 op_sel_hi:[0,1,0]
	v_add_co_u32_e32 v0, vcc, v38, v5
	v_pk_fma_f32 v[6:7], v[6:7], v[14:15], v[12:13] op_sel_hi:[0,1,1]
	v_cvt_f32_f16_sdwa v13, v11 dst_sel:DWORD dst_unused:UNUSED_PAD src0_sel:WORD_1
	v_cvt_f32_f16_e32 v12, v11
	v_addc_co_u32_e32 v1, vcc, 0, v1, vcc
	v_lshlrev_b64 v[0:1], 3, v[0:1]
	v_pk_fma_f32 v[6:7], v[8:9], v[12:13], v[6:7] op_sel_hi:[0,1,1]
	s_waitcnt lgkmcnt(0)
	v_cvt_f32_f16_sdwa v9, v16 dst_sel:DWORD dst_unused:UNUSED_PAD src0_sel:WORD_1
	v_cvt_f32_f16_e32 v8, v16
	v_add_co_u32_e32 v0, vcc, s34, v0
	v_mov_b32_e32 v5, s78
	v_addc_co_u32_e32 v1, vcc, v5, v1, vcc
	v_pk_fma_f32 v[4:5], v[4:5], v[8:9], v[6:7] op_sel_hi:[0,1,1]
	v_div_scale_f32 v2, s[40:41], v3, v3, v5
	v_rcp_f32_e32 v6, v2
	v_fma_f32 v7, -v2, v6, 1.0
	v_fmac_f32_e32 v6, v7, v6
	v_div_scale_f32 v7, vcc, v5, v3, v5
	v_mul_f32_e32 v8, v7, v6
	v_fma_f32 v9, -v2, v8, v7
	v_fmac_f32_e32 v8, v9, v6
	v_fma_f32 v2, -v2, v8, v7
	v_div_fmas_f32 v2, v2, v6, v8
	v_div_fixup_f32 v5, v2, v3, v5
	v_div_scale_f32 v2, s[40:41], v3, v3, v4
	v_rcp_f32_e32 v6, v2
	v_fma_f32 v7, -v2, v6, 1.0
	v_fmac_f32_e32 v6, v7, v6
	v_div_scale_f32 v7, vcc, v4, v3, v4
	v_mul_f32_e32 v8, v7, v6
	v_fma_f32 v9, -v2, v8, v7
	v_fmac_f32_e32 v8, v9, v6
	v_fma_f32 v2, -v2, v8, v7
	v_div_fmas_f32 v2, v2, v6, v8
	v_div_fixup_f32 v4, v2, v3, v4
	global_store_dwordx2 v[0:1], v[4:5], off offset:512
	v_mov_b32_e32 v0, 0
.LBB29_245:                             ;   in Loop: Header=BB29_16 Depth=1
	s_or_b64 exec, exec, s[38:39]
	s_movk_i32 s34, 0x47
	v_cmp_gt_i32_e32 vcc, s34, v0
	s_mov_b64 s[38:39], -1
	s_and_saveexec_b64 s[40:41], vcc
; %bb.246:                              ;   in Loop: Header=BB29_16 Depth=1
	v_cmp_eq_u32_e32 vcc, 0, v0
	s_orn2_b64 s[38:39], vcc, exec
; %bb.247:                              ;   in Loop: Header=BB29_16 Depth=1
	s_or_b64 exec, exec, s[40:41]
	s_and_b64 exec, exec, s[38:39]
	s_cbranch_execz .LBB29_14
; %bb.248:                              ;   in Loop: Header=BB29_16 Depth=1
	v_accvgpr_read_b32 v0, a21
	v_add_u32_e32 v1, s65, v0
	v_readlane_b32 s40, v254, 59
	v_cmp_gt_i32_e32 vcc, s40, v1
	v_mov_b32_e32 v0, 0x47
	v_readlane_b32 s41, v254, 60
	v_readlane_b32 s42, v254, 61
	;; [unrolled: 1-line block ×3, first 2 shown]
	s_and_saveexec_b64 s[38:39], vcc
	s_cbranch_execz .LBB29_250
; %bb.249:                              ;   in Loop: Header=BB29_16 Depth=1
	v_readlane_b32 s34, v254, 63
	v_accvgpr_read_b32 v0, a58
	v_mul_lo_u32 v5, s34, v1
	v_add_u32_e32 v0, 0, v0
	v_accvgpr_read_b32 v10, a57
	ds_read2_b32 v[2:3], v0 offset0:128 offset1:129
	ds_read2st64_b32 v[6:7], v0 offset0:35 offset1:68
	ds_read_b32 v4, v0 offset:25856
	ds_read2st64_b32 v[8:9], v10 offset1:1
	ds_read2st64_b32 v[0:1], v10 offset0:33 offset1:66
	ds_read_b32 v16, v10 offset:25344
	v_add_u32_e32 v10, v38, v5
	v_ashrrev_i32_e32 v11, 31, v10
	v_lshlrev_b64 v[10:11], 3, v[10:11]
	v_readlane_b32 s34, v255, 21
	v_add_co_u32_e32 v10, vcc, s34, v10
	v_mov_b32_e32 v12, s78
	v_addc_co_u32_e32 v11, vcc, v12, v11, vcc
	s_waitcnt lgkmcnt(2)
	v_cvt_f32_f16_sdwa v13, v8 dst_sel:DWORD dst_unused:UNUSED_PAD src0_sel:WORD_1
	v_cvt_f32_f16_e32 v12, v8
	s_waitcnt lgkmcnt(1)
	v_cvt_f32_f16_sdwa v15, v0 dst_sel:DWORD dst_unused:UNUSED_PAD src0_sel:WORD_1
	v_cvt_f32_f16_e32 v14, v0
	v_mov_b32_e32 v8, v7
	v_pk_fma_f32 v[12:13], v[2:3], v[12:13], 0 op_sel_hi:[0,1,0]
	v_pk_fma_f32 v[12:13], v[6:7], v[14:15], v[12:13] op_sel_hi:[0,1,1]
	v_cvt_f32_f16_sdwa v15, v1 dst_sel:DWORD dst_unused:UNUSED_PAD src0_sel:WORD_1
	v_cvt_f32_f16_e32 v14, v1
	v_pk_fma_f32 v[0:1], v[8:9], v[14:15], v[12:13] op_sel_hi:[0,1,1]
	s_waitcnt lgkmcnt(0)
	v_cvt_f32_f16_sdwa v13, v16 dst_sel:DWORD dst_unused:UNUSED_PAD src0_sel:WORD_1
	v_cvt_f32_f16_e32 v12, v16
	v_pk_fma_f32 v[0:1], v[4:5], v[12:13], v[0:1] op_sel_hi:[0,1,1]
	v_div_scale_f32 v7, s[40:41], v3, v3, v1
	v_rcp_f32_e32 v12, v7
	v_fma_f32 v13, -v7, v12, 1.0
	v_fmac_f32_e32 v12, v13, v12
	v_div_scale_f32 v13, vcc, v1, v3, v1
	v_mul_f32_e32 v14, v13, v12
	v_fma_f32 v15, -v7, v14, v13
	v_fmac_f32_e32 v14, v15, v12
	v_fma_f32 v7, -v7, v14, v13
	v_div_fmas_f32 v7, v7, v12, v14
	v_div_fixup_f32 v1, v7, v3, v1
	v_div_scale_f32 v7, s[40:41], v3, v3, v0
	v_rcp_f32_e32 v12, v7
	v_fma_f32 v13, -v7, v12, 1.0
	v_fmac_f32_e32 v12, v13, v12
	v_div_scale_f32 v13, vcc, v0, v3, v0
	v_mul_f32_e32 v14, v13, v12
	v_fma_f32 v15, -v7, v14, v13
	v_fmac_f32_e32 v14, v15, v12
	v_fma_f32 v7, -v7, v14, v13
	v_div_fmas_f32 v7, v7, v12, v14
	v_div_fixup_f32 v0, v7, v3, v0
	global_store_dwordx2 v[10:11], v[0:1], off
	v_accvgpr_read_b32 v0, a59
	ds_read2st64_b32 v[10:11], v0 offset0:33 offset1:66
	ds_read_b32 v16, v0 offset:25344
	v_cvt_f32_f16_sdwa v13, v9 dst_sel:DWORD dst_unused:UNUSED_PAD src0_sel:WORD_1
	v_cvt_f32_f16_e32 v12, v9
	v_ashrrev_i32_e32 v1, 31, v5
	s_waitcnt lgkmcnt(1)
	v_cvt_f32_f16_sdwa v15, v10 dst_sel:DWORD dst_unused:UNUSED_PAD src0_sel:WORD_1
	v_cvt_f32_f16_e32 v14, v10
	v_pk_fma_f32 v[12:13], v[2:3], v[12:13], 0 op_sel_hi:[0,1,0]
	v_add_co_u32_e32 v0, vcc, v38, v5
	v_pk_fma_f32 v[6:7], v[6:7], v[14:15], v[12:13] op_sel_hi:[0,1,1]
	v_cvt_f32_f16_sdwa v13, v11 dst_sel:DWORD dst_unused:UNUSED_PAD src0_sel:WORD_1
	v_cvt_f32_f16_e32 v12, v11
	v_addc_co_u32_e32 v1, vcc, 0, v1, vcc
	v_lshlrev_b64 v[0:1], 3, v[0:1]
	v_pk_fma_f32 v[6:7], v[8:9], v[12:13], v[6:7] op_sel_hi:[0,1,1]
	s_waitcnt lgkmcnt(0)
	v_cvt_f32_f16_sdwa v9, v16 dst_sel:DWORD dst_unused:UNUSED_PAD src0_sel:WORD_1
	v_cvt_f32_f16_e32 v8, v16
	v_add_co_u32_e32 v0, vcc, s34, v0
	v_mov_b32_e32 v5, s78
	v_addc_co_u32_e32 v1, vcc, v5, v1, vcc
	v_pk_fma_f32 v[4:5], v[4:5], v[8:9], v[6:7] op_sel_hi:[0,1,1]
	v_div_scale_f32 v2, s[40:41], v3, v3, v5
	v_rcp_f32_e32 v6, v2
	v_fma_f32 v7, -v2, v6, 1.0
	v_fmac_f32_e32 v6, v7, v6
	v_div_scale_f32 v7, vcc, v5, v3, v5
	v_mul_f32_e32 v8, v7, v6
	v_fma_f32 v9, -v2, v8, v7
	v_fmac_f32_e32 v8, v9, v6
	v_fma_f32 v2, -v2, v8, v7
	v_div_fmas_f32 v2, v2, v6, v8
	v_div_fixup_f32 v5, v2, v3, v5
	v_div_scale_f32 v2, s[40:41], v3, v3, v4
	v_rcp_f32_e32 v6, v2
	v_fma_f32 v7, -v2, v6, 1.0
	v_fmac_f32_e32 v6, v7, v6
	v_div_scale_f32 v7, vcc, v4, v3, v4
	v_mul_f32_e32 v8, v7, v6
	v_fma_f32 v9, -v2, v8, v7
	v_fmac_f32_e32 v8, v9, v6
	v_fma_f32 v2, -v2, v8, v7
	v_div_fmas_f32 v2, v2, v6, v8
	v_div_fixup_f32 v4, v2, v3, v4
	global_store_dwordx2 v[0:1], v[4:5], off offset:512
	v_mov_b32_e32 v0, 0
.LBB29_250:                             ;   in Loop: Header=BB29_16 Depth=1
	s_or_b64 exec, exec, s[38:39]
	s_movk_i32 s34, 0x47
	v_cmp_gt_i32_e32 vcc, s34, v0
	s_mov_b64 s[38:39], -1
	s_and_saveexec_b64 s[40:41], vcc
; %bb.251:                              ;   in Loop: Header=BB29_16 Depth=1
	v_cmp_eq_u32_e32 vcc, 0, v0
	s_orn2_b64 s[38:39], vcc, exec
; %bb.252:                              ;   in Loop: Header=BB29_16 Depth=1
	s_or_b64 exec, exec, s[40:41]
	s_and_b64 exec, exec, s[38:39]
	s_cbranch_execz .LBB29_14
; %bb.253:                              ;   in Loop: Header=BB29_16 Depth=1
	v_accvgpr_read_b32 v0, a22
	v_add_u32_e32 v1, s65, v0
	v_readlane_b32 s40, v254, 59
	v_cmp_gt_i32_e32 vcc, s40, v1
	v_mov_b32_e32 v0, 0x47
	v_readlane_b32 s41, v254, 60
	v_readlane_b32 s42, v254, 61
	;; [unrolled: 1-line block ×3, first 2 shown]
	s_and_saveexec_b64 s[38:39], vcc
	s_cbranch_execz .LBB29_255
; %bb.254:                              ;   in Loop: Header=BB29_16 Depth=1
	v_readlane_b32 s34, v254, 63
	v_accvgpr_read_b32 v0, a61
	v_mul_lo_u32 v5, s34, v1
	v_add_u32_e32 v0, 0, v0
	v_accvgpr_read_b32 v10, a60
	ds_read2_b32 v[2:3], v0 offset0:128 offset1:129
	ds_read2st64_b32 v[6:7], v0 offset0:35 offset1:68
	ds_read_b32 v4, v0 offset:25856
	ds_read2st64_b32 v[8:9], v10 offset1:1
	ds_read2st64_b32 v[0:1], v10 offset0:33 offset1:66
	ds_read_b32 v16, v10 offset:25344
	v_add_u32_e32 v10, v38, v5
	v_ashrrev_i32_e32 v11, 31, v10
	v_lshlrev_b64 v[10:11], 3, v[10:11]
	v_readlane_b32 s34, v255, 21
	v_add_co_u32_e32 v10, vcc, s34, v10
	v_mov_b32_e32 v12, s78
	v_addc_co_u32_e32 v11, vcc, v12, v11, vcc
	s_waitcnt lgkmcnt(2)
	v_cvt_f32_f16_sdwa v13, v8 dst_sel:DWORD dst_unused:UNUSED_PAD src0_sel:WORD_1
	v_cvt_f32_f16_e32 v12, v8
	s_waitcnt lgkmcnt(1)
	v_cvt_f32_f16_sdwa v15, v0 dst_sel:DWORD dst_unused:UNUSED_PAD src0_sel:WORD_1
	v_cvt_f32_f16_e32 v14, v0
	v_mov_b32_e32 v8, v7
	v_pk_fma_f32 v[12:13], v[2:3], v[12:13], 0 op_sel_hi:[0,1,0]
	v_pk_fma_f32 v[12:13], v[6:7], v[14:15], v[12:13] op_sel_hi:[0,1,1]
	v_cvt_f32_f16_sdwa v15, v1 dst_sel:DWORD dst_unused:UNUSED_PAD src0_sel:WORD_1
	v_cvt_f32_f16_e32 v14, v1
	v_pk_fma_f32 v[0:1], v[8:9], v[14:15], v[12:13] op_sel_hi:[0,1,1]
	s_waitcnt lgkmcnt(0)
	v_cvt_f32_f16_sdwa v13, v16 dst_sel:DWORD dst_unused:UNUSED_PAD src0_sel:WORD_1
	v_cvt_f32_f16_e32 v12, v16
	v_pk_fma_f32 v[0:1], v[4:5], v[12:13], v[0:1] op_sel_hi:[0,1,1]
	v_div_scale_f32 v7, s[40:41], v3, v3, v1
	v_rcp_f32_e32 v12, v7
	v_fma_f32 v13, -v7, v12, 1.0
	v_fmac_f32_e32 v12, v13, v12
	v_div_scale_f32 v13, vcc, v1, v3, v1
	v_mul_f32_e32 v14, v13, v12
	v_fma_f32 v15, -v7, v14, v13
	v_fmac_f32_e32 v14, v15, v12
	v_fma_f32 v7, -v7, v14, v13
	v_div_fmas_f32 v7, v7, v12, v14
	v_div_fixup_f32 v1, v7, v3, v1
	v_div_scale_f32 v7, s[40:41], v3, v3, v0
	v_rcp_f32_e32 v12, v7
	v_fma_f32 v13, -v7, v12, 1.0
	v_fmac_f32_e32 v12, v13, v12
	v_div_scale_f32 v13, vcc, v0, v3, v0
	v_mul_f32_e32 v14, v13, v12
	v_fma_f32 v15, -v7, v14, v13
	v_fmac_f32_e32 v14, v15, v12
	v_fma_f32 v7, -v7, v14, v13
	v_div_fmas_f32 v7, v7, v12, v14
	v_div_fixup_f32 v0, v7, v3, v0
	global_store_dwordx2 v[10:11], v[0:1], off
	v_accvgpr_read_b32 v0, a62
	ds_read2st64_b32 v[10:11], v0 offset0:33 offset1:66
	ds_read_b32 v16, v0 offset:25344
	v_cvt_f32_f16_sdwa v13, v9 dst_sel:DWORD dst_unused:UNUSED_PAD src0_sel:WORD_1
	v_cvt_f32_f16_e32 v12, v9
	v_ashrrev_i32_e32 v1, 31, v5
	s_waitcnt lgkmcnt(1)
	v_cvt_f32_f16_sdwa v15, v10 dst_sel:DWORD dst_unused:UNUSED_PAD src0_sel:WORD_1
	v_cvt_f32_f16_e32 v14, v10
	v_pk_fma_f32 v[12:13], v[2:3], v[12:13], 0 op_sel_hi:[0,1,0]
	v_add_co_u32_e32 v0, vcc, v38, v5
	v_pk_fma_f32 v[6:7], v[6:7], v[14:15], v[12:13] op_sel_hi:[0,1,1]
	v_cvt_f32_f16_sdwa v13, v11 dst_sel:DWORD dst_unused:UNUSED_PAD src0_sel:WORD_1
	v_cvt_f32_f16_e32 v12, v11
	v_addc_co_u32_e32 v1, vcc, 0, v1, vcc
	v_lshlrev_b64 v[0:1], 3, v[0:1]
	v_pk_fma_f32 v[6:7], v[8:9], v[12:13], v[6:7] op_sel_hi:[0,1,1]
	s_waitcnt lgkmcnt(0)
	v_cvt_f32_f16_sdwa v9, v16 dst_sel:DWORD dst_unused:UNUSED_PAD src0_sel:WORD_1
	v_cvt_f32_f16_e32 v8, v16
	v_add_co_u32_e32 v0, vcc, s34, v0
	v_mov_b32_e32 v5, s78
	v_addc_co_u32_e32 v1, vcc, v5, v1, vcc
	v_pk_fma_f32 v[4:5], v[4:5], v[8:9], v[6:7] op_sel_hi:[0,1,1]
	v_div_scale_f32 v2, s[40:41], v3, v3, v5
	v_rcp_f32_e32 v6, v2
	v_fma_f32 v7, -v2, v6, 1.0
	v_fmac_f32_e32 v6, v7, v6
	v_div_scale_f32 v7, vcc, v5, v3, v5
	v_mul_f32_e32 v8, v7, v6
	v_fma_f32 v9, -v2, v8, v7
	v_fmac_f32_e32 v8, v9, v6
	v_fma_f32 v2, -v2, v8, v7
	v_div_fmas_f32 v2, v2, v6, v8
	v_div_fixup_f32 v5, v2, v3, v5
	v_div_scale_f32 v2, s[40:41], v3, v3, v4
	v_rcp_f32_e32 v6, v2
	v_fma_f32 v7, -v2, v6, 1.0
	v_fmac_f32_e32 v6, v7, v6
	v_div_scale_f32 v7, vcc, v4, v3, v4
	v_mul_f32_e32 v8, v7, v6
	v_fma_f32 v9, -v2, v8, v7
	v_fmac_f32_e32 v8, v9, v6
	v_fma_f32 v2, -v2, v8, v7
	v_div_fmas_f32 v2, v2, v6, v8
	v_div_fixup_f32 v4, v2, v3, v4
	global_store_dwordx2 v[0:1], v[4:5], off offset:512
	v_mov_b32_e32 v0, 0
.LBB29_255:                             ;   in Loop: Header=BB29_16 Depth=1
	s_or_b64 exec, exec, s[38:39]
	s_movk_i32 s34, 0x47
	v_cmp_gt_i32_e32 vcc, s34, v0
	s_mov_b64 s[38:39], -1
	s_and_saveexec_b64 s[40:41], vcc
; %bb.256:                              ;   in Loop: Header=BB29_16 Depth=1
	v_cmp_eq_u32_e32 vcc, 0, v0
	s_orn2_b64 s[38:39], vcc, exec
; %bb.257:                              ;   in Loop: Header=BB29_16 Depth=1
	s_or_b64 exec, exec, s[40:41]
	s_and_b64 exec, exec, s[38:39]
	s_cbranch_execz .LBB29_14
; %bb.258:                              ;   in Loop: Header=BB29_16 Depth=1
	v_accvgpr_read_b32 v0, a23
	v_add_u32_e32 v1, s65, v0
	v_readlane_b32 s40, v254, 59
	v_cmp_gt_i32_e32 vcc, s40, v1
	v_mov_b32_e32 v0, 0x47
	v_readlane_b32 s41, v254, 60
	v_readlane_b32 s42, v254, 61
	;; [unrolled: 1-line block ×3, first 2 shown]
	s_and_saveexec_b64 s[38:39], vcc
	s_cbranch_execz .LBB29_260
; %bb.259:                              ;   in Loop: Header=BB29_16 Depth=1
	v_readlane_b32 s34, v254, 63
	v_accvgpr_read_b32 v0, a64
	v_mul_lo_u32 v5, s34, v1
	v_add_u32_e32 v0, 0, v0
	v_accvgpr_read_b32 v10, a63
	ds_read2_b32 v[2:3], v0 offset0:128 offset1:129
	ds_read2st64_b32 v[6:7], v0 offset0:35 offset1:68
	ds_read_b32 v4, v0 offset:25856
	ds_read2st64_b32 v[8:9], v10 offset1:1
	ds_read2st64_b32 v[0:1], v10 offset0:33 offset1:66
	ds_read_b32 v16, v10 offset:25344
	v_add_u32_e32 v10, v38, v5
	v_ashrrev_i32_e32 v11, 31, v10
	v_lshlrev_b64 v[10:11], 3, v[10:11]
	v_readlane_b32 s34, v255, 21
	v_add_co_u32_e32 v10, vcc, s34, v10
	v_mov_b32_e32 v12, s78
	v_addc_co_u32_e32 v11, vcc, v12, v11, vcc
	s_waitcnt lgkmcnt(2)
	v_cvt_f32_f16_sdwa v13, v8 dst_sel:DWORD dst_unused:UNUSED_PAD src0_sel:WORD_1
	v_cvt_f32_f16_e32 v12, v8
	s_waitcnt lgkmcnt(1)
	v_cvt_f32_f16_sdwa v15, v0 dst_sel:DWORD dst_unused:UNUSED_PAD src0_sel:WORD_1
	v_cvt_f32_f16_e32 v14, v0
	v_mov_b32_e32 v8, v7
	v_pk_fma_f32 v[12:13], v[2:3], v[12:13], 0 op_sel_hi:[0,1,0]
	v_pk_fma_f32 v[12:13], v[6:7], v[14:15], v[12:13] op_sel_hi:[0,1,1]
	v_cvt_f32_f16_sdwa v15, v1 dst_sel:DWORD dst_unused:UNUSED_PAD src0_sel:WORD_1
	v_cvt_f32_f16_e32 v14, v1
	v_pk_fma_f32 v[0:1], v[8:9], v[14:15], v[12:13] op_sel_hi:[0,1,1]
	s_waitcnt lgkmcnt(0)
	v_cvt_f32_f16_sdwa v13, v16 dst_sel:DWORD dst_unused:UNUSED_PAD src0_sel:WORD_1
	v_cvt_f32_f16_e32 v12, v16
	v_pk_fma_f32 v[0:1], v[4:5], v[12:13], v[0:1] op_sel_hi:[0,1,1]
	v_div_scale_f32 v7, s[40:41], v3, v3, v1
	v_rcp_f32_e32 v12, v7
	v_fma_f32 v13, -v7, v12, 1.0
	v_fmac_f32_e32 v12, v13, v12
	v_div_scale_f32 v13, vcc, v1, v3, v1
	v_mul_f32_e32 v14, v13, v12
	v_fma_f32 v15, -v7, v14, v13
	v_fmac_f32_e32 v14, v15, v12
	v_fma_f32 v7, -v7, v14, v13
	v_div_fmas_f32 v7, v7, v12, v14
	v_div_fixup_f32 v1, v7, v3, v1
	v_div_scale_f32 v7, s[40:41], v3, v3, v0
	v_rcp_f32_e32 v12, v7
	v_fma_f32 v13, -v7, v12, 1.0
	v_fmac_f32_e32 v12, v13, v12
	v_div_scale_f32 v13, vcc, v0, v3, v0
	v_mul_f32_e32 v14, v13, v12
	v_fma_f32 v15, -v7, v14, v13
	v_fmac_f32_e32 v14, v15, v12
	v_fma_f32 v7, -v7, v14, v13
	v_div_fmas_f32 v7, v7, v12, v14
	v_div_fixup_f32 v0, v7, v3, v0
	global_store_dwordx2 v[10:11], v[0:1], off
	v_accvgpr_read_b32 v0, a65
	ds_read2st64_b32 v[10:11], v0 offset0:33 offset1:66
	ds_read_b32 v16, v0 offset:25344
	v_cvt_f32_f16_sdwa v13, v9 dst_sel:DWORD dst_unused:UNUSED_PAD src0_sel:WORD_1
	v_cvt_f32_f16_e32 v12, v9
	v_ashrrev_i32_e32 v1, 31, v5
	s_waitcnt lgkmcnt(1)
	v_cvt_f32_f16_sdwa v15, v10 dst_sel:DWORD dst_unused:UNUSED_PAD src0_sel:WORD_1
	v_cvt_f32_f16_e32 v14, v10
	v_pk_fma_f32 v[12:13], v[2:3], v[12:13], 0 op_sel_hi:[0,1,0]
	v_add_co_u32_e32 v0, vcc, v38, v5
	v_pk_fma_f32 v[6:7], v[6:7], v[14:15], v[12:13] op_sel_hi:[0,1,1]
	v_cvt_f32_f16_sdwa v13, v11 dst_sel:DWORD dst_unused:UNUSED_PAD src0_sel:WORD_1
	v_cvt_f32_f16_e32 v12, v11
	v_addc_co_u32_e32 v1, vcc, 0, v1, vcc
	v_lshlrev_b64 v[0:1], 3, v[0:1]
	v_pk_fma_f32 v[6:7], v[8:9], v[12:13], v[6:7] op_sel_hi:[0,1,1]
	s_waitcnt lgkmcnt(0)
	v_cvt_f32_f16_sdwa v9, v16 dst_sel:DWORD dst_unused:UNUSED_PAD src0_sel:WORD_1
	v_cvt_f32_f16_e32 v8, v16
	v_add_co_u32_e32 v0, vcc, s34, v0
	v_mov_b32_e32 v5, s78
	v_addc_co_u32_e32 v1, vcc, v5, v1, vcc
	v_pk_fma_f32 v[4:5], v[4:5], v[8:9], v[6:7] op_sel_hi:[0,1,1]
	v_div_scale_f32 v2, s[40:41], v3, v3, v5
	v_rcp_f32_e32 v6, v2
	v_fma_f32 v7, -v2, v6, 1.0
	v_fmac_f32_e32 v6, v7, v6
	v_div_scale_f32 v7, vcc, v5, v3, v5
	v_mul_f32_e32 v8, v7, v6
	v_fma_f32 v9, -v2, v8, v7
	v_fmac_f32_e32 v8, v9, v6
	v_fma_f32 v2, -v2, v8, v7
	v_div_fmas_f32 v2, v2, v6, v8
	v_div_fixup_f32 v5, v2, v3, v5
	v_div_scale_f32 v2, s[40:41], v3, v3, v4
	v_rcp_f32_e32 v6, v2
	v_fma_f32 v7, -v2, v6, 1.0
	v_fmac_f32_e32 v6, v7, v6
	v_div_scale_f32 v7, vcc, v4, v3, v4
	v_mul_f32_e32 v8, v7, v6
	v_fma_f32 v9, -v2, v8, v7
	v_fmac_f32_e32 v8, v9, v6
	v_fma_f32 v2, -v2, v8, v7
	v_div_fmas_f32 v2, v2, v6, v8
	v_div_fixup_f32 v4, v2, v3, v4
	global_store_dwordx2 v[0:1], v[4:5], off offset:512
	v_mov_b32_e32 v0, 0
.LBB29_260:                             ;   in Loop: Header=BB29_16 Depth=1
	s_or_b64 exec, exec, s[38:39]
	s_movk_i32 s34, 0x47
	v_cmp_gt_i32_e32 vcc, s34, v0
	s_mov_b64 s[38:39], -1
	s_and_saveexec_b64 s[40:41], vcc
; %bb.261:                              ;   in Loop: Header=BB29_16 Depth=1
	v_cmp_eq_u32_e32 vcc, 0, v0
	s_orn2_b64 s[38:39], vcc, exec
; %bb.262:                              ;   in Loop: Header=BB29_16 Depth=1
	s_or_b64 exec, exec, s[40:41]
	s_and_b64 exec, exec, s[38:39]
	s_cbranch_execz .LBB29_14
; %bb.263:                              ;   in Loop: Header=BB29_16 Depth=1
	v_accvgpr_read_b32 v0, a24
	v_add_u32_e32 v1, s65, v0
	v_readlane_b32 s40, v254, 59
	v_cmp_gt_i32_e32 vcc, s40, v1
	v_mov_b32_e32 v0, 0x47
	v_readlane_b32 s41, v254, 60
	v_readlane_b32 s42, v254, 61
	;; [unrolled: 1-line block ×3, first 2 shown]
	s_and_saveexec_b64 s[38:39], vcc
	s_cbranch_execz .LBB29_265
; %bb.264:                              ;   in Loop: Header=BB29_16 Depth=1
	v_readlane_b32 s34, v254, 63
	v_accvgpr_read_b32 v0, a67
	v_mul_lo_u32 v5, s34, v1
	v_add_u32_e32 v0, 0, v0
	v_accvgpr_read_b32 v10, a66
	ds_read2_b32 v[2:3], v0 offset0:128 offset1:129
	ds_read2st64_b32 v[6:7], v0 offset0:35 offset1:68
	ds_read_b32 v4, v0 offset:25856
	ds_read2st64_b32 v[8:9], v10 offset1:1
	ds_read2st64_b32 v[0:1], v10 offset0:33 offset1:66
	ds_read_b32 v16, v10 offset:25344
	v_add_u32_e32 v10, v38, v5
	v_ashrrev_i32_e32 v11, 31, v10
	v_lshlrev_b64 v[10:11], 3, v[10:11]
	v_readlane_b32 s34, v255, 21
	v_add_co_u32_e32 v10, vcc, s34, v10
	v_mov_b32_e32 v12, s78
	v_addc_co_u32_e32 v11, vcc, v12, v11, vcc
	s_waitcnt lgkmcnt(2)
	v_cvt_f32_f16_sdwa v13, v8 dst_sel:DWORD dst_unused:UNUSED_PAD src0_sel:WORD_1
	v_cvt_f32_f16_e32 v12, v8
	s_waitcnt lgkmcnt(1)
	v_cvt_f32_f16_sdwa v15, v0 dst_sel:DWORD dst_unused:UNUSED_PAD src0_sel:WORD_1
	v_cvt_f32_f16_e32 v14, v0
	v_mov_b32_e32 v8, v7
	v_pk_fma_f32 v[12:13], v[2:3], v[12:13], 0 op_sel_hi:[0,1,0]
	v_pk_fma_f32 v[12:13], v[6:7], v[14:15], v[12:13] op_sel_hi:[0,1,1]
	v_cvt_f32_f16_sdwa v15, v1 dst_sel:DWORD dst_unused:UNUSED_PAD src0_sel:WORD_1
	v_cvt_f32_f16_e32 v14, v1
	v_pk_fma_f32 v[0:1], v[8:9], v[14:15], v[12:13] op_sel_hi:[0,1,1]
	s_waitcnt lgkmcnt(0)
	v_cvt_f32_f16_sdwa v13, v16 dst_sel:DWORD dst_unused:UNUSED_PAD src0_sel:WORD_1
	v_cvt_f32_f16_e32 v12, v16
	v_pk_fma_f32 v[0:1], v[4:5], v[12:13], v[0:1] op_sel_hi:[0,1,1]
	v_div_scale_f32 v7, s[40:41], v3, v3, v1
	v_rcp_f32_e32 v12, v7
	v_fma_f32 v13, -v7, v12, 1.0
	v_fmac_f32_e32 v12, v13, v12
	v_div_scale_f32 v13, vcc, v1, v3, v1
	v_mul_f32_e32 v14, v13, v12
	v_fma_f32 v15, -v7, v14, v13
	v_fmac_f32_e32 v14, v15, v12
	v_fma_f32 v7, -v7, v14, v13
	v_div_fmas_f32 v7, v7, v12, v14
	v_div_fixup_f32 v1, v7, v3, v1
	v_div_scale_f32 v7, s[40:41], v3, v3, v0
	v_rcp_f32_e32 v12, v7
	v_fma_f32 v13, -v7, v12, 1.0
	v_fmac_f32_e32 v12, v13, v12
	v_div_scale_f32 v13, vcc, v0, v3, v0
	v_mul_f32_e32 v14, v13, v12
	v_fma_f32 v15, -v7, v14, v13
	v_fmac_f32_e32 v14, v15, v12
	v_fma_f32 v7, -v7, v14, v13
	v_div_fmas_f32 v7, v7, v12, v14
	v_div_fixup_f32 v0, v7, v3, v0
	global_store_dwordx2 v[10:11], v[0:1], off
	v_accvgpr_read_b32 v0, a68
	ds_read2st64_b32 v[10:11], v0 offset0:33 offset1:66
	ds_read_b32 v16, v0 offset:25344
	v_cvt_f32_f16_sdwa v13, v9 dst_sel:DWORD dst_unused:UNUSED_PAD src0_sel:WORD_1
	v_cvt_f32_f16_e32 v12, v9
	v_ashrrev_i32_e32 v1, 31, v5
	s_waitcnt lgkmcnt(1)
	v_cvt_f32_f16_sdwa v15, v10 dst_sel:DWORD dst_unused:UNUSED_PAD src0_sel:WORD_1
	v_cvt_f32_f16_e32 v14, v10
	v_pk_fma_f32 v[12:13], v[2:3], v[12:13], 0 op_sel_hi:[0,1,0]
	v_add_co_u32_e32 v0, vcc, v38, v5
	v_pk_fma_f32 v[6:7], v[6:7], v[14:15], v[12:13] op_sel_hi:[0,1,1]
	v_cvt_f32_f16_sdwa v13, v11 dst_sel:DWORD dst_unused:UNUSED_PAD src0_sel:WORD_1
	v_cvt_f32_f16_e32 v12, v11
	v_addc_co_u32_e32 v1, vcc, 0, v1, vcc
	v_lshlrev_b64 v[0:1], 3, v[0:1]
	v_pk_fma_f32 v[6:7], v[8:9], v[12:13], v[6:7] op_sel_hi:[0,1,1]
	s_waitcnt lgkmcnt(0)
	v_cvt_f32_f16_sdwa v9, v16 dst_sel:DWORD dst_unused:UNUSED_PAD src0_sel:WORD_1
	v_cvt_f32_f16_e32 v8, v16
	v_add_co_u32_e32 v0, vcc, s34, v0
	v_mov_b32_e32 v5, s78
	v_addc_co_u32_e32 v1, vcc, v5, v1, vcc
	v_pk_fma_f32 v[4:5], v[4:5], v[8:9], v[6:7] op_sel_hi:[0,1,1]
	v_div_scale_f32 v2, s[40:41], v3, v3, v5
	v_rcp_f32_e32 v6, v2
	v_fma_f32 v7, -v2, v6, 1.0
	v_fmac_f32_e32 v6, v7, v6
	v_div_scale_f32 v7, vcc, v5, v3, v5
	v_mul_f32_e32 v8, v7, v6
	v_fma_f32 v9, -v2, v8, v7
	v_fmac_f32_e32 v8, v9, v6
	v_fma_f32 v2, -v2, v8, v7
	v_div_fmas_f32 v2, v2, v6, v8
	v_div_fixup_f32 v5, v2, v3, v5
	v_div_scale_f32 v2, s[40:41], v3, v3, v4
	v_rcp_f32_e32 v6, v2
	v_fma_f32 v7, -v2, v6, 1.0
	v_fmac_f32_e32 v6, v7, v6
	v_div_scale_f32 v7, vcc, v4, v3, v4
	v_mul_f32_e32 v8, v7, v6
	v_fma_f32 v9, -v2, v8, v7
	v_fmac_f32_e32 v8, v9, v6
	v_fma_f32 v2, -v2, v8, v7
	v_div_fmas_f32 v2, v2, v6, v8
	v_div_fixup_f32 v4, v2, v3, v4
	global_store_dwordx2 v[0:1], v[4:5], off offset:512
	v_mov_b32_e32 v0, 0
.LBB29_265:                             ;   in Loop: Header=BB29_16 Depth=1
	s_or_b64 exec, exec, s[38:39]
	s_movk_i32 s34, 0x47
	v_cmp_gt_i32_e32 vcc, s34, v0
	s_mov_b64 s[38:39], -1
	s_and_saveexec_b64 s[40:41], vcc
; %bb.266:                              ;   in Loop: Header=BB29_16 Depth=1
	v_cmp_eq_u32_e32 vcc, 0, v0
	s_orn2_b64 s[38:39], vcc, exec
; %bb.267:                              ;   in Loop: Header=BB29_16 Depth=1
	s_or_b64 exec, exec, s[40:41]
	s_and_b64 exec, exec, s[38:39]
	s_cbranch_execz .LBB29_14
; %bb.268:                              ;   in Loop: Header=BB29_16 Depth=1
	v_accvgpr_read_b32 v0, a25
	v_add_u32_e32 v0, s65, v0
	v_readlane_b32 s40, v254, 59
	v_cmp_gt_i32_e32 vcc, s40, v0
	v_readlane_b32 s41, v254, 60
	v_readlane_b32 s42, v254, 61
	;; [unrolled: 1-line block ×3, first 2 shown]
	s_and_b64 exec, exec, vcc
	s_cbranch_execz .LBB29_14
; %bb.269:                              ;   in Loop: Header=BB29_16 Depth=1
	v_readlane_b32 s34, v254, 63
	v_mul_lo_u32 v5, s34, v0
	v_accvgpr_read_b32 v0, a69
	v_add_u32_e32 v0, 0, v0
	v_accvgpr_read_b32 v10, a70
	ds_read2_b32 v[2:3], v0 offset0:128 offset1:129
	ds_read2st64_b32 v[6:7], v0 offset0:35 offset1:68
	ds_read_b32 v4, v0 offset:25856
	ds_read2st64_b32 v[8:9], v10 offset1:1
	ds_read2st64_b32 v[0:1], v10 offset0:33 offset1:66
	ds_read_b32 v16, v10 offset:25344
	v_add_u32_e32 v10, v38, v5
	v_ashrrev_i32_e32 v11, 31, v10
	v_lshlrev_b64 v[10:11], 3, v[10:11]
	v_readlane_b32 s34, v255, 21
	v_add_co_u32_e32 v10, vcc, s34, v10
	v_mov_b32_e32 v12, s78
	v_addc_co_u32_e32 v11, vcc, v12, v11, vcc
	s_waitcnt lgkmcnt(2)
	v_cvt_f32_f16_sdwa v13, v8 dst_sel:DWORD dst_unused:UNUSED_PAD src0_sel:WORD_1
	v_cvt_f32_f16_e32 v12, v8
	s_waitcnt lgkmcnt(1)
	v_cvt_f32_f16_sdwa v15, v0 dst_sel:DWORD dst_unused:UNUSED_PAD src0_sel:WORD_1
	v_cvt_f32_f16_e32 v14, v0
	v_mov_b32_e32 v8, v7
	v_pk_fma_f32 v[12:13], v[2:3], v[12:13], 0 op_sel_hi:[0,1,0]
	v_pk_fma_f32 v[12:13], v[6:7], v[14:15], v[12:13] op_sel_hi:[0,1,1]
	v_cvt_f32_f16_sdwa v15, v1 dst_sel:DWORD dst_unused:UNUSED_PAD src0_sel:WORD_1
	v_cvt_f32_f16_e32 v14, v1
	v_pk_fma_f32 v[0:1], v[8:9], v[14:15], v[12:13] op_sel_hi:[0,1,1]
	s_waitcnt lgkmcnt(0)
	v_cvt_f32_f16_sdwa v13, v16 dst_sel:DWORD dst_unused:UNUSED_PAD src0_sel:WORD_1
	v_cvt_f32_f16_e32 v12, v16
	v_pk_fma_f32 v[0:1], v[4:5], v[12:13], v[0:1] op_sel_hi:[0,1,1]
	v_div_scale_f32 v7, s[38:39], v3, v3, v1
	v_rcp_f32_e32 v12, v7
	v_fma_f32 v13, -v7, v12, 1.0
	v_fmac_f32_e32 v12, v13, v12
	v_div_scale_f32 v13, vcc, v1, v3, v1
	v_mul_f32_e32 v14, v13, v12
	v_fma_f32 v15, -v7, v14, v13
	v_fmac_f32_e32 v14, v15, v12
	v_fma_f32 v7, -v7, v14, v13
	v_div_fmas_f32 v7, v7, v12, v14
	v_div_fixup_f32 v1, v7, v3, v1
	v_div_scale_f32 v7, s[38:39], v3, v3, v0
	v_rcp_f32_e32 v12, v7
	v_fma_f32 v13, -v7, v12, 1.0
	v_fmac_f32_e32 v12, v13, v12
	v_div_scale_f32 v13, vcc, v0, v3, v0
	v_mul_f32_e32 v14, v13, v12
	v_fma_f32 v15, -v7, v14, v13
	v_fmac_f32_e32 v14, v15, v12
	v_fma_f32 v7, -v7, v14, v13
	v_div_fmas_f32 v7, v7, v12, v14
	v_div_fixup_f32 v0, v7, v3, v0
	global_store_dwordx2 v[10:11], v[0:1], off
	v_accvgpr_read_b32 v0, a71
	ds_read2st64_b32 v[10:11], v0 offset0:33 offset1:66
	ds_read_b32 v16, v0 offset:25344
	v_cvt_f32_f16_sdwa v13, v9 dst_sel:DWORD dst_unused:UNUSED_PAD src0_sel:WORD_1
	v_cvt_f32_f16_e32 v12, v9
	v_ashrrev_i32_e32 v1, 31, v5
	s_waitcnt lgkmcnt(1)
	v_cvt_f32_f16_sdwa v15, v10 dst_sel:DWORD dst_unused:UNUSED_PAD src0_sel:WORD_1
	v_cvt_f32_f16_e32 v14, v10
	v_pk_fma_f32 v[12:13], v[2:3], v[12:13], 0 op_sel_hi:[0,1,0]
	v_add_co_u32_e32 v0, vcc, v38, v5
	v_pk_fma_f32 v[6:7], v[6:7], v[14:15], v[12:13] op_sel_hi:[0,1,1]
	v_cvt_f32_f16_sdwa v13, v11 dst_sel:DWORD dst_unused:UNUSED_PAD src0_sel:WORD_1
	v_cvt_f32_f16_e32 v12, v11
	v_addc_co_u32_e32 v1, vcc, 0, v1, vcc
	v_lshlrev_b64 v[0:1], 3, v[0:1]
	v_pk_fma_f32 v[6:7], v[8:9], v[12:13], v[6:7] op_sel_hi:[0,1,1]
	s_waitcnt lgkmcnt(0)
	v_cvt_f32_f16_sdwa v9, v16 dst_sel:DWORD dst_unused:UNUSED_PAD src0_sel:WORD_1
	v_cvt_f32_f16_e32 v8, v16
	v_add_co_u32_e32 v0, vcc, s34, v0
	v_mov_b32_e32 v5, s78
	v_addc_co_u32_e32 v1, vcc, v5, v1, vcc
	v_pk_fma_f32 v[4:5], v[4:5], v[8:9], v[6:7] op_sel_hi:[0,1,1]
	v_div_scale_f32 v2, s[38:39], v3, v3, v5
	v_rcp_f32_e32 v6, v2
	v_fma_f32 v7, -v2, v6, 1.0
	v_fmac_f32_e32 v6, v7, v6
	v_div_scale_f32 v7, vcc, v5, v3, v5
	v_mul_f32_e32 v8, v7, v6
	v_fma_f32 v9, -v2, v8, v7
	v_fmac_f32_e32 v8, v9, v6
	v_fma_f32 v2, -v2, v8, v7
	v_div_fmas_f32 v2, v2, v6, v8
	v_div_fixup_f32 v5, v2, v3, v5
	v_div_scale_f32 v2, s[38:39], v3, v3, v4
	v_rcp_f32_e32 v6, v2
	v_fma_f32 v7, -v2, v6, 1.0
	v_fmac_f32_e32 v6, v7, v6
	v_div_scale_f32 v7, vcc, v4, v3, v4
	v_mul_f32_e32 v8, v7, v6
	v_fma_f32 v9, -v2, v8, v7
	v_fmac_f32_e32 v8, v9, v6
	v_fma_f32 v2, -v2, v8, v7
	v_div_fmas_f32 v2, v2, v6, v8
	v_div_fixup_f32 v4, v2, v3, v4
	global_store_dwordx2 v[0:1], v[4:5], off offset:512
	s_branch .LBB29_14
.LBB29_270:
	v_readlane_b32 s48, v254, 26
	v_readlane_b32 s20, v254, 48
	;; [unrolled: 1-line block ×19, first 2 shown]
	v_accvgpr_read_b32 v212, a4
	v_accvgpr_read_b32 v213, a5
	;; [unrolled: 1-line block ×4, first 2 shown]
	v_readlane_b32 s56, v254, 34
	v_readlane_b32 s57, v254, 35
	;; [unrolled: 1-line block ×11, first 2 shown]
	s_andn2_b64 vcc, exec, s[30:31]
	s_cbranch_vccnz .LBB29_12
.LBB29_271:
	v_readlane_b32 s10, v254, 7
	s_abs_i32 s4, s10
	v_cvt_f32_u32_e32 v0, s4
	s_sub_i32 s7, 0, s4
	s_abs_i32 s6, s90
	s_xor_b32 s5, s90, s10
	v_rcp_iflag_f32_e32 v0, v0
	s_ashr_i32 s5, s5, 31
	v_readlane_b32 s14, v254, 6
	v_readlane_b32 s11, v254, 3
	v_mul_f32_e32 v0, 0x4f7ffffe, v0
	v_cvt_u32_f32_e32 v0, v0
	v_readfirstlane_b32 s8, v0
	s_mul_i32 s7, s7, s8
	s_mul_hi_u32 s7, s8, s7
	s_add_i32 s8, s8, s7
	s_mul_hi_u32 s7, s6, s8
	s_mul_i32 s8, s7, s4
	s_sub_i32 s6, s6, s8
	s_add_i32 s9, s7, 1
	s_sub_i32 s8, s6, s4
	s_cmp_ge_u32 s6, s4
	s_cselect_b32 s7, s9, s7
	s_cselect_b32 s6, s8, s6
	s_add_i32 s8, s7, 1
	s_cmp_ge_u32 s6, s4
	s_cselect_b32 s4, s8, s7
	s_abs_i32 s6, s14
	v_cvt_f32_u32_e32 v0, s6
	s_xor_b32 s4, s4, s5
	s_sub_i32 s7, 0, s6
	s_sub_i32 s12, s4, s5
	v_rcp_iflag_f32_e32 v0, v0
	s_mul_i32 s4, s12, s10
	s_sub_i32 s4, s90, s4
	s_abs_i32 s8, s4
	v_mul_f32_e32 v0, 0x4f7ffffe, v0
	v_cvt_u32_f32_e32 v0, v0
	s_xor_b32 s5, s4, s14
	s_ashr_i32 s5, s5, 31
	v_readfirstlane_b32 s9, v0
	s_mul_i32 s7, s7, s9
	s_mul_hi_u32 s7, s9, s7
	s_add_i32 s9, s9, s7
	s_mul_hi_u32 s7, s8, s9
	s_mul_i32 s9, s7, s6
	s_sub_i32 s8, s8, s9
	s_add_i32 s10, s7, 1
	s_sub_i32 s9, s8, s6
	s_cmp_ge_u32 s8, s6
	s_cselect_b32 s7, s10, s7
	s_cselect_b32 s8, s9, s8
	s_add_i32 s9, s7, 1
	s_cmp_ge_u32 s8, s6
	s_cselect_b32 s6, s9, s7
	s_abs_i32 s7, s11
	v_cvt_f32_u32_e32 v0, s7
	s_xor_b32 s6, s6, s5
	s_sub_i32 s8, 0, s7
	s_sub_i32 s13, s6, s5
	v_rcp_iflag_f32_e32 v0, v0
	s_mul_i32 s5, s13, s14
	s_sub_i32 s5, s4, s5
	s_abs_i32 s6, s5
	v_mul_f32_e32 v0, 0x4f7ffffe, v0
	v_cvt_u32_f32_e32 v0, v0
	s_xor_b32 s4, s5, s11
	s_ashr_i32 s4, s4, 31
	v_readfirstlane_b32 s9, v0
	s_mul_i32 s8, s8, s9
	s_mul_hi_u32 s8, s9, s8
	s_add_i32 s9, s9, s8
	s_mul_hi_u32 s8, s6, s9
	s_mul_i32 s9, s8, s7
	s_sub_i32 s6, s6, s9
	s_add_i32 s10, s8, 1
	s_sub_i32 s9, s6, s7
	s_cmp_ge_u32 s6, s7
	s_cselect_b32 s8, s10, s8
	s_cselect_b32 s6, s9, s6
	s_add_i32 s9, s8, 1
	s_cmp_ge_u32 s6, s7
	s_cselect_b32 s6, s9, s8
	s_xor_b32 s6, s6, s4
	s_sub_i32 s4, s6, s4
	s_mul_i32 s6, s4, s11
	s_sub_i32 s5, s5, s6
	s_abs_i32 s16, s5
	s_ashr_i32 s14, s12, 31
	s_mul_hi_u32 s15, s16, s85
	s_cmp_eq_u64 s[54:55], 0
	s_mov_b64 s[8:9], 0
	s_cbranch_scc1 .LBB29_273
; %bb.272:
	s_abs_i32 s6, s18
	v_cvt_f32_u32_e32 v0, s6
	s_sub_i32 s8, 0, s6
	s_abs_i32 s7, s12
	v_readlane_b32 s10, v254, 17
	v_rcp_iflag_f32_e32 v0, v0
	v_readlane_b32 s11, v254, 18
	v_mul_f32_e32 v0, 0x4f7ffffe, v0
	v_cvt_u32_f32_e32 v0, v0
	v_readfirstlane_b32 s9, v0
	s_mul_i32 s8, s8, s9
	s_mul_hi_u32 s8, s9, s8
	s_add_i32 s9, s9, s8
	s_mul_hi_u32 s8, s7, s9
	s_mul_i32 s8, s8, s6
	s_sub_i32 s7, s7, s8
	s_sub_i32 s8, s7, s6
	s_cmp_ge_u32 s7, s6
	s_cselect_b32 s7, s8, s7
	s_sub_i32 s8, s7, s6
	s_cmp_ge_u32 s7, s6
	s_cselect_b32 s6, s8, s7
	s_xor_b32 s6, s6, s14
	s_sub_i32 s6, s6, s14
	s_ashr_i32 s7, s6, 31
	s_mul_i32 s8, s6, s11
	s_mul_hi_u32 s9, s6, s10
	s_add_i32 s8, s9, s8
	s_mul_i32 s7, s7, s10
	s_add_i32 s7, s8, s7
	s_mul_i32 s6, s6, s10
	s_add_u32 s8, s54, s6
	s_addc_u32 s9, s55, s7
.LBB29_273:
	s_ashr_i32 s18, s5, 31
	v_readlane_b32 s5, v254, 2
	s_mul_i32 s17, s13, s5
	s_add_i32 s17, s17, s4
	v_cmp_le_f32_e64 s[4:5], s21, 0
	s_and_b64 vcc, exec, s[4:5]
	v_mov_b32_e32 v44, 1.0
	s_cbranch_vccnz .LBB29_275
; %bb.274:
	v_readlane_b32 s5, v254, 14
	s_sub_i32 s4, s17, s5
	s_lshl_b32 s4, s4, 1
	s_add_i32 s6, s17, 1
	s_or_b32 s7, s4, 1
	s_cmp_lt_u32 s17, s5
	s_cselect_b64 vcc, -1, 0
	s_and_b64 s[4:5], vcc, exec
	v_mov_b32_e32 v0, s23
	v_mov_b32_e32 v1, s22
	s_cselect_b32 s4, s6, s7
	v_cndmask_b32_e32 v16, v0, v1, vcc
	v_cvt_f32_i32_e32 v0, s4
	v_cmp_neq_f32_e32 vcc, 1.0, v16
	s_mov_b32 s4, 0x3f2aaaab
	s_movk_i32 s6, 0x204
	v_cndmask_b32_e32 v17, 1.0, v0, vcc
	v_cmp_eq_f32_e32 vcc, 0, v17
	v_cndmask_b32_e64 v18, |v16|, 1.0, vcc
	v_frexp_mant_f32_e32 v0, v18
	v_cmp_gt_f32_e64 s[4:5], s4, v0
	v_cndmask_b32_e64 v1, 1.0, 2.0, s[4:5]
	v_mul_f32_e32 v0, v0, v1
	v_add_f32_e32 v3, 1.0, v0
	v_rcp_f32_e32 v8, v3
	v_add_f32_e32 v1, -1.0, v3
	v_sub_f32_e32 v5, v0, v1
	v_add_f32_e32 v1, -1.0, v0
	v_mul_f32_e32 v9, v1, v8
	v_mul_f32_e32 v2, v3, v9
	v_fma_f32 v4, v9, v3, -v2
	v_fmac_f32_e32 v4, v9, v5
	v_add_f32_e32 v0, v2, v4
	v_sub_f32_e32 v3, v1, v0
	v_pk_add_f32 v[6:7], v[0:1], v[2:3] neg_lo:[0,1] neg_hi:[0,1]
	v_mov_b32_e32 v5, v0
	v_pk_add_f32 v[0:1], v[6:7], v[4:5] neg_lo:[0,1] neg_hi:[0,1]
	v_add_f32_e32 v0, v0, v1
	v_add_f32_e32 v0, v3, v0
	v_mul_f32_e32 v1, v8, v0
	v_add_f32_e32 v0, v9, v1
	v_sub_f32_e32 v2, v0, v9
	v_sub_f32_e32 v10, v1, v2
	v_mul_f32_e32 v1, v0, v0
	v_fma_f32 v3, v0, v0, -v1
	v_add_f32_e32 v2, v10, v10
	v_fmac_f32_e32 v3, v0, v2
	v_add_f32_e32 v2, v1, v3
	v_mov_b32_e32 v4, 0x3e91f4c4
	v_fmac_f32_e32 v4, 0x3e76c4e1, v2
	v_mov_b32_e32 v5, 0x3ecccdef
	v_fmac_f32_e32 v5, v2, v4
	v_sub_f32_e32 v1, v2, v1
	v_sub_f32_e32 v11, v3, v1
	v_mul_f32_e32 v1, v2, v5
	v_fma_f32 v3, v2, v5, -v1
	v_fmac_f32_e32 v3, v11, v5
	v_add_f32_e32 v4, v1, v3
	v_add_f32_e32 v5, 0x3f2aaaaa, v4
	v_sub_f32_e32 v1, v4, v1
	v_sub_f32_e32 v1, v3, v1
	v_add_f32_e32 v3, 0xbf2aaaaa, v5
	v_add_f32_e32 v1, 0x31739010, v1
	v_sub_f32_e32 v3, v4, v3
	v_pk_mul_f32 v[6:7], v[0:1], v[2:3]
	v_fma_f32 v4, v2, v0, -v6
	v_pk_add_f32 v[8:9], v[0:1], v[2:3]
	v_fmac_f32_e32 v4, v2, v10
	v_mov_b32_e32 v7, v9
	v_fmac_f32_e32 v4, v11, v0
	v_pk_add_f32 v[2:3], v[6:7], v[4:5]
	v_sub_f32_e32 v1, v2, v6
	v_sub_f32_e32 v1, v4, v1
	;; [unrolled: 1-line block ×3, first 2 shown]
	v_add_f32_e32 v7, v9, v4
	v_mov_b32_e32 v4, v3
	v_pk_mul_f32 v[4:5], v[2:3], v[4:5]
	v_cvt_f64_f32_e32 v[8:9], v18
	v_frexp_exp_i32_f64_e32 v5, v[8:9]
	v_subbrev_co_u32_e64 v5, s[4:5], 0, v5, s[4:5]
	v_cvt_f32_i32_e32 v5, v5
	v_fma_f32 v6, v2, v3, -v4
	v_fmac_f32_e32 v6, v2, v7
	s_mov_b32 s4, 0x3f317218
	v_mul_f32_e32 v2, 0x3f317218, v5
	v_fmac_f32_e32 v6, v1, v3
	v_fma_f32 v8, v5, s4, -v2
	v_fmac_f32_e32 v8, 0xb102e308, v5
	v_ldexp_f32 v9, v0, 1
	v_add_f32_e32 v3, v4, v6
	v_pk_add_f32 v[0:1], v[2:3], v[8:9]
	v_ldexp_f32 v12, v10, 1
	v_mov_b32_e32 v10, v3
	v_mov_b32_e32 v11, v1
	v_mov_b32_e32 v5, v9
	v_pk_add_f32 v[4:5], v[10:11], v[4:5] neg_lo:[0,1] neg_hi:[0,1]
	v_mov_b32_e32 v7, v3
	v_pk_add_f32 v[4:5], v[6:7], v[4:5] neg_lo:[0,1] neg_hi:[0,1]
	v_add_f32_e32 v3, v12, v4
	v_add_f32_e32 v3, v3, v5
	v_pk_add_f32 v[4:5], v[0:1], v[2:3] neg_lo:[0,1] neg_hi:[0,1]
	v_pk_add_f32 v[6:7], v[0:1], v[2:3]
	v_mov_b32_e32 v10, v4
	v_mov_b32_e32 v11, v7
	;; [unrolled: 1-line block ×3, first 2 shown]
	v_pk_add_f32 v[10:11], v[8:9], v[10:11]
	v_mov_b32_e32 v2, v11
	v_pk_add_f32 v[12:13], v[2:3], v[0:1] neg_lo:[0,1] neg_hi:[0,1]
	v_mov_b32_e32 v13, v12
	v_mov_b32_e32 v10, v7
	;; [unrolled: 1-line block ×4, first 2 shown]
	v_pk_add_f32 v[4:5], v[8:9], v[4:5] neg_lo:[0,1] neg_hi:[0,1]
	v_pk_add_f32 v[14:15], v[6:7], v[12:13] neg_lo:[0,1] neg_hi:[0,1]
	;; [unrolled: 1-line block ×3, first 2 shown]
	v_mov_b32_e32 v8, v3
	v_pk_add_f32 v[0:1], v[8:9], v[0:1] neg_lo:[0,1] neg_hi:[0,1]
	v_mov_b32_e32 v14, v4
	v_pk_add_f32 v[6:7], v[14:15], v[0:1]
	v_mov_b32_e32 v8, v7
	v_pk_add_f32 v[8:9], v[6:7], v[8:9]
	v_pk_add_f32 v[2:3], v[2:3], v[8:9]
	v_mov_b32_e32 v5, v11
	v_mov_b32_e32 v7, v2
	v_pk_add_f32 v[10:11], v[6:7], v[4:5] neg_lo:[0,1] neg_hi:[0,1]
	v_mov_b32_e32 v1, v8
	v_sub_f32_e32 v3, v6, v10
	v_pk_add_f32 v[0:1], v[0:1], v[10:11] neg_lo:[0,1] neg_hi:[0,1]
	v_sub_f32_e32 v3, v4, v3
	v_add_f32_e32 v0, v0, v3
	v_add_f32_e32 v0, v0, v1
	;; [unrolled: 1-line block ×3, first 2 shown]
	v_sub_f32_e32 v2, v1, v2
	v_sub_f32_e32 v0, v0, v2
	v_mul_f32_e32 v2, v17, v1
	v_fma_f32 v1, v17, v1, -v2
	v_fmac_f32_e32 v1, v17, v0
	v_add_f32_e32 v0, v2, v1
	v_cmp_class_f32_e64 s[4:5], v2, s6
	v_sub_f32_e32 v3, v0, v2
	v_cndmask_b32_e64 v0, v0, v2, s[4:5]
	s_mov_b32 s10, 0x42b17218
	v_mov_b32_e32 v2, 0x37000000
	v_cmp_eq_f32_e64 s[4:5], s10, v0
	v_cndmask_b32_e64 v2, 0, v2, s[4:5]
	v_sub_f32_e32 v1, v1, v3
	v_sub_f32_e32 v3, v0, v2
	s_mov_b32 s4, 0x3fb8aa3b
	v_mul_f32_e32 v4, 0x3fb8aa3b, v3
	v_fma_f32 v5, v3, s4, -v4
	v_rndne_f32_e32 v6, v4
	v_fmac_f32_e32 v5, 0x32a5705f, v3
	v_sub_f32_e32 v4, v4, v6
	v_add_f32_e32 v4, v4, v5
	v_exp_f32_e32 v4, v4
	v_cvt_i32_f32_e32 v5, v6
	s_mov_b32 s7, 0x7f800000
	v_cmp_neq_f32_e64 s[4:5], |v0|, s7
	v_cndmask_b32_e64 v0, 0, v1, s[4:5]
	s_mov_b32 s4, 0xc2ce8ed0
	v_ldexp_f32 v1, v4, v5
	v_cmp_ngt_f32_e64 s[4:5], s4, v3
	v_add_f32_e32 v0, v2, v0
	v_cndmask_b32_e64 v1, 0, v1, s[4:5]
	v_mov_b32_e32 v2, 0x7f800000
	v_cmp_nlt_f32_e64 s[4:5], s10, v3
	v_cndmask_b32_e64 v1, v2, v1, s[4:5]
	v_fma_f32 v0, v1, v0, v1
	v_cmp_class_f32_e64 s[4:5], v1, s6
	v_trunc_f32_e32 v3, v17
	v_cndmask_b32_e64 v0, v0, v1, s[4:5]
	v_cndmask_b32_e64 v1, v16, 1.0, vcc
	v_cmp_eq_f32_e32 vcc, v3, v17
	v_mul_f32_e32 v3, 0.5, v17
	v_trunc_f32_e32 v5, v3
	v_cmp_neq_f32_e64 s[4:5], v5, v3
	s_and_b64 s[4:5], vcc, s[4:5]
	v_cndmask_b32_e64 v3, 1.0, v1, s[4:5]
	s_brev_b32 s19, -2
	v_mov_b32_e32 v4, 0x7fc00000
	v_bfi_b32 v0, s19, v0, v3
	v_cndmask_b32_e32 v3, v4, v0, vcc
	v_cmp_gt_f32_e32 vcc, 0, v1
	v_cndmask_b32_e32 v0, v0, v3, vcc
	v_cmp_eq_f32_e32 vcc, s7, v18
	v_cmp_eq_f32_e64 s[6:7], 0, v1
	v_cmp_gt_f32_e64 s[10:11], 0, v17
	s_xor_b64 s[10:11], s[10:11], s[6:7]
	v_cndmask_b32_e64 v2, v2, 0, s[10:11]
	v_cndmask_b32_e64 v3, 0, v1, s[4:5]
	v_bfi_b32 v2, s19, v2, v3
	s_or_b64 vcc, vcc, s[6:7]
	v_cndmask_b32_e32 v0, v0, v2, vcc
	v_cmp_o_f32_e32 vcc, v1, v1
	v_cndmask_b32_e32 v44, v4, v0, vcc
.LBB29_275:
	s_mul_i32 s5, s15, s86
	v_readlane_b32 s4, v254, 25
	s_sub_i32 s5, s16, s5
	s_xor_b32 s4, s18, s4
	s_add_i32 s6, s15, 1
	s_sub_i32 s7, s5, s86
	s_cmp_ge_u32 s5, s86
	s_cselect_b32 s6, s6, s15
	s_cselect_b32 s5, s7, s5
	s_add_i32 s7, s6, 1
	s_cmp_ge_u32 s5, s86
	s_cselect_b32 s5, s7, s6
	s_xor_b32 s5, s5, s4
	s_sub_i32 s4, s5, s4
	s_cmp_eq_u64 s[58:59], 0
	v_mov_b32_e32 v32, s79
	s_cbranch_scc1 .LBB29_277
; %bb.276:
	v_readlane_b32 s5, v254, 0
	s_mul_i32 s5, s12, s5
	s_add_i32 s6, s4, s5
	s_ashr_i32 s7, s6, 31
	s_lshl_b64 s[6:7], s[6:7], 2
	s_add_u32 s6, s58, s6
	s_addc_u32 s7, s59, s7
	v_mov_b32_e32 v0, 0
	global_load_dword v0, v0, s[6:7]
	s_waitcnt vmcnt(0)
	v_ashrrev_i32_e32 v1, 31, v0
	v_lshrrev_b32_e32 v1, 26, v1
	v_add_u32_e32 v0, v0, v1
	v_ashrrev_i32_e32 v0, 6, v0
	v_min_i32_e32 v32, s79, v0
.LBB29_277:
	v_readlane_b32 s10, v254, 8
	v_readlane_b32 s11, v254, 9
	s_mul_i32 s5, s12, s11
	s_ashr_i32 s6, s5, 31
	s_add_u32 s5, s48, s5
	s_mul_i32 s17, s17, s10
	s_addc_u32 s7, s49, s6
	s_ashr_i32 s10, s17, 31
	s_add_u32 s6, s5, s17
	s_addc_u32 s7, s7, s10
	s_lshl_b32 s10, s4, 4
	v_add_u32_e32 v131, s10, v115
	v_and_b32_e32 v64, 0x3ff, v19
	v_cmp_le_i32_e32 vcc, s68, v131
	s_and_saveexec_b64 s[4:5], vcc
	s_xor_b64 s[4:5], exec, s[4:5]
	s_cbranch_execz .LBB29_279
; %bb.278:
	s_movk_i32 s11, 0x84
	v_mad_u32_u24 v0, v115, s11, v64
	v_lshl_add_u32 v0, v0, 2, 0
	v_mov_b32_e32 v1, 0
	ds_write2st64_b32 v0, v1, v1 offset1:1
.LBB29_279:
	s_andn2_saveexec_b64 s[4:5], s[4:5]
	s_cbranch_execz .LBB29_281
; %bb.280:
	v_mad_u64_u32 v[0:1], s[16:17], v131, s84, v[64:65]
	v_ashrrev_i32_e32 v1, 31, v0
	v_lshlrev_b64 v[0:1], 3, v[0:1]
	v_mov_b32_e32 v2, s7
	v_add_co_u32_e32 v0, vcc, s6, v0
	v_addc_co_u32_e32 v1, vcc, v2, v1, vcc
	global_load_dwordx2 v[2:3], v[0:1], off
	global_load_dwordx2 v[4:5], v[0:1], off offset:512
	s_movk_i32 s11, 0x84
	s_waitcnt vmcnt(1)
	v_cvt_f16_f32_e32 v0, v2
	v_cvt_f16_f32_e32 v1, v3
	s_waitcnt vmcnt(0)
	v_cvt_f16_f32_e32 v2, v4
	v_cvt_f16_f32_e32 v3, v5
	v_mad_u32_u24 v4, v115, s11, v64
	v_pack_b32_f16 v0, v0, v1
	v_lshl_add_u32 v4, v4, 2, 0
	v_pack_b32_f16 v1, v2, v3
	v_pk_mul_f16 v0, v123, v0
	v_pk_mul_f16 v1, v123, v1
	ds_write2st64_b32 v4, v0, v1 offset1:1
.LBB29_281:
	s_or_b64 exec, exec, s[4:5]
	v_add_u32_e32 v132, s10, v126
	v_cmp_le_i32_e32 vcc, s68, v132
	s_and_saveexec_b64 s[4:5], vcc
	s_xor_b64 s[4:5], exec, s[4:5]
	s_cbranch_execz .LBB29_283
; %bb.282:
	s_movk_i32 s11, 0x84
	v_mad_u32_u24 v0, v126, s11, v64
	v_lshl_add_u32 v0, v0, 2, 0
	v_mov_b32_e32 v1, 0
	ds_write2st64_b32 v0, v1, v1 offset1:1
                                        ; implicit-def: $vgpr126
.LBB29_283:
	s_andn2_saveexec_b64 s[4:5], s[4:5]
	s_cbranch_execz .LBB29_285
; %bb.284:
	v_mad_u64_u32 v[0:1], s[16:17], v132, s84, v[64:65]
	v_ashrrev_i32_e32 v1, 31, v0
	v_lshlrev_b64 v[0:1], 3, v[0:1]
	v_mov_b32_e32 v2, s7
	v_add_co_u32_e32 v0, vcc, s6, v0
	v_addc_co_u32_e32 v1, vcc, v2, v1, vcc
	global_load_dwordx2 v[2:3], v[0:1], off
	global_load_dwordx2 v[4:5], v[0:1], off offset:512
	s_movk_i32 s11, 0x84
	s_waitcnt vmcnt(1)
	v_cvt_f16_f32_e32 v0, v2
	v_cvt_f16_f32_e32 v1, v3
	s_waitcnt vmcnt(0)
	v_cvt_f16_f32_e32 v2, v4
	v_cvt_f16_f32_e32 v3, v5
	v_mad_u32_u24 v4, v126, s11, v64
	v_pack_b32_f16 v0, v0, v1
	v_lshl_add_u32 v4, v4, 2, 0
	v_pack_b32_f16 v1, v2, v3
	v_pk_mul_f16 v0, v123, v0
	v_pk_mul_f16 v1, v123, v1
	ds_write2st64_b32 v4, v0, v1 offset1:1
.LBB29_285:
	s_or_b64 exec, exec, s[4:5]
	v_add_u32_e32 v133, s10, v125
	v_cmp_le_i32_e32 vcc, s68, v133
	s_and_saveexec_b64 s[4:5], vcc
	s_xor_b64 s[4:5], exec, s[4:5]
	s_cbranch_execz .LBB29_287
; %bb.286:
	s_movk_i32 s11, 0x84
	v_mad_u32_u24 v0, v125, s11, v64
	v_lshl_add_u32 v0, v0, 2, 0
	v_mov_b32_e32 v1, 0
	ds_write2st64_b32 v0, v1, v1 offset1:1
                                        ; implicit-def: $vgpr125
.LBB29_287:
	s_andn2_saveexec_b64 s[4:5], s[4:5]
	s_cbranch_execz .LBB29_289
; %bb.288:
	v_mad_u64_u32 v[0:1], s[16:17], v133, s84, v[64:65]
	v_ashrrev_i32_e32 v1, 31, v0
	v_lshlrev_b64 v[0:1], 3, v[0:1]
	v_mov_b32_e32 v2, s7
	v_add_co_u32_e32 v0, vcc, s6, v0
	v_addc_co_u32_e32 v1, vcc, v2, v1, vcc
	global_load_dwordx2 v[2:3], v[0:1], off
	global_load_dwordx2 v[4:5], v[0:1], off offset:512
	s_movk_i32 s11, 0x84
	s_waitcnt vmcnt(1)
	v_cvt_f16_f32_e32 v0, v2
	v_cvt_f16_f32_e32 v1, v3
	s_waitcnt vmcnt(0)
	v_cvt_f16_f32_e32 v2, v4
	v_cvt_f16_f32_e32 v3, v5
	v_mad_u32_u24 v4, v125, s11, v64
	v_pack_b32_f16 v0, v0, v1
	v_lshl_add_u32 v4, v4, 2, 0
	v_pack_b32_f16 v1, v2, v3
	v_pk_mul_f16 v0, v123, v0
	v_pk_mul_f16 v1, v123, v1
	ds_write2st64_b32 v4, v0, v1 offset1:1
.LBB29_289:
	s_or_b64 exec, exec, s[4:5]
	v_add_u32_e32 v134, s10, v124
	v_cmp_le_i32_e32 vcc, s68, v134
	s_and_saveexec_b64 s[4:5], vcc
	s_xor_b64 s[4:5], exec, s[4:5]
	s_cbranch_execz .LBB29_291
; %bb.290:
	s_movk_i32 s10, 0x84
	v_mad_u32_u24 v0, v124, s10, v64
	v_lshl_add_u32 v0, v0, 2, 0
	v_mov_b32_e32 v1, 0
	ds_write2st64_b32 v0, v1, v1 offset1:1
                                        ; implicit-def: $vgpr123
                                        ; implicit-def: $vgpr124
.LBB29_291:
	s_andn2_saveexec_b64 s[4:5], s[4:5]
	s_cbranch_execz .LBB29_293
; %bb.292:
	v_mad_u64_u32 v[0:1], s[10:11], v134, s84, v[64:65]
	v_ashrrev_i32_e32 v1, 31, v0
	v_lshlrev_b64 v[0:1], 3, v[0:1]
	v_mov_b32_e32 v2, s7
	v_add_co_u32_e32 v0, vcc, s6, v0
	v_addc_co_u32_e32 v1, vcc, v2, v1, vcc
	global_load_dwordx2 v[2:3], v[0:1], off
	global_load_dwordx2 v[4:5], v[0:1], off offset:512
	s_movk_i32 s6, 0x84
	s_waitcnt vmcnt(1)
	v_cvt_f16_f32_e32 v0, v2
	v_cvt_f16_f32_e32 v1, v3
	s_waitcnt vmcnt(0)
	v_cvt_f16_f32_e32 v2, v4
	v_cvt_f16_f32_e32 v3, v5
	v_mad_u32_u24 v4, v124, s6, v64
	v_pack_b32_f16 v0, v0, v1
	v_lshl_add_u32 v4, v4, 2, 0
	v_pack_b32_f16 v1, v2, v3
	v_pk_mul_f16 v0, v123, v0
	v_pk_mul_f16 v1, v123, v1
	ds_write2st64_b32 v4, v0, v1 offset1:1
.LBB29_293:
	s_or_b64 exec, exec, s[4:5]
	v_readlane_b32 s6, v254, 15
	v_lshrrev_b32_e32 v1, 3, v64
	v_readlane_b32 s7, v254, 16
	v_and_b32_e32 v33, 0xff0, v213
	s_movk_i32 s22, 0x210
	v_and_b32_e32 v90, 15, v64
	v_and_b32_e32 v91, 0x7e, v1
	s_mul_i32 s4, s12, s7
	s_mul_hi_u32 s5, s12, s6
	v_mad_u32_u24 v0, v33, s22, 0
	v_mul_u32_u24_e32 v107, 0x210, v90
	v_lshlrev_b32_e32 v111, 2, v91
	s_add_i32 s4, s5, s4
	s_mul_i32 s5, s14, s6
	v_readlane_b32 s16, v254, 21
	v_add3_u32 v0, v0, v107, v111
	s_add_i32 s4, s4, s5
	s_mul_i32 s5, s12, s6
	v_readlane_b32 s19, v254, 24
	s_waitcnt lgkmcnt(0)
	s_barrier
	ds_read2_b64 v[28:31], v0 offset1:4
	ds_read2_b64 v[24:27], v0 offset0:8 offset1:12
	ds_read2_b64 v[20:23], v0 offset0:16 offset1:20
	;; [unrolled: 1-line block ×7, first 2 shown]
	s_add_u32 s5, s52, s5
	s_mul_i32 s6, s13, s19
	s_addc_u32 s4, s53, s4
	s_ashr_i32 s7, s6, 31
	v_readlane_b32 s17, v254, 22
	s_add_u32 s33, s5, s6
	s_addc_u32 s44, s4, s7
	s_mul_i32 s4, s12, s17
	s_mul_hi_u32 s5, s12, s16
	s_add_i32 s4, s5, s4
	s_mul_i32 s14, s14, s16
	v_readlane_b32 s6, v254, 19
	s_add_i32 s4, s4, s14
	s_mul_i32 s12, s12, s16
	v_readlane_b32 s7, v254, 20
	s_add_u32 s5, s50, s12
	s_mul_i32 s13, s13, s7
	s_addc_u32 s4, s51, s4
	s_ashr_i32 s6, s13, 31
	v_add_u32_e32 v137, -1, v32
	s_add_u32 s45, s5, s13
	v_cmp_ge_i32_e32 vcc, s46, v137
	s_addc_u32 s47, s4, s6
	s_mov_b32 s48, 0
	s_and_b64 vcc, exec, vcc
	v_mov_b32_e32 v117, 0
	v_or_b32_e32 v95, v33, v90
	v_lshlrev_b32_e32 v136, 1, v64
	v_mbcnt_lo_u32_b32 v94, -1, 0
	v_lshrrev_b32_e32 v135, 5, v64
	v_lshlrev_b32_e32 v65, 2, v64
	v_lshrrev_b32_e32 v93, 2, v64
	v_lshlrev_b32_e32 v92, 1, v90
	v_readlane_b32 s18, v254, 23
	s_waitcnt lgkmcnt(0)
	s_barrier
	s_cbranch_vccnz .LBB29_303
; %bb.294:
	v_mbcnt_hi_u32_b32 v40, -1, v94
	v_mov_b32_e32 v32, s9
	v_add_co_u32_e32 v139, vcc, s8, v136
	v_and_b32_e32 v41, 64, v40
	v_addc_co_u32_e32 v140, vcc, 0, v32, vcc
	v_add_u32_e32 v41, 64, v41
	v_xor_b32_e32 v42, 32, v40
	v_cmp_lt_i32_e32 vcc, v42, v41
	v_cndmask_b32_e32 v42, v40, v42, vcc
	v_lshlrev_b32_e32 v145, 2, v42
	v_xor_b32_e32 v42, 16, v40
	v_cmp_lt_i32_e32 vcc, v42, v41
	v_cndmask_b32_e32 v40, v40, v42, vcc
	v_lshlrev_b32_e32 v146, 2, v40
	v_lshl_add_u32 v41, v115, 1, v135
	v_and_b32_e32 v40, 0x7c, v65
	s_cmp_lg_u64 s[8:9], 0
	v_mul_u32_u24_e32 v42, 0x210, v41
	v_lshlrev_b32_e32 v43, 2, v40
	s_cselect_b64 s[36:37], -1, 0
	v_readlane_b32 s10, v254, 10
	v_mul_u32_u24_e32 v34, 0x90, v115
	v_add3_u32 v147, 0, v42, v43
	v_mul_lo_u32 v42, s96, v41
	s_lshl_b32 s23, s96, 3
	v_mul_lo_u32 v74, s82, v41
	s_lshl_b32 s30, s82, 3
	v_mul_hi_u32 v32, s10, v131
	v_add3_u32 v141, 0, v34, v136
	v_mul_hi_u32 v34, s10, v132
	v_mul_hi_u32 v36, s10, v133
	v_mul_hi_u32 v38, s10, v134
	v_add_u32_e32 v58, s23, v42
	v_add_u32_e32 v76, s30, v74
	v_readlane_b32 s11, v254, 11
	v_add_u32_e32 v32, v131, v32
	v_add_u32_e32 v34, v132, v34
	;; [unrolled: 1-line block ×6, first 2 shown]
	v_lshrrev_b32_e32 v32, s11, v32
	v_lshrrev_b32_e32 v34, s11, v34
	;; [unrolled: 1-line block ×4, first 2 shown]
	v_add_u32_e32 v62, s23, v60
	v_add_u32_e32 v80, s30, v78
	v_mul_lo_u32 v32, v32, s68
	v_mul_lo_u32 v34, v34, s68
	;; [unrolled: 1-line block ×4, first 2 shown]
	v_add_u32_e32 v66, s23, v62
	v_and_b32_e32 v45, 48, v212
	v_and_b32_e32 v47, 0xfc, v93
	v_add_u32_e32 v82, s30, v80
	v_sub_u32_e32 v32, v131, v32
	v_sub_u32_e32 v34, v132, v34
	;; [unrolled: 1-line block ×4, first 2 shown]
	v_add_u32_e32 v68, s23, v66
	v_mad_u32_u24 v46, v45, s22, 0
	v_add_u32_e32 v48, v45, v47
	v_add_u16_e32 v45, v45, v47
	v_add_u32_e32 v84, s30, v82
	v_mad_i64_i32 v[32:33], s[6:7], v32, s66, 0
	v_mad_i64_i32 v[34:35], s[6:7], v34, s66, 0
	;; [unrolled: 1-line block ×4, first 2 shown]
	v_add_u32_e32 v70, s23, v68
	v_lshrrev_b16_e32 v45, 1, v45
	v_add_u32_e32 v86, s30, v84
	v_cmp_gt_u32_e64 s[6:7], 64, v41
	v_cmp_gt_u32_e64 s[34:35], 56, v41
	v_cmp_gt_u32_e64 s[10:11], 48, v41
	v_cmp_gt_u32_e64 s[12:13], 40, v41
	v_cmp_gt_u32_e64 s[14:15], 32, v41
	v_cmp_gt_u32_e64 s[16:17], 24, v41
	v_cmp_gt_u32_e64 s[18:19], 16, v41
	v_cmp_gt_u32_e64 s[20:21], 8, v41
	v_add_u32_e32 v72, s23, v70
	v_mul_u32_u24_e32 v49, 0x90, v95
	v_lshlrev_b32_e32 v45, 2, v45
	v_cmp_gt_u32_e64 s[22:23], 64, v48
	v_cmp_gt_u32_e64 s[24:25], 63, v48
	v_cmp_gt_u32_e64 s[26:27], 62, v48
	v_cmp_gt_u32_e64 s[28:29], 61, v48
	v_add_u32_e32 v88, s30, v86
	v_mul_u32_u24_e32 v41, 0x108, v47
	v_mul_u32_u24_e32 v47, 0x210, v47
	v_or_b32_e32 v48, 3, v93
	s_mov_b64 s[38:39], src_private_base
	v_ashrrev_i32_e32 v43, 31, v42
	v_ashrrev_i32_e32 v59, 31, v58
	;; [unrolled: 1-line block ×8, first 2 shown]
	v_add3_u32 v45, 0, v49, v45
	v_ashrrev_i32_e32 v75, 31, v74
	v_ashrrev_i32_e32 v77, 31, v76
	;; [unrolled: 1-line block ×8, first 2 shown]
	v_or_b32_e32 v41, v41, v90
	v_mul_u32_u24_e32 v48, 0x210, v48
	v_add3_u32 v157, v46, v47, v92
	v_cmp_gt_u32_e64 s[4:5], 64, v64
	v_mov_b32_e32 v138, 0
	v_add_u32_e32 v142, 0x240, v141
	v_add_u32_e32 v143, 0x480, v141
	;; [unrolled: 1-line block ×3, first 2 shown]
	s_mov_b32 s38, 0
	v_add_u32_e32 v148, 0x1080, v147
	v_add_u32_e32 v149, 0x2100, v147
	;; [unrolled: 1-line block ×7, first 2 shown]
	v_add3_u32 v155, v46, v107, v111
	v_lshl_add_u32 v156, v41, 1, v46
	v_add3_u32 v158, v46, v48, v92
	v_add_u32_e32 v159, 32, v157
	v_add_u32_e32 v160, 64, v157
	;; [unrolled: 1-line block ×15, first 2 shown]
	v_mov_b32_e32 v46, v44
	v_mov_b32_e32 v47, v44
	s_lshl_b32 s40, s46, 6
	v_mov_b32_e32 v178, 0xfeffffff
	v_lshlrev_b64 v[48:49], 1, v[32:33]
	v_lshlrev_b64 v[50:51], 1, v[34:35]
	;; [unrolled: 1-line block ×5, first 2 shown]
	v_lshlrev_b32_e32 v174, 2, v40
	v_lshlrev_b64 v[58:59], 2, v[58:59]
	v_lshlrev_b64 v[60:61], 2, v[60:61]
	v_lshlrev_b64 v[62:63], 2, v[62:63]
	v_lshlrev_b64 v[66:67], 2, v[66:67]
	v_lshlrev_b64 v[68:69], 2, v[68:69]
	v_lshlrev_b64 v[70:71], 2, v[70:71]
	v_lshlrev_b64 v[72:73], 2, v[72:73]
	v_add_u32_e32 v175, 0x8400, v45
	s_mov_b32 s49, 0x3fb8aa3b
	s_mov_b32 s50, 0xc2ce8ed0
	;; [unrolled: 1-line block ×4, first 2 shown]
	v_lshlrev_b64 v[74:75], 2, v[74:75]
	v_lshlrev_b64 v[76:77], 2, v[76:77]
	;; [unrolled: 1-line block ×8, first 2 shown]
	s_mov_b32 s53, 0x5040100
	v_mov_b32_e32 v176, 0x7f800000
	v_mov_b32_e32 v177, 0
	;; [unrolled: 1-line block ×34, first 2 shown]
.LBB29_295:                             ; =>This Inner Loop Header: Depth=1
	v_cndmask_b32_e64 v32, 0, 1, s[36:37]
	v_cmp_ne_u32_e64 s[30:31], 1, v32
	s_andn2_b64 vcc, exec, s[36:37]
	s_ashr_i32 s41, s40, 31
	s_cbranch_vccnz .LBB29_299
; %bb.296:                              ;   in Loop: Header=BB29_295 Depth=1
	v_mov_b32_e32 v32, 0
	v_mov_b32_e32 v33, 0
	;; [unrolled: 1-line block ×4, first 2 shown]
	s_and_saveexec_b64 s[42:43], s[4:5]
	s_cbranch_execz .LBB29_298
; %bb.297:                              ;   in Loop: Header=BB29_295 Depth=1
	s_lshl_b64 s[54:55], s[40:41], 1
	v_mov_b32_e32 v32, s55
	v_add_co_u32_e32 v38, vcc, s54, v139
	v_addc_co_u32_e32 v39, vcc, v140, v32, vcc
	v_add_co_u32_e32 v32, vcc, v38, v48
	v_addc_co_u32_e32 v33, vcc, v39, v49, vcc
	v_add_co_u32_e32 v34, vcc, v38, v50
	v_addc_co_u32_e32 v35, vcc, v39, v51, vcc
	v_add_co_u32_e32 v36, vcc, v38, v52
	v_addc_co_u32_e32 v37, vcc, v39, v53, vcc
	v_add_co_u32_e32 v38, vcc, v38, v54
	v_addc_co_u32_e32 v39, vcc, v39, v55, vcc
	flat_load_ushort v32, v[32:33]
	s_nop 0
	flat_load_ushort v33, v[34:35]
	s_nop 0
	flat_load_ushort v34, v[36:37]
	flat_load_ushort v35, v[38:39]
.LBB29_298:                             ;   in Loop: Header=BB29_295 Depth=1
	s_or_b64 exec, exec, s[42:43]
	s_waitcnt vmcnt(0) lgkmcnt(0)
	ds_write_b16 v141, v32 offset:33792
	ds_write_b16 v142, v33 offset:33792
	;; [unrolled: 1-line block ×4, first 2 shown]
.LBB29_299:                             ;   in Loop: Header=BB29_295 Depth=1
	s_mul_hi_i32 s43, s40, s96
	s_mul_i32 s42, s40, s96
	s_lshl_b64 s[42:43], s[42:43], 2
	s_add_u32 s41, s45, s42
	s_addc_u32 s42, s47, s43
	v_mov_b32_e32 v32, s42
	v_add_co_u32_e32 v33, vcc, s41, v56
	v_addc_co_u32_e32 v32, vcc, v32, v57, vcc
	v_add_co_u32_e32 v34, vcc, v33, v174
	v_addc_co_u32_e32 v32, vcc, 0, v32, vcc
	v_mov_b32_e32 v38, s39
	v_mov_b32_e32 v39, s38
	buffer_store_dword v138, off, s[0:3], 0
	buffer_store_dword v138, off, s[0:3], 0 offset:4
	buffer_store_dword v138, off, s[0:3], 0 offset:8
	buffer_store_dword v138, off, s[0:3], 0 offset:12
	v_cndmask_b32_e64 v33, v38, v32, s[6:7]
	v_cndmask_b32_e64 v32, v39, v34, s[6:7]
	flat_load_dwordx4 v[32:35], v[32:33]
	v_mov_b32_e32 v36, s42
	v_add_co_u32_e32 v37, vcc, s41, v58
	v_addc_co_u32_e32 v36, vcc, v36, v59, vcc
	v_add_co_u32_e32 v37, vcc, v37, v174
	v_addc_co_u32_e32 v40, vcc, 0, v36, vcc
	v_cndmask_b32_e64 v36, v39, v37, s[34:35]
	v_cndmask_b32_e64 v37, v38, v40, s[34:35]
	s_waitcnt vmcnt(0) lgkmcnt(0)
	ds_write_b128 v147, v[32:35]
	flat_load_dwordx4 v[32:35], v[36:37]
	v_mov_b32_e32 v36, s42
	v_add_co_u32_e32 v37, vcc, s41, v60
	v_addc_co_u32_e32 v36, vcc, v36, v61, vcc
	v_add_co_u32_e32 v37, vcc, v37, v174
	v_addc_co_u32_e32 v40, vcc, 0, v36, vcc
	v_cndmask_b32_e64 v36, v39, v37, s[10:11]
	v_cndmask_b32_e64 v37, v38, v40, s[10:11]
	s_waitcnt vmcnt(0) lgkmcnt(0)
	ds_write_b128 v148, v[32:35]
	;; [unrolled: 10-line block ×6, first 2 shown]
	flat_load_dwordx4 v[32:35], v[36:37]
	v_mov_b32_e32 v36, s42
	v_add_co_u32_e32 v37, vcc, s41, v72
	v_addc_co_u32_e32 v36, vcc, v36, v73, vcc
	v_add_co_u32_e32 v37, vcc, v37, v174
	v_addc_co_u32_e32 v40, vcc, 0, v36, vcc
	v_cndmask_b32_e64 v36, v39, v37, s[20:21]
	v_cndmask_b32_e64 v37, v38, v40, s[20:21]
	s_and_b64 vcc, exec, s[30:31]
	s_waitcnt vmcnt(0) lgkmcnt(0)
	ds_write_b128 v153, v[32:35]
	flat_load_dwordx4 v[32:35], v[36:37]
	s_waitcnt vmcnt(0) lgkmcnt(0)
	ds_write_b128 v154, v[32:35]
	s_waitcnt lgkmcnt(0)
	s_barrier
	ds_read2_b64 v[32:35], v155 offset1:4
	s_waitcnt lgkmcnt(0)
	v_mfma_f32_16x16x16f16 a[0:3], v[32:33], v[28:29], 0
	v_mfma_f32_16x16x16f16 a[0:3], v[34:35], v[30:31], a[0:3]
	ds_read2_b64 v[32:35], v155 offset0:8 offset1:12
	s_waitcnt lgkmcnt(0)
	v_mfma_f32_16x16x16f16 a[0:3], v[32:33], v[24:25], a[0:3]
	v_mfma_f32_16x16x16f16 a[0:3], v[34:35], v[26:27], a[0:3]
	ds_read2_b64 v[32:35], v155 offset0:16 offset1:20
	;; [unrolled: 4-line block ×7, first 2 shown]
	s_waitcnt lgkmcnt(0)
	s_barrier
	v_mfma_f32_16x16x16f16 a[0:3], v[32:33], v[0:1], a[0:3]
	v_mfma_f32_16x16x16f16 a[0:3], v[34:35], v[2:3], a[0:3]
	s_cbranch_vccnz .LBB29_301
; %bb.300:                              ;   in Loop: Header=BB29_295 Depth=1
	ds_read2_b32 v[36:37], v175 offset1:1
	s_nop 7
	s_nop 0
	v_accvgpr_read_b32 v35, a3
	v_accvgpr_read_b32 v34, a2
	;; [unrolled: 1-line block ×4, first 2 shown]
	s_waitcnt lgkmcnt(0)
	v_cvt_f32_f16_e32 v38, v36
	v_cvt_f32_f16_e32 v40, v37
	v_cvt_f32_f16_sdwa v41, v37 dst_sel:DWORD dst_unused:UNUSED_PAD src0_sel:WORD_1
	v_cvt_f32_f16_sdwa v39, v36 dst_sel:DWORD dst_unused:UNUSED_PAD src0_sel:WORD_1
	v_mov_b32_e32 v45, v44
	v_pk_fma_f32 v[34:35], v[44:45], v[40:41], v[34:35]
	v_pk_fma_f32 v[32:33], v[46:47], v[38:39], v[32:33]
	v_accvgpr_write_b32 a0, v32
	v_accvgpr_write_b32 a1, v33
	v_accvgpr_write_b32 a2, v34
	v_accvgpr_write_b32 a3, v35
.LBB29_301:                             ;   in Loop: Header=BB29_295 Depth=1
	s_mul_hi_i32 s31, s40, s82
	s_mul_i32 s30, s40, s82
	s_lshl_b64 s[30:31], s[30:31], 2
	s_add_u32 s41, s33, s30
	s_addc_u32 s30, s44, s31
	v_mov_b32_e32 v32, s30
	v_add_co_u32_e32 v33, vcc, s41, v74
	v_addc_co_u32_e32 v32, vcc, v32, v75, vcc
	v_add_co_u32_e32 v35, vcc, v33, v174
	v_addc_co_u32_e32 v32, vcc, 0, v32, vcc
	v_mov_b32_e32 v34, s39
	v_mov_b32_e32 v45, s38
	buffer_store_dword v138, off, s[0:3], 0
	buffer_store_dword v138, off, s[0:3], 0 offset:4
	buffer_store_dword v138, off, s[0:3], 0 offset:8
	;; [unrolled: 1-line block ×3, first 2 shown]
	v_cndmask_b32_e64 v33, v34, v32, s[6:7]
	v_cndmask_b32_e64 v32, v45, v35, s[6:7]
	flat_load_dwordx4 v[36:39], v[32:33]
	v_mov_b32_e32 v32, s30
	v_add_co_u32_e32 v33, vcc, s41, v76
	v_addc_co_u32_e32 v32, vcc, v32, v77, vcc
	v_add_co_u32_e32 v33, vcc, v33, v174
	v_addc_co_u32_e32 v35, vcc, 0, v32, vcc
	v_cndmask_b32_e64 v32, v45, v33, s[34:35]
	v_cndmask_b32_e64 v33, v34, v35, s[34:35]
	v_max_f32_e32 v179, v178, v178
	v_mov_b32_e32 v184, s30
	v_mov_b32_e32 v185, s30
	s_add_i32 s46, s46, 1
	s_add_i32 s40, s40, 64
	s_waitcnt vmcnt(0) lgkmcnt(0)
	ds_write_b128 v147, v[36:39]
	flat_load_dwordx4 v[36:39], v[32:33]
	v_mov_b32_e32 v32, s30
	v_add_co_u32_e32 v33, vcc, s41, v78
	v_addc_co_u32_e32 v32, vcc, v32, v79, vcc
	v_add_co_u32_e32 v33, vcc, v33, v174
	v_addc_co_u32_e32 v35, vcc, 0, v32, vcc
	v_cndmask_b32_e64 v32, v45, v33, s[10:11]
	v_cndmask_b32_e64 v33, v34, v35, s[10:11]
	s_waitcnt vmcnt(0) lgkmcnt(0)
	ds_write_b128 v148, v[36:39]
	flat_load_dwordx4 v[36:39], v[32:33]
	v_mov_b32_e32 v32, s30
	v_add_co_u32_e32 v33, vcc, s41, v80
	v_addc_co_u32_e32 v32, vcc, v32, v81, vcc
	v_add_co_u32_e32 v33, vcc, v33, v174
	v_addc_co_u32_e32 v35, vcc, 0, v32, vcc
	v_cndmask_b32_e64 v32, v45, v33, s[12:13]
	v_cndmask_b32_e64 v33, v34, v35, s[12:13]
	;; [unrolled: 10-line block ×4, first 2 shown]
	v_mov_b32_e32 v35, s48
	v_cmp_lt_i32_e32 vcc, s46, v137
	s_and_b64 vcc, exec, vcc
	s_waitcnt vmcnt(0) lgkmcnt(0)
	ds_write_b128 v151, v[36:39]
	flat_load_dwordx4 v[40:43], v[32:33]
	v_accvgpr_read_b32 v39, a3
	v_accvgpr_read_b32 v36, a0
	v_add_f32_e32 v180, 0x40051340, v36
	v_max_f32_e32 v179, v179, v180
	v_accvgpr_read_b32 v37, a1
	v_cndmask_b32_e64 v179, v178, v179, s[22:23]
	v_add_f32_e32 v181, 0x40051340, v37
	v_max_f32_e32 v180, v179, v179
	v_max_f32_e32 v180, v180, v181
	v_add_co_u32_e64 v181, s[30:31], s41, v86
	v_addc_co_u32_e64 v184, s[30:31], v184, v87, s[30:31]
	v_cndmask_b32_e64 v179, v179, v180, s[24:25]
	v_add_co_u32_e64 v180, s[30:31], v181, v174
	v_addc_co_u32_e64 v181, s[30:31], 0, v184, s[30:31]
	v_cndmask_b32_e64 v180, v45, v180, s[18:19]
	v_cndmask_b32_e64 v181, v34, v181, s[18:19]
	v_accvgpr_read_b32 v38, a2
	v_add_f32_e32 v182, 0x40051340, v38
	v_max_f32_e32 v184, v179, v179
	v_max_f32_e32 v182, v184, v182
	v_cndmask_b32_e64 v179, v179, v182, s[26:27]
	v_add_f32_e32 v183, 0x40051340, v39
	v_max_f32_e32 v182, v179, v179
	v_max_f32_e32 v182, v182, v183
	v_cndmask_b32_e64 v179, v179, v182, s[28:29]
	ds_bpermute_b32 v182, v145, v179
	v_max_f32_e32 v179, v179, v179
	v_cndmask_b32_e64 v38, v38, v38, s[24:25]
	v_cndmask_b32_e64 v39, v39, v39, s[24:25]
	v_mov_b32_e32 v32, s48
	s_waitcnt lgkmcnt(0)
	v_max_f32_e32 v182, v182, v182
	v_max_f32_e32 v179, v179, v182
	ds_bpermute_b32 v182, v146, v179
	v_mov_b32_e32 v33, s48
	s_waitcnt vmcnt(0)
	ds_write_b128 v152, v[40:43]
	flat_load_dwordx4 v[40:43], v[180:181]
	v_add_co_u32_e64 v180, s[30:31], s41, v88
	v_addc_co_u32_e64 v181, s[30:31], v185, v89, s[30:31]
	v_add_co_u32_e64 v180, s[30:31], v180, v174
	v_addc_co_u32_e64 v181, s[30:31], 0, v181, s[30:31]
	v_cndmask_b32_e64 v181, v34, v181, s[20:21]
	s_waitcnt lgkmcnt(0)
	v_max_f32_e32 v34, v182, v182
	v_max_f32_e32 v34, v179, v34
	v_sub_f32_e32 v36, v36, v34
	v_cndmask_b32_e64 v180, v45, v180, s[20:21]
	v_sub_f32_e32 v45, v37, v34
	v_mul_f32_e32 v37, 0x3fb8aa3b, v36
	v_sub_f32_e32 v179, v38, v34
	v_mul_f32_e32 v38, 0x3fb8aa3b, v45
	v_fma_f32 v185, v36, s49, -v37
	v_rndne_f32_e32 v186, v37
	v_sub_f32_e32 v182, v39, v34
	v_mul_f32_e32 v39, 0x3fb8aa3b, v179
	v_fma_f32 v187, v45, s49, -v38
	v_rndne_f32_e32 v188, v38
	v_fmac_f32_e32 v185, 0x32a5705f, v36
	v_sub_f32_e32 v37, v37, v186
	v_sub_f32_e32 v178, v178, v34
	v_mul_f32_e32 v183, 0x3fb8aa3b, v182
	v_fma_f32 v189, v179, s49, -v39
	v_rndne_f32_e32 v190, v39
	v_fmac_f32_e32 v187, 0x32a5705f, v45
	v_sub_f32_e32 v38, v38, v188
	v_add_f32_e32 v37, v37, v185
	v_mul_f32_e32 v184, 0x3fb8aa3b, v178
	v_fma_f32 v191, v182, s49, -v183
	v_rndne_f32_e32 v192, v183
	v_cvt_i32_f32_e32 v186, v186
	v_fmac_f32_e32 v189, 0x32a5705f, v179
	v_sub_f32_e32 v39, v39, v190
	v_add_f32_e32 v38, v38, v187
	v_exp_f32_e32 v37, v37
	v_fma_f32 v193, v178, s49, -v184
	v_rndne_f32_e32 v194, v184
	v_cvt_i32_f32_e32 v188, v188
	v_fmac_f32_e32 v191, 0x32a5705f, v182
	v_sub_f32_e32 v183, v183, v192
	v_add_f32_e32 v39, v39, v189
	v_exp_f32_e32 v38, v38
	v_cvt_i32_f32_e32 v190, v190
	v_fmac_f32_e32 v193, 0x32a5705f, v178
	v_sub_f32_e32 v184, v184, v194
	v_add_f32_e32 v183, v183, v191
	v_exp_f32_e32 v39, v39
	v_cvt_i32_f32_e32 v192, v192
	v_add_f32_e32 v184, v184, v193
	v_exp_f32_e32 v183, v183
	v_cvt_i32_f32_e32 v194, v194
	v_exp_f32_e32 v184, v184
	v_ldexp_f32 v37, v37, v186
	v_cmp_ngt_f32_e64 s[30:31], s50, v36
	v_ldexp_f32 v38, v38, v188
	v_cndmask_b32_e64 v37, 0, v37, s[30:31]
	v_cmp_ngt_f32_e64 s[30:31], s50, v45
	v_ldexp_f32 v39, v39, v190
	v_cndmask_b32_e64 v185, 0, v38, s[30:31]
	v_cmp_ngt_f32_e64 s[30:31], s50, v179
	v_ldexp_f32 v183, v183, v192
	v_cndmask_b32_e64 v186, 0, v39, s[30:31]
	v_cmp_ngt_f32_e64 s[30:31], s50, v182
	v_ldexp_f32 v184, v184, v194
	v_cndmask_b32_e64 v183, 0, v183, s[30:31]
	v_cmp_ngt_f32_e64 s[30:31], s50, v178
	v_cndmask_b32_e64 v184, 0, v184, s[30:31]
	v_cmp_nlt_f32_e64 s[30:31], s51, v36
	v_cndmask_b32_e64 v187, v176, v37, s[30:31]
	v_cmp_nlt_f32_e64 s[30:31], s51, v45
	s_waitcnt vmcnt(0)
	ds_write_b128 v153, v[40:43]
	flat_load_dwordx4 v[36:39], v[180:181]
	v_cndmask_b32_e64 v41, v176, v185, s[30:31]
	v_cmp_nlt_f32_e64 s[30:31], s51, v179
	v_cndmask_b32_e64 v42, v176, v186, s[30:31]
	v_cmp_nlt_f32_e64 s[30:31], s51, v182
	;; [unrolled: 2-line block ×3, first 2 shown]
	v_cndmask_b32_e64 v45, v176, v184, s[30:31]
	v_cmp_le_f32_e64 s[30:31], s52, v178
	v_cndmask_b32_e64 v40, 0, v187, s[22:23]
	v_cndmask_b32_e64 v45, 0, v45, s[30:31]
	;; [unrolled: 1-line block ×5, first 2 shown]
	v_add_f32_e32 v41, v41, v40
	v_cvt_f16_f32_e32 v178, v45
	v_cvt_f16_f32_e32 v179, v40
	;; [unrolled: 1-line block ×4, first 2 shown]
	v_cndmask_b32_e64 v40, v40, v41, s[24:25]
	v_add_f32_e32 v41, v40, v42
	v_cndmask_b32_e64 v40, v40, v41, s[26:27]
	v_add_f32_e32 v41, v40, v43
	v_pk_mul_f16 v42, v178, v130 op_sel_hi:[0,1]
	v_pk_mul_f16 v43, v178, v117 op_sel_hi:[0,1]
	;; [unrolled: 1-line block ×3, first 2 shown]
	v_pack_b32_f16 v105, v32, v33
	v_cndmask_b32_e64 v32, v40, v41, s[28:29]
	v_cvt_f32_f16_e32 v40, v42
	v_cvt_f16_f32_e32 v35, v35
	v_cvt_f32_f16_sdwa v41, v42 dst_sel:DWORD dst_unused:UNUSED_PAD src0_sel:WORD_1
	v_cvt_f32_f16_e32 v42, v43
	v_cvt_f32_f16_sdwa v43, v43 dst_sel:DWORD dst_unused:UNUSED_PAD src0_sel:WORD_1
	v_pk_mul_f16 v117, v178, v129 op_sel_hi:[0,1]
	v_pk_mul_f16 v128, v178, v128 op_sel_hi:[0,1]
	;; [unrolled: 1-line block ×8, first 2 shown]
	v_accvgpr_write_b32 a0, v40
	v_pk_mul_f16 v130, v178, v121 op_sel_hi:[0,1]
	v_pk_mul_f16 v180, v178, v120 op_sel_hi:[0,1]
	;; [unrolled: 1-line block ×21, first 2 shown]
	v_pack_b32_f16 v104, v179, v35
	v_cvt_f32_f16_e32 v96, v117
	v_cvt_f32_f16_sdwa v97, v117 dst_sel:DWORD dst_unused:UNUSED_PAD src0_sel:WORD_1
	v_cvt_f32_f16_e32 v98, v128
	v_cvt_f32_f16_sdwa v99, v128 dst_sel:DWORD dst_unused:UNUSED_PAD src0_sel:WORD_1
	v_cvt_f32_f16_e32 v100, v127
	v_cvt_f32_f16_sdwa v101, v127 dst_sel:DWORD dst_unused:UNUSED_PAD src0_sel:WORD_1
	v_cvt_f32_f16_e32 v102, v126
	v_cvt_f32_f16_sdwa v103, v126 dst_sel:DWORD dst_unused:UNUSED_PAD src0_sel:WORD_1
	v_cvt_f32_f16_e32 v116, v125
	v_cvt_f32_f16_sdwa v117, v125 dst_sel:DWORD dst_unused:UNUSED_PAD src0_sel:WORD_1
	v_cvt_f32_f16_e32 v118, v124
	v_cvt_f32_f16_sdwa v119, v124 dst_sel:DWORD dst_unused:UNUSED_PAD src0_sel:WORD_1
	v_cvt_f32_f16_e32 v120, v123
	v_cvt_f32_f16_sdwa v121, v123 dst_sel:DWORD dst_unused:UNUSED_PAD src0_sel:WORD_1
	v_cvt_f32_f16_e32 v122, v129
	v_cvt_f32_f16_sdwa v123, v129 dst_sel:DWORD dst_unused:UNUSED_PAD src0_sel:WORD_1
	v_accvgpr_write_b32 a1, v41
	v_accvgpr_write_b32 a2, v42
	;; [unrolled: 1-line block ×3, first 2 shown]
	s_waitcnt vmcnt(0) lgkmcnt(0)
	ds_write_b128 v154, v[36:39]
	s_waitcnt lgkmcnt(0)
	s_barrier
	ds_read_u16 v33, v157 offset:528
	ds_read_u16 v35, v157 offset:1056
	ds_read_u16 v36, v158
	ds_read_u16 v38, v158 offset:32
	ds_read_u16 v42, v158 offset:64
	;; [unrolled: 1-line block ×5, first 2 shown]
	ds_read_u16 v39, v156
	ds_read_u16 v40, v156 offset:32
	ds_read_u16 v43, v156 offset:64
	;; [unrolled: 1-line block ×7, first 2 shown]
	s_waitcnt lgkmcnt(13)
	v_perm_b32 v37, v36, v35, s53
	s_waitcnt lgkmcnt(7)
	v_perm_b32 v36, v33, v39, s53
	ds_read_u16 v33, v159 offset:1056
	ds_read_u16 v35, v160 offset:528
	;; [unrolled: 1-line block ×7, first 2 shown]
	v_accvgpr_write_b32 a4, v96
	v_accvgpr_write_b32 a8, v100
	;; [unrolled: 1-line block ×3, first 2 shown]
	v_mfma_f32_16x16x16f16 a[0:3], v[36:37], v[104:105], a[0:3]
	ds_read_u16 v198, v158 offset:480
	s_waitcnt lgkmcnt(7)
	v_perm_b32 v41, v38, v33, s53
	s_waitcnt lgkmcnt(2)
	v_perm_b32 v40, v39, v40, s53
	v_cvt_f32_f16_e32 v36, v130
	v_cvt_f32_f16_sdwa v37, v130 dst_sel:DWORD dst_unused:UNUSED_PAD src0_sel:WORD_1
	v_accvgpr_write_b32 a5, v97
	v_accvgpr_write_b32 a6, v98
	;; [unrolled: 1-line block ×3, first 2 shown]
	v_perm_b32 v97, v42, v179, s53
	v_perm_b32 v96, v35, v43, s53
	v_accvgpr_write_b32 a9, v101
	v_accvgpr_write_b32 a10, v102
	v_accvgpr_write_b32 a11, v103
	v_perm_b32 v101, v108, v196, s53
	v_perm_b32 v100, v195, v125, s53
	v_accvgpr_write_b32 a13, v117
	v_accvgpr_write_b32 a14, v118
	;; [unrolled: 1-line block ×3, first 2 shown]
	ds_read_u16 v33, v162 offset:528
	ds_read_u16 v35, v162 offset:1056
	;; [unrolled: 1-line block ×8, first 2 shown]
	v_cvt_f32_f16_e32 v38, v180
	v_cvt_f32_f16_sdwa v39, v180 dst_sel:DWORD dst_unused:UNUSED_PAD src0_sel:WORD_1
	s_waitcnt lgkmcnt(6)
	v_perm_b32 v103, v109, v35, s53
	v_perm_b32 v102, v33, v126, s53
	s_waitcnt lgkmcnt(4)
	v_perm_b32 v109, v124, v116, s53
	v_perm_b32 v108, v108, v127, s53
	v_accvgpr_write_b32 a16, v120
	v_accvgpr_write_b32 a20, v36
	v_mfma_f32_16x16x16f16 a[4:7], v[40:41], v[104:105], a[4:7]
	v_cvt_f32_f16_e32 v40, v181
	v_accvgpr_write_b32 a17, v121
	v_accvgpr_write_b32 a18, v122
	;; [unrolled: 1-line block ×6, first 2 shown]
	v_mfma_f32_16x16x16f16 a[8:11], v[96:97], v[104:105], a[8:11]
	v_cvt_f32_f16_e32 v96, v183
	v_cvt_f32_f16_sdwa v41, v181 dst_sel:DWORD dst_unused:UNUSED_PAD src0_sel:WORD_1
	v_cvt_f32_f16_e32 v42, v182
	v_cvt_f32_f16_sdwa v43, v182 dst_sel:DWORD dst_unused:UNUSED_PAD src0_sel:WORD_1
	v_cvt_f32_f16_sdwa v97, v183 dst_sel:DWORD dst_unused:UNUSED_PAD src0_sel:WORD_1
	v_cvt_f32_f16_e32 v98, v114
	v_cvt_f32_f16_sdwa v99, v114 dst_sel:DWORD dst_unused:UNUSED_PAD src0_sel:WORD_1
	v_mfma_f32_16x16x16f16 a[12:15], v[100:101], v[104:105], a[12:15]
	v_cvt_f32_f16_e32 v100, v113
	v_cvt_f32_f16_sdwa v101, v113 dst_sel:DWORD dst_unused:UNUSED_PAD src0_sel:WORD_1
	v_cvt_f32_f16_e32 v116, v110
	v_cvt_f32_f16_sdwa v117, v110 dst_sel:DWORD dst_unused:UNUSED_PAD src0_sel:WORD_1
	s_waitcnt lgkmcnt(3)
	v_perm_b32 v36, v118, v128, s53
	s_waitcnt lgkmcnt(1)
	v_perm_b32 v38, v125, v129, s53
	v_accvgpr_write_b32 a24, v40
	v_mfma_f32_16x16x16f16 a[16:19], v[102:103], v[104:105], a[16:19]
	v_cvt_f32_f16_e32 v102, v112
	v_cvt_f32_f16_sdwa v103, v112 dst_sel:DWORD dst_unused:UNUSED_PAD src0_sel:WORD_1
	v_accvgpr_write_b32 a28, v96
	v_accvgpr_write_b32 a25, v41
	;; [unrolled: 1-line block ×5, first 2 shown]
	v_mfma_f32_16x16x16f16 a[20:23], v[108:109], v[104:105], a[20:23]
	ds_read_u16 v33, v158 offset:192
	ds_read_u16 v35, v158 offset:224
	ds_read_u16 v108, v158 offset:256
	ds_read_u16 v109, v158 offset:288
	ds_read_u16 v110, v158 offset:320
	ds_read_u16 v112, v158 offset:352
	ds_read_u16 v113, v158 offset:384
	ds_read_u16 v114, v158 offset:416
	s_waitcnt lgkmcnt(7)
	v_perm_b32 v37, v33, v119, s53
	s_waitcnt lgkmcnt(6)
	v_perm_b32 v39, v35, v130, s53
	v_accvgpr_write_b32 a30, v98
	v_accvgpr_write_b32 a31, v99
	ds_read_u16 v33, v166 offset:528
	ds_read_u16 v35, v166 offset:1056
	;; [unrolled: 1-line block ×8, first 2 shown]
	v_cvt_f32_f16_e32 v118, v184
	v_mfma_f32_16x16x16f16 a[24:27], v[36:37], v[104:105], a[24:27]
	ds_read_u16 v36, v156 offset:256
	ds_read_u16 v42, v156 offset:288
	ds_read_u16 v98, v156 offset:320
	ds_read_u16 v122, v156 offset:352
	ds_read_u16 v123, v156 offset:384
	ds_read_u16 v124, v156 offset:416
	ds_read_u16 v125, v156 offset:448
	ds_read_u16 v126, v156 offset:480
	v_cvt_f32_f16_sdwa v119, v184 dst_sel:DWORD dst_unused:UNUSED_PAD src0_sel:WORD_1
	s_waitcnt lgkmcnt(12)
	v_perm_b32 v43, v109, v41, s53
	s_waitcnt lgkmcnt(6)
	v_perm_b32 v42, v40, v42, s53
	v_accvgpr_write_b32 a32, v100
	v_accvgpr_write_b32 a33, v101
	;; [unrolled: 1-line block ×3, first 2 shown]
	v_mfma_f32_16x16x16f16 a[28:31], v[38:39], v[104:105], a[28:31]
	v_perm_b32 v39, v108, v35, s53
	v_perm_b32 v38, v33, v36, s53
	v_accvgpr_write_b32 a35, v103
	v_accvgpr_write_b32 a36, v116
	v_cvt_f32_f16_e32 v36, v185
	v_cvt_f32_f16_sdwa v37, v185 dst_sel:DWORD dst_unused:UNUSED_PAD src0_sel:WORD_1
	v_accvgpr_write_b32 a37, v117
	v_mfma_f32_16x16x16f16 a[32:35], v[38:39], v[104:105], a[32:35]
	v_cvt_f32_f16_sdwa v39, v106 dst_sel:DWORD dst_unused:UNUSED_PAD src0_sel:WORD_1
	v_cvt_f32_f16_e32 v38, v106
	v_accvgpr_write_b32 a38, v118
	v_accvgpr_write_b32 a39, v119
	v_perm_b32 v99, v110, v97, s53
	s_waitcnt lgkmcnt(5)
	v_perm_b32 v98, v96, v98, s53
	v_cvt_f32_f16_e32 v40, v186
	v_mfma_f32_16x16x16f16 a[36:39], v[42:43], v[104:105], a[36:39]
	v_cvt_f32_f16_sdwa v43, v187 dst_sel:DWORD dst_unused:UNUSED_PAD src0_sel:WORD_1
	v_cvt_f32_f16_sdwa v41, v186 dst_sel:DWORD dst_unused:UNUSED_PAD src0_sel:WORD_1
	v_cvt_f32_f16_e32 v42, v187
	v_accvgpr_write_b32 a43, v39
	v_accvgpr_write_b32 a42, v38
	;; [unrolled: 1-line block ×4, first 2 shown]
	v_perm_b32 v39, v112, v121, s53
	s_waitcnt lgkmcnt(4)
	v_perm_b32 v38, v120, v122, s53
	v_cvt_f32_f16_e32 v96, v188
	v_accvgpr_write_b32 a47, v43
	v_mfma_f32_16x16x16f16 a[40:43], v[98:99], v[104:105], a[40:43]
	v_cvt_f32_f16_sdwa v97, v188 dst_sel:DWORD dst_unused:UNUSED_PAD src0_sel:WORD_1
	v_cvt_f32_f16_e32 v98, v189
	v_cvt_f32_f16_sdwa v99, v189 dst_sel:DWORD dst_unused:UNUSED_PAD src0_sel:WORD_1
	v_accvgpr_write_b32 a46, v42
	v_accvgpr_write_b32 a45, v41
	;; [unrolled: 1-line block ×3, first 2 shown]
	ds_read_u16 v33, v170 offset:528
	ds_read_u16 v35, v170 offset:1056
	;; [unrolled: 1-line block ×8, first 2 shown]
	s_waitcnt lgkmcnt(6)
	v_perm_b32 v41, v113, v35, s53
	v_perm_b32 v40, v33, v123, s53
	v_mfma_f32_16x16x16f16 a[44:47], v[38:39], v[104:105], a[44:47]
	v_cvt_f32_f16_sdwa v39, v191 dst_sel:DWORD dst_unused:UNUSED_PAD src0_sel:WORD_1
	v_accvgpr_write_b32 a48, v96
	v_cvt_f32_f16_e32 v36, v190
	v_cvt_f32_f16_sdwa v37, v190 dst_sel:DWORD dst_unused:UNUSED_PAD src0_sel:WORD_1
	v_cvt_f32_f16_e32 v38, v191
	v_accvgpr_write_b32 a49, v97
	v_accvgpr_write_b32 a50, v98
	;; [unrolled: 1-line block ×3, first 2 shown]
	s_waitcnt lgkmcnt(4)
	v_perm_b32 v97, v114, v43, s53
	v_perm_b32 v96, v42, v124, s53
	v_cvt_f32_f16_sdwa v43, v193 dst_sel:DWORD dst_unused:UNUSED_PAD src0_sel:WORD_1
	v_mfma_f32_16x16x16f16 a[48:51], v[40:41], v[104:105], a[48:51]
	v_cvt_f32_f16_e32 v40, v192
	v_cvt_f32_f16_sdwa v41, v192 dst_sel:DWORD dst_unused:UNUSED_PAD src0_sel:WORD_1
	v_cvt_f32_f16_e32 v42, v193
	v_accvgpr_write_b32 a55, v39
	v_accvgpr_write_b32 a54, v38
	;; [unrolled: 1-line block ×4, first 2 shown]
	v_cvt_f32_f16_sdwa v39, v178 dst_sel:DWORD dst_unused:UNUSED_PAD src0_sel:WORD_1
	v_accvgpr_write_b32 a59, v43
	v_mfma_f32_16x16x16f16 a[52:55], v[96:97], v[104:105], a[52:55]
	v_cvt_f32_f16_e32 v36, v194
	s_waitcnt lgkmcnt(2)
	v_perm_b32 v97, v197, v101, s53
	v_perm_b32 v96, v100, v125, s53
	v_cvt_f32_f16_sdwa v37, v194 dst_sel:DWORD dst_unused:UNUSED_PAD src0_sel:WORD_1
	v_cvt_f32_f16_e32 v38, v178
	v_accvgpr_write_b32 a58, v42
	v_accvgpr_write_b32 a57, v41
	;; [unrolled: 1-line block ×3, first 2 shown]
	s_waitcnt lgkmcnt(0)
	v_perm_b32 v41, v198, v103, s53
	v_perm_b32 v40, v102, v126, s53
	v_accvgpr_write_b32 a63, v39
	v_accvgpr_write_b32 a62, v38
	v_accvgpr_write_b32 a61, v37
	v_accvgpr_write_b32 a60, v36
	v_mfma_f32_16x16x16f16 a[56:59], v[96:97], v[104:105], a[56:59]
	v_fmac_f32_e32 v32, v177, v45
	v_accvgpr_read_b32 v33, a0
	v_accvgpr_read_b32 v35, a1
	;; [unrolled: 1-line block ×6, first 2 shown]
	v_mfma_f32_16x16x16f16 a[60:63], v[40:41], v[104:105], a[60:63]
	v_accvgpr_read_b32 v40, a6
	v_accvgpr_read_b32 v41, a7
	;; [unrolled: 1-line block ×58, first 2 shown]
	v_cvt_f16_f32_e32 v33, v33
	v_cvt_f16_f32_e32 v35, v35
	;; [unrolled: 1-line block ×64, first 2 shown]
	v_pack_b32_f16 v130, v33, v35
	v_pack_b32_f16 v117, v36, v37
	;; [unrolled: 1-line block ×32, first 2 shown]
	s_barrier
	s_cbranch_vccz .LBB29_304
; %bb.302:                              ;   in Loop: Header=BB29_295 Depth=1
	v_mov_b32_e32 v177, v32
	v_mov_b32_e32 v178, v34
	s_branch .LBB29_295
.LBB29_303:
	v_mov_b32_e32 v32, 0
	v_mov_b32_e32 v34, 0xfeffffff
	;; [unrolled: 1-line block ×33, first 2 shown]
.LBB29_304:
	v_readlane_b32 s16, v254, 26
	v_readlane_b32 s22, v254, 32
	;; [unrolled: 1-line block ×3, first 2 shown]
	s_lshl_b32 s22, s46, 6
	v_readlane_b32 s4, v254, 4
	s_sub_i32 s26, s4, s22
	v_readlane_b32 s23, v254, 33
	v_readlane_b32 s24, v254, 34
	;; [unrolled: 1-line block ×3, first 2 shown]
	s_cmp_lg_u64 s[8:9], 0
	s_cselect_b64 s[24:25], -1, 0
	s_ashr_i32 s23, s22, 31
	v_readlane_b32 s30, v254, 40
	v_readlane_b32 s31, v254, 41
	s_cmp_eq_u64 s[8:9], 0
	v_readlane_b32 s17, v254, 27
	v_readlane_b32 s18, v254, 28
	;; [unrolled: 1-line block ×9, first 2 shown]
	s_cbranch_scc1 .LBB29_314
; %bb.305:
	s_lshl_b64 s[4:5], s[22:23], 1
	s_add_u32 s4, s8, s4
	s_addc_u32 s5, s9, s5
	v_mov_b32_e32 v35, s5
	v_add_co_u32_e64 v33, s[4:5], s4, v136
	v_cmp_gt_i32_e32 vcc, s26, v64
	v_mov_b32_e32 v36, 0
	v_addc_co_u32_e64 v35, s[4:5], 0, v35, s[4:5]
	v_mov_b32_e32 v38, 0
	s_and_saveexec_b64 s[6:7], vcc
	s_cbranch_execz .LBB29_307
; %bb.306:
	v_readlane_b32 s4, v254, 10
	v_mul_hi_u32 v37, s4, v131
	v_readlane_b32 s5, v254, 11
	v_add_u32_e32 v37, v131, v37
	v_lshrrev_b32_e32 v37, s5, v37
	v_mul_lo_u32 v37, v37, s68
	v_sub_u32_e32 v37, v131, v37
	v_mad_i64_i32 v[38:39], s[4:5], v37, s66, 0
	v_lshlrev_b64 v[38:39], 1, v[38:39]
	v_add_co_u32_e64 v38, s[4:5], v33, v38
	v_addc_co_u32_e64 v39, s[4:5], v35, v39, s[4:5]
	flat_load_ushort v38, v[38:39]
.LBB29_307:
	s_or_b64 exec, exec, s[6:7]
	s_movk_i32 s4, 0x90
	v_mad_u32_u24 v37, v115, s4, 0
	v_lshl_add_u32 v39, v64, 1, v37
	s_waitcnt vmcnt(0) lgkmcnt(0)
	ds_write_b16 v39, v38 offset:33792
	s_and_saveexec_b64 s[6:7], vcc
	s_cbranch_execz .LBB29_309
; %bb.308:
	v_readlane_b32 s4, v254, 10
	v_mul_hi_u32 v36, s4, v132
	v_readlane_b32 s5, v254, 11
	v_add_u32_e32 v36, v132, v36
	v_lshrrev_b32_e32 v36, s5, v36
	v_mul_lo_u32 v36, v36, s68
	v_sub_u32_e32 v36, v132, v36
	v_mad_i64_i32 v[38:39], s[4:5], v36, s66, 0
	v_lshlrev_b64 v[38:39], 1, v[38:39]
	v_add_co_u32_e64 v38, s[4:5], v33, v38
	v_addc_co_u32_e64 v39, s[4:5], v35, v39, s[4:5]
	flat_load_ushort v36, v[38:39]
.LBB29_309:
	s_or_b64 exec, exec, s[6:7]
	v_add_u32_e32 v37, 0x240, v37
	v_lshl_add_u32 v38, v64, 1, v37
	s_waitcnt vmcnt(0) lgkmcnt(0)
	ds_write_b16 v38, v36 offset:33792
	v_mov_b32_e32 v36, 0
	v_mov_b32_e32 v38, 0
	s_and_saveexec_b64 s[6:7], vcc
	s_cbranch_execz .LBB29_311
; %bb.310:
	v_readlane_b32 s4, v254, 10
	v_mul_hi_u32 v38, s4, v133
	v_readlane_b32 s5, v254, 11
	v_add_u32_e32 v38, v133, v38
	v_lshrrev_b32_e32 v38, s5, v38
	v_mul_lo_u32 v38, v38, s68
	v_sub_u32_e32 v38, v133, v38
	v_mad_i64_i32 v[38:39], s[4:5], v38, s66, 0
	v_lshlrev_b64 v[38:39], 1, v[38:39]
	v_add_co_u32_e64 v38, s[4:5], v33, v38
	v_addc_co_u32_e64 v39, s[4:5], v35, v39, s[4:5]
	flat_load_ushort v38, v[38:39]
.LBB29_311:
	s_or_b64 exec, exec, s[6:7]
	v_add_u32_e32 v37, 0x240, v37
	v_lshl_add_u32 v37, v64, 1, v37
	s_waitcnt vmcnt(0) lgkmcnt(0)
	ds_write_b16 v37, v38 offset:33792
	s_and_saveexec_b64 s[4:5], vcc
	s_cbranch_execz .LBB29_313
; %bb.312:
	v_readlane_b32 s6, v254, 10
	v_mul_hi_u32 v36, s6, v134
	v_readlane_b32 s7, v254, 11
	v_add_u32_e32 v36, v134, v36
	v_lshrrev_b32_e32 v36, s7, v36
	v_mul_lo_u32 v36, v36, s68
	v_sub_u32_e32 v36, v134, v36
	v_mad_i64_i32 v[38:39], s[6:7], v36, s66, 0
	v_lshlrev_b64 v[38:39], 1, v[38:39]
	v_add_co_u32_e32 v38, vcc, v33, v38
	v_addc_co_u32_e32 v39, vcc, v35, v39, vcc
	flat_load_ushort v36, v[38:39]
.LBB29_313:
	s_or_b64 exec, exec, s[4:5]
	s_waitcnt vmcnt(0) lgkmcnt(0)
	ds_write_b16 v37, v36 offset:34368
.LBB29_314:
	s_mul_hi_i32 s5, s22, s96
	s_mul_i32 s4, s22, s96
	v_lshl_add_u32 v38, v115, 1, v135
	s_lshl_b64 s[4:5], s[4:5], 2
	v_mul_lo_u32 v46, s96, v38
	s_add_u32 s6, s45, s4
	v_ashrrev_i32_e32 v47, 31, v46
	s_addc_u32 s7, s47, s5
	v_lshlrev_b64 v[40:41], 2, v[46:47]
	v_and_b32_e32 v33, 0x7c, v65
	v_mov_b32_e32 v35, s7
	v_add_co_u32_e32 v36, vcc, s6, v40
	v_lshlrev_b32_e32 v33, 2, v33
	v_addc_co_u32_e32 v35, vcc, v35, v41, vcc
	s_mov_b64 s[4:5], src_private_base
	v_add_co_u32_e32 v36, vcc, v36, v33
	v_addc_co_u32_e32 v35, vcc, 0, v35, vcc
	v_mov_b32_e32 v39, s5
	v_cmp_gt_i32_e64 s[20:21], s26, v38
	v_mov_b32_e32 v37, 0
	v_cndmask_b32_e64 v41, v39, v35, s[20:21]
	v_mov_b32_e32 v35, 0
	buffer_store_dword v37, off, s[0:3], 0
	buffer_store_dword v37, off, s[0:3], 0 offset:4
	buffer_store_dword v37, off, s[0:3], 0 offset:8
	;; [unrolled: 1-line block ×3, first 2 shown]
	v_cndmask_b32_e64 v40, v35, v36, s[20:21]
	flat_load_dwordx4 v[40:43], v[40:41]
	s_lshl_b32 s8, s96, 3
	v_add_u32_e32 v46, s8, v46
	v_ashrrev_i32_e32 v47, 31, v46
	v_lshlrev_b64 v[48:49], 2, v[46:47]
	v_mov_b32_e32 v50, s7
	v_add_co_u32_e32 v47, vcc, s6, v48
	v_addc_co_u32_e32 v48, vcc, v50, v49, vcc
	v_mul_u32_u24_e32 v36, 0x210, v38
	v_add_u32_e32 v45, 8, v38
	v_add_co_u32_e32 v47, vcc, v47, v33
	v_add3_u32 v36, 0, v36, v33
	v_addc_co_u32_e32 v48, vcc, 0, v48, vcc
	v_cmp_gt_i32_e64 s[10:11], s26, v45
	v_cndmask_b32_e64 v49, v39, v48, s[10:11]
	v_cndmask_b32_e64 v48, v35, v47, s[10:11]
	v_add_u32_e32 v46, s8, v46
	v_ashrrev_i32_e32 v47, 31, v46
	v_add_u32_e32 v45, 16, v38
	v_cmp_gt_i32_e64 s[12:13], s26, v45
	v_add_u32_e32 v45, 24, v38
	v_cmp_gt_i32_e64 s[14:15], s26, v45
	;; [unrolled: 2-line block ×5, first 2 shown]
	v_add_u32_e32 v45, 56, v38
	s_waitcnt vmcnt(0) lgkmcnt(0)
	ds_write_b128 v36, v[40:43]
	flat_load_dwordx4 v[40:43], v[48:49]
	v_lshlrev_b64 v[48:49], 2, v[46:47]
	v_add_co_u32_e32 v47, vcc, s6, v48
	v_addc_co_u32_e32 v48, vcc, v50, v49, vcc
	v_add_co_u32_e32 v47, vcc, v47, v33
	v_addc_co_u32_e32 v48, vcc, 0, v48, vcc
	v_cndmask_b32_e64 v49, v39, v48, s[12:13]
	v_cndmask_b32_e64 v48, v35, v47, s[12:13]
	v_add_u32_e32 v46, s8, v46
	v_ashrrev_i32_e32 v47, 31, v46
	s_waitcnt vmcnt(0) lgkmcnt(0)
	ds_write_b128 v36, v[40:43] offset:4224
	flat_load_dwordx4 v[40:43], v[48:49]
	v_lshlrev_b64 v[48:49], 2, v[46:47]
	v_add_co_u32_e32 v47, vcc, s6, v48
	v_addc_co_u32_e32 v48, vcc, v50, v49, vcc
	v_add_co_u32_e32 v47, vcc, v47, v33
	v_addc_co_u32_e32 v48, vcc, 0, v48, vcc
	v_cndmask_b32_e64 v49, v39, v48, s[14:15]
	v_cndmask_b32_e64 v48, v35, v47, s[14:15]
	v_add_u32_e32 v46, s8, v46
	v_ashrrev_i32_e32 v47, 31, v46
	s_waitcnt vmcnt(0) lgkmcnt(0)
	ds_write_b128 v36, v[40:43] offset:8448
	;; [unrolled: 12-line block ×4, first 2 shown]
	flat_load_dwordx4 v[40:43], v[48:49]
	v_lshlrev_b64 v[48:49], 2, v[46:47]
	v_add_co_u32_e32 v47, vcc, s6, v48
	v_addc_co_u32_e32 v48, vcc, v50, v49, vcc
	v_add_co_u32_e32 v47, vcc, v47, v33
	v_addc_co_u32_e32 v48, vcc, 0, v48, vcc
	v_cndmask_b32_e64 v49, v39, v48, s[4:5]
	v_cndmask_b32_e64 v48, v35, v47, s[4:5]
	v_add_u32_e32 v46, s8, v46
	v_ashrrev_i32_e32 v47, 31, v46
	v_lshlrev_b64 v[46:47], 2, v[46:47]
	v_add_co_u32_e32 v46, vcc, s6, v46
	s_movk_i32 s8, 0x210
	s_waitcnt vmcnt(0) lgkmcnt(0)
	ds_write_b128 v36, v[40:43] offset:21120
	flat_load_dwordx4 v[40:43], v[48:49]
	v_mov_b32_e32 v48, s7
	v_addc_co_u32_e32 v47, vcc, v48, v47, vcc
	v_add_co_u32_e32 v46, vcc, v46, v33
	v_addc_co_u32_e32 v47, vcc, 0, v47, vcc
	v_cmp_gt_i32_e64 s[6:7], s26, v45
	v_cndmask_b32_e64 v47, v39, v47, s[6:7]
	v_cndmask_b32_e64 v46, v35, v46, s[6:7]
	v_and_b32_e32 v45, 48, v212
	v_mad_u32_u24 v39, v45, s8, 0
	s_andn2_b64 vcc, exec, s[24:25]
	s_waitcnt vmcnt(0) lgkmcnt(0)
	ds_write_b128 v36, v[40:43] offset:25344
	flat_load_dwordx4 v[40:43], v[46:47]
	v_add3_u32 v46, v39, v107, v111
	s_waitcnt vmcnt(0) lgkmcnt(0)
	ds_write_b128 v36, v[40:43] offset:29568
	s_waitcnt lgkmcnt(0)
	s_barrier
	ds_read2_b64 v[40:43], v46 offset1:4
	s_waitcnt lgkmcnt(0)
	v_mfma_f32_16x16x16f16 a[0:3], v[40:41], v[28:29], 0
	v_mfma_f32_16x16x16f16 a[0:3], v[42:43], v[30:31], a[0:3]
	ds_read2_b64 v[28:31], v46 offset0:8 offset1:12
	s_waitcnt lgkmcnt(0)
	v_mfma_f32_16x16x16f16 a[0:3], v[28:29], v[24:25], a[0:3]
	v_mfma_f32_16x16x16f16 a[0:3], v[30:31], v[26:27], a[0:3]
	ds_read2_b64 v[24:27], v46 offset0:16 offset1:20
	;; [unrolled: 4-line block ×6, first 2 shown]
	ds_read2_b64 v[12:15], v46 offset0:56 offset1:60
	s_waitcnt lgkmcnt(0)
	s_barrier
	v_mfma_f32_16x16x16f16 a[0:3], v[8:9], v[4:5], a[0:3]
	v_add_u32_e32 v9, 0x4200, v36
	v_add_u32_e32 v5, 0x6300, v36
	;; [unrolled: 1-line block ×3, first 2 shown]
	v_mfma_f32_16x16x16f16 a[0:3], v[10:11], v[6:7], a[0:3]
	v_and_b32_e32 v6, 0xfc, v93
	v_add_u32_e32 v11, 0x2100, v36
	v_add_u32_e32 v10, 0x3180, v36
	;; [unrolled: 1-line block ×4, first 2 shown]
	v_mfma_f32_16x16x16f16 a[0:3], v[12:13], v[0:1], a[0:3]
	v_add_u32_e32 v12, 0x1080, v36
	v_mfma_f32_16x16x16f16 a[0:3], v[14:15], v[2:3], a[0:3]
	s_cbranch_vccnz .LBB29_316
; %bb.315:
	s_movk_i32 s8, 0x90
	v_mad_u32_u24 v13, v95, s8, 0
	v_lshlrev_b32_e32 v14, 1, v8
	s_mov_b32 s8, 0x8400
	v_add3_u32 v13, v13, v14, s8
	ds_read2_b32 v[14:15], v13 offset1:1
	s_nop 3
	v_accvgpr_read_b32 v0, a0
	v_accvgpr_read_b32 v1, a1
	;; [unrolled: 1-line block ×4, first 2 shown]
	s_waitcnt lgkmcnt(0)
	v_cvt_f32_f16_e32 v16, v14
	v_cvt_f32_f16_e32 v18, v15
	v_cvt_f32_f16_sdwa v19, v15 dst_sel:DWORD dst_unused:UNUSED_PAD src0_sel:WORD_1
	v_cvt_f32_f16_sdwa v17, v14 dst_sel:DWORD dst_unused:UNUSED_PAD src0_sel:WORD_1
	v_pk_fma_f32 v[2:3], v[44:45], v[18:19], v[2:3] op_sel_hi:[0,1,1]
	v_pk_fma_f32 v[0:1], v[44:45], v[16:17], v[0:1] op_sel_hi:[0,1,1]
	v_accvgpr_write_b32 a0, v0
	v_accvgpr_write_b32 a1, v1
	;; [unrolled: 1-line block ×4, first 2 shown]
.LBB29_316:
	s_mul_hi_i32 s9, s22, s82
	s_mul_i32 s8, s22, s82
	s_lshl_b64 s[22:23], s[8:9], 2
	v_mul_lo_u32 v14, s82, v38
	s_add_u32 s9, s33, s22
	v_ashrrev_i32_e32 v15, 31, v14
	s_addc_u32 s22, s44, s23
	v_lshlrev_b64 v[0:1], 2, v[14:15]
	v_mov_b32_e32 v2, s22
	v_add_co_u32_e32 v0, vcc, s9, v0
	v_addc_co_u32_e32 v1, vcc, v2, v1, vcc
	s_mov_b64 s[24:25], src_private_base
	v_add_co_u32_e32 v0, vcc, v0, v33
	v_addc_co_u32_e32 v1, vcc, 0, v1, vcc
	v_mov_b32_e32 v19, s25
	buffer_store_dword v37, off, s[0:3], 0
	buffer_store_dword v37, off, s[0:3], 0 offset:4
	buffer_store_dword v37, off, s[0:3], 0 offset:8
	;; [unrolled: 1-line block ×3, first 2 shown]
	v_cndmask_b32_e64 v1, v19, v1, s[20:21]
	v_cndmask_b32_e64 v0, v35, v0, s[20:21]
	flat_load_dwordx4 v[0:3], v[0:1]
	s_lshl_b32 s20, s82, 3
	v_add_u32_e32 v14, s20, v14
	v_ashrrev_i32_e32 v15, 31, v14
	v_lshlrev_b64 v[16:17], 2, v[14:15]
	v_mov_b32_e32 v13, s22
	v_add_co_u32_e32 v15, vcc, s9, v16
	v_addc_co_u32_e32 v13, vcc, v13, v17, vcc
	v_add_co_u32_e32 v15, vcc, v15, v33
	v_addc_co_u32_e32 v13, vcc, 0, v13, vcc
	v_cndmask_b32_e64 v17, v19, v13, s[10:11]
	v_cndmask_b32_e64 v16, v35, v15, s[10:11]
	v_add_u32_e32 v14, s20, v14
	v_ashrrev_i32_e32 v15, 31, v14
	v_mov_b32_e32 v13, s22
	v_mbcnt_hi_u32_b32 v23, -1, v94
	v_or_b32_e32 v25, 3, v93
	v_and_b32_e32 v30, 64, v23
	v_mul_u32_u24_e32 v25, 0x210, v25
	s_mov_b32 s10, 0
	v_mov_b32_e32 v18, s10
	v_xor_b32_e32 v31, 32, v23
	v_or_b32_e32 v22, 3, v8
	s_mov_b32 s21, 0x3fb8aa3b
	s_mov_b32 s23, 0xc2ce8ed0
	v_mov_b32_e32 v24, 0x7f800000
	s_mov_b32 s8, 0x5040100
	s_waitcnt vmcnt(0) lgkmcnt(0)
	ds_write_b128 v36, v[0:3]
	flat_load_dwordx4 v[0:3], v[16:17]
	v_lshlrev_b64 v[16:17], 2, v[14:15]
	v_add_co_u32_e32 v15, vcc, s9, v16
	v_addc_co_u32_e32 v13, vcc, v13, v17, vcc
	v_add_co_u32_e32 v15, vcc, v15, v33
	v_addc_co_u32_e32 v13, vcc, 0, v13, vcc
	v_cndmask_b32_e64 v17, v19, v13, s[12:13]
	v_cndmask_b32_e64 v16, v35, v15, s[12:13]
	v_xor_b32_e32 v36, 16, v23
	s_waitcnt vmcnt(0) lgkmcnt(0)
	ds_write_b128 v12, v[0:3]
	flat_load_dwordx4 v[0:3], v[16:17]
	v_add_u32_e32 v12, s20, v14
	v_ashrrev_i32_e32 v13, 31, v12
	v_lshlrev_b64 v[14:15], 2, v[12:13]
	v_mov_b32_e32 v16, s22
	v_add_co_u32_e32 v13, vcc, s9, v14
	v_addc_co_u32_e32 v14, vcc, v16, v15, vcc
	v_add_co_u32_e32 v13, vcc, v13, v33
	v_addc_co_u32_e32 v14, vcc, 0, v14, vcc
	v_cndmask_b32_e64 v15, v19, v14, s[14:15]
	v_cndmask_b32_e64 v14, v35, v13, s[14:15]
	v_add_u32_e32 v12, s20, v12
	v_ashrrev_i32_e32 v13, 31, v12
	v_add_u32_e32 v20, s20, v12
	v_ashrrev_i32_e32 v21, 31, v20
	v_cmp_gt_u32_e64 s[14:15], s26, v8
	s_waitcnt vmcnt(0) lgkmcnt(0)
	ds_write_b128 v11, v[0:3]
	flat_load_dwordx4 v[0:3], v[14:15]
	v_lshlrev_b64 v[14:15], 2, v[12:13]
	v_mov_b32_e32 v11, s22
	v_add_co_u32_e32 v13, vcc, s9, v14
	v_addc_co_u32_e32 v11, vcc, v11, v15, vcc
	v_add_co_u32_e32 v13, vcc, v13, v33
	v_addc_co_u32_e32 v11, vcc, 0, v11, vcc
	v_cndmask_b32_e64 v15, v19, v11, s[16:17]
	v_cndmask_b32_e64 v14, v35, v13, s[16:17]
	v_mov_b32_e32 v13, s22
	s_waitcnt vmcnt(0) lgkmcnt(0)
	ds_write_b128 v10, v[0:3]
	flat_load_dwordx4 v[0:3], v[14:15]
	v_lshlrev_b64 v[10:11], 2, v[20:21]
	v_add_co_u32_e32 v10, vcc, s9, v10
	v_addc_co_u32_e32 v11, vcc, v13, v11, vcc
	v_add_co_u32_e32 v10, vcc, v10, v33
	v_addc_co_u32_e32 v11, vcc, 0, v11, vcc
	v_cndmask_b32_e64 v11, v19, v11, s[18:19]
	v_cndmask_b32_e64 v10, v35, v10, s[18:19]
	v_accvgpr_read_b32 v17, a3
	v_accvgpr_read_b32 v14, a0
	v_add_f32_e32 v26, 0x40051340, v14
	v_accvgpr_read_b32 v15, a1
	v_add_f32_e32 v27, 0x40051340, v15
	v_accvgpr_read_b32 v16, a2
	v_or_b32_e32 v21, 2, v8
	v_add_f32_e32 v28, 0x40051340, v16
	v_cmp_gt_u32_e64 s[12:13], s26, v21
	v_add_f32_e32 v29, 0x40051340, v17
	s_mov_b32 s19, 0x42b17218
	s_mov_b32 s18, 0xc1a00000
	s_waitcnt vmcnt(0) lgkmcnt(0)
	ds_write_b128 v9, v[0:3]
	flat_load_dwordx4 v[10:13], v[10:11]
	v_max_f32_e32 v0, v34, v34
	v_mul_u32_u24_e32 v3, 0x108, v6
	v_max_f32_e32 v0, v0, v26
	v_or_b32_e32 v3, v3, v90
	v_cndmask_b32_e64 v0, v34, v0, s[14:15]
	v_or_b32_e32 v2, 1, v8
	v_add_u32_e32 v26, 64, v30
	v_lshl_add_u32 v30, v3, 1, v39
	v_add3_u32 v3, v39, v25, v92
	v_max_f32_e32 v25, v0, v0
	v_mov_b32_e32 v1, s10
	v_mov_b32_e32 v9, s10
	v_max_f32_e32 v25, v25, v27
	v_cmp_gt_u32_e64 s[10:11], s26, v2
	v_cndmask_b32_e64 v0, v0, v25, s[10:11]
	v_max_f32_e32 v2, v0, v0
	v_cmp_lt_i32_e32 vcc, v31, v26
	v_max_f32_e32 v2, v2, v28
	v_cndmask_b32_e32 v8, v23, v31, vcc
	v_cmp_lt_i32_e32 vcc, v36, v26
	v_cndmask_b32_e64 v26, v16, v16, s[10:11]
	v_cndmask_b32_e64 v0, v0, v2, s[12:13]
	v_add_u32_e32 v16, s20, v20
	v_cndmask_b32_e64 v25, v17, v17, s[10:11]
	v_max_f32_e32 v2, v0, v0
	v_ashrrev_i32_e32 v17, 31, v16
	v_cndmask_b32_e32 v23, v23, v36, vcc
	v_add_u32_e32 v20, s20, v16
	v_max_f32_e32 v2, v2, v29
	v_lshlrev_b64 v[16:17], 2, v[16:17]
	v_cmp_gt_u32_e32 vcc, s26, v22
	v_lshlrev_b32_e32 v69, 2, v8
	v_mov_b32_e32 v8, s22
	v_cndmask_b32_e32 v0, v0, v2, vcc
	v_add_co_u32_e64 v2, s[16:17], s9, v16
	v_addc_co_u32_e64 v8, s[16:17], v8, v17, s[16:17]
	v_add_co_u32_e64 v2, s[16:17], v2, v33
	v_ashrrev_i32_e32 v21, 31, v20
	v_addc_co_u32_e64 v8, s[16:17], 0, v8, s[16:17]
	v_lshlrev_b64 v[16:17], 2, v[20:21]
	v_cndmask_b32_e64 v21, v19, v8, s[4:5]
	v_cndmask_b32_e64 v20, v35, v2, s[4:5]
	v_lshlrev_b32_e32 v67, 2, v23
	v_mov_b32_e32 v23, s22
	v_add_co_u32_e64 v2, s[4:5], s9, v16
	ds_bpermute_b32 v22, v69, v0
	v_max_f32_e32 v0, v0, v0
	v_mul_u32_u24_e32 v6, 0x210, v6
	v_add3_u32 v6, v39, v6, v92
	s_waitcnt lgkmcnt(0)
	v_max_f32_e32 v8, v22, v22
	v_max_f32_e32 v0, v0, v8
	ds_bpermute_b32 v8, v67, v0
	s_waitcnt vmcnt(0)
	ds_write_b128 v7, v[10:13]
	flat_load_dwordx4 v[10:13], v[20:21]
	v_addc_co_u32_e64 v7, s[4:5], v23, v17, s[4:5]
	v_add_co_u32_e64 v2, s[4:5], v2, v33
	v_addc_co_u32_e64 v7, s[4:5], 0, v7, s[4:5]
	v_cndmask_b32_e64 v17, v19, v7, s[6:7]
	v_cndmask_b32_e64 v16, v35, v2, s[6:7]
	s_waitcnt lgkmcnt(0)
	v_max_f32_e32 v2, v8, v8
	v_max_f32_e32 v2, v0, v2
	v_sub_f32_e32 v0, v14, v2
	v_sub_f32_e32 v7, v15, v2
	v_mul_f32_e32 v19, 0x3fb8aa3b, v0
	v_sub_f32_e32 v8, v26, v2
	v_sub_f32_e32 v14, v25, v2
	v_mul_f32_e32 v20, 0x3fb8aa3b, v7
	v_fma_f32 v25, v0, s21, -v19
	v_rndne_f32_e32 v26, v19
	v_mul_f32_e32 v21, 0x3fb8aa3b, v8
	v_fma_f32 v27, v7, s21, -v20
	v_rndne_f32_e32 v28, v20
	v_fmac_f32_e32 v25, 0x32a5705f, v0
	v_sub_f32_e32 v19, v19, v26
	v_sub_f32_e32 v15, v34, v2
	v_mul_f32_e32 v22, 0x3fb8aa3b, v14
	v_fma_f32 v29, v8, s21, -v21
	v_rndne_f32_e32 v31, v21
	v_fmac_f32_e32 v27, 0x32a5705f, v7
	v_sub_f32_e32 v20, v20, v28
	v_add_f32_e32 v19, v19, v25
	v_mul_f32_e32 v23, 0x3fb8aa3b, v15
	v_fma_f32 v33, v14, s21, -v22
	v_rndne_f32_e32 v34, v22
	v_cvt_i32_f32_e32 v26, v26
	v_fmac_f32_e32 v29, 0x32a5705f, v8
	v_sub_f32_e32 v21, v21, v31
	v_add_f32_e32 v20, v20, v27
	v_exp_f32_e32 v19, v19
	v_fma_f32 v35, v15, s21, -v23
	v_rndne_f32_e32 v36, v23
	v_cvt_i32_f32_e32 v28, v28
	v_fmac_f32_e32 v33, 0x32a5705f, v14
	v_sub_f32_e32 v22, v22, v34
	v_add_f32_e32 v21, v21, v29
	v_exp_f32_e32 v20, v20
	v_cvt_i32_f32_e32 v31, v31
	v_fmac_f32_e32 v35, 0x32a5705f, v15
	v_sub_f32_e32 v23, v23, v36
	v_add_f32_e32 v22, v22, v33
	v_exp_f32_e32 v21, v21
	v_cvt_i32_f32_e32 v34, v34
	v_add_f32_e32 v23, v23, v35
	v_exp_f32_e32 v22, v22
	v_cvt_i32_f32_e32 v36, v36
	v_exp_f32_e32 v23, v23
	v_ldexp_f32 v19, v19, v26
	v_cmp_ngt_f32_e64 s[4:5], s23, v0
	v_ldexp_f32 v20, v20, v28
	v_cndmask_b32_e64 v19, 0, v19, s[4:5]
	v_cmp_ngt_f32_e64 s[4:5], s23, v7
	v_ldexp_f32 v21, v21, v31
	v_cndmask_b32_e64 v20, 0, v20, s[4:5]
	;; [unrolled: 3-line block ×4, first 2 shown]
	v_cmp_ngt_f32_e64 s[4:5], s23, v15
	v_cndmask_b32_e64 v23, 0, v23, s[4:5]
	v_cmp_nlt_f32_e64 s[4:5], s19, v0
	v_cndmask_b32_e64 v0, v24, v19, s[4:5]
	v_cmp_nlt_f32_e64 s[4:5], s19, v7
	;; [unrolled: 2-line block ×3, first 2 shown]
	v_cndmask_b32_e64 v0, 0, v0, s[14:15]
	v_cndmask_b32_e64 v1, v1, v7, s[10:11]
	v_add_f32_e32 v7, v7, v0
	v_cvt_f16_f32_e32 v1, v1
	s_waitcnt vmcnt(0)
	ds_write_b128 v5, v[10:13]
	flat_load_dwordx4 v[10:13], v[16:17]
	v_cndmask_b32_e64 v5, v24, v21, s[4:5]
	v_cmp_nlt_f32_e64 s[4:5], s19, v14
	v_cndmask_b32_e64 v8, v24, v22, s[4:5]
	v_cmp_nlt_f32_e64 s[4:5], s19, v15
	v_cndmask_b32_e64 v14, v24, v23, s[4:5]
	v_cmp_le_f32_e64 s[4:5], s18, v15
	v_cndmask_b32_e64 v31, 0, v14, s[4:5]
	v_cndmask_b32_e64 v16, v18, v5, s[12:13]
	v_cndmask_b32_e32 v9, v9, v8, vcc
	v_cvt_f16_f32_e32 v14, v31
	v_cvt_f16_f32_e32 v15, v0
	;; [unrolled: 1-line block ×4, first 2 shown]
	v_cndmask_b32_e64 v0, v0, v7, s[10:11]
	v_add_f32_e32 v5, v0, v5
	v_cndmask_b32_e64 v5, v0, v5, s[12:13]
	v_add_f32_e32 v7, v5, v8
	v_pk_mul_f16 v8, v14, v130 op_sel_hi:[0,1]
	v_pk_mul_f16 v33, v14, v123 op_sel_hi:[0,1]
	;; [unrolled: 1-line block ×32, first 2 shown]
	v_pack_b32_f16 v0, v15, v1
	v_pack_b32_f16 v1, v16, v9
	v_cndmask_b32_e32 v60, v5, v7, vcc
	v_cvt_f32_f16_e32 v14, v8
	v_cvt_f32_f16_sdwa v15, v8 dst_sel:DWORD dst_unused:UNUSED_PAD src0_sel:WORD_1
	v_cvt_f32_f16_e32 v34, v33
	v_cvt_f32_f16_sdwa v35, v33 dst_sel:DWORD dst_unused:UNUSED_PAD src0_sel:WORD_1
	;; [unrolled: 2-line block ×4, first 2 shown]
	v_accvgpr_write_b32 a0, v14
	v_cvt_f32_f16_e32 v18, v19
	v_accvgpr_write_b32 a1, v15
	v_accvgpr_write_b32 a2, v16
	;; [unrolled: 1-line block ×3, first 2 shown]
	v_cvt_f32_f16_sdwa v19, v19 dst_sel:DWORD dst_unused:UNUSED_PAD src0_sel:WORD_1
	v_cvt_f32_f16_e32 v20, v21
	v_cvt_f32_f16_sdwa v21, v21 dst_sel:DWORD dst_unused:UNUSED_PAD src0_sel:WORD_1
	v_accvgpr_write_b32 a4, v18
	v_cvt_f32_f16_e32 v22, v23
	v_accvgpr_write_b32 a5, v19
	v_accvgpr_write_b32 a6, v20
	;; [unrolled: 1-line block ×3, first 2 shown]
	v_cvt_f32_f16_sdwa v23, v23 dst_sel:DWORD dst_unused:UNUSED_PAD src0_sel:WORD_1
	v_cvt_f32_f16_e32 v24, v25
	v_cvt_f32_f16_sdwa v25, v25 dst_sel:DWORD dst_unused:UNUSED_PAD src0_sel:WORD_1
	v_accvgpr_write_b32 a8, v22
	v_cvt_f32_f16_e32 v26, v27
	v_accvgpr_write_b32 a9, v23
	s_waitcnt vmcnt(0) lgkmcnt(0)
	ds_write_b128 v4, v[10:13]
	s_waitcnt lgkmcnt(0)
	s_barrier
	ds_read_u16 v4, v30
	ds_read_u16 v7, v30 offset:32
	ds_read_u16 v33, v30 offset:64
	;; [unrolled: 1-line block ×23, first 2 shown]
	ds_read_u16 v11, v3
	ds_read_u16 v83, v3 offset:32
	ds_read_u16 v84, v3 offset:64
	;; [unrolled: 1-line block ×7, first 2 shown]
	s_waitcnt lgkmcnt(7)
	v_perm_b32 v5, v11, v5, s8
	v_perm_b32 v4, v10, v4, s8
	v_accvgpr_write_b32 a10, v24
	v_accvgpr_write_b32 a11, v25
	v_mfma_f32_16x16x16f16 a[0:3], v[4:5], v[0:1], a[0:3]
	s_waitcnt lgkmcnt(6)
	v_perm_b32 v5, v83, v76, s8
	v_perm_b32 v4, v68, v7, s8
	v_cvt_f32_f16_sdwa v27, v27 dst_sel:DWORD dst_unused:UNUSED_PAD src0_sel:WORD_1
	v_cvt_f32_f16_e32 v28, v29
	v_cvt_f32_f16_sdwa v29, v29 dst_sel:DWORD dst_unused:UNUSED_PAD src0_sel:WORD_1
	v_cvt_f32_f16_sdwa v11, v39 dst_sel:DWORD dst_unused:UNUSED_PAD src0_sel:WORD_1
	v_cvt_f32_f16_e32 v10, v39
	v_mfma_f32_16x16x16f16 a[4:7], v[4:5], v[0:1], a[4:7]
	s_waitcnt lgkmcnt(5)
	v_perm_b32 v5, v84, v77, s8
	v_perm_b32 v4, v70, v33, s8
	v_accvgpr_write_b32 a12, v26
	v_accvgpr_write_b32 a13, v27
	;; [unrolled: 1-line block ×5, first 2 shown]
	v_mfma_f32_16x16x16f16 a[8:11], v[4:5], v[0:1], a[8:11]
	s_waitcnt lgkmcnt(4)
	v_perm_b32 v5, v85, v78, s8
	v_perm_b32 v4, v71, v38, s8
	v_cvt_f32_f16_e32 v36, v37
	v_cvt_f32_f16_sdwa v37, v37 dst_sel:DWORD dst_unused:UNUSED_PAD src0_sel:WORD_1
	v_accvgpr_write_b32 a22, v10
	v_accvgpr_write_b32 a21, v9
	;; [unrolled: 1-line block ×3, first 2 shown]
	v_mfma_f32_16x16x16f16 a[12:15], v[4:5], v[0:1], a[12:15]
	s_waitcnt lgkmcnt(3)
	v_perm_b32 v5, v86, v79, s8
	v_perm_b32 v4, v72, v61, s8
	s_waitcnt lgkmcnt(2)
	v_perm_b32 v9, v87, v80, s8
	v_perm_b32 v8, v73, v62, s8
	v_accvgpr_write_b32 a16, v34
	v_cvt_f32_f16_sdwa v15, v41 dst_sel:DWORD dst_unused:UNUSED_PAD src0_sel:WORD_1
	v_cvt_f32_f16_sdwa v19, v43 dst_sel:DWORD dst_unused:UNUSED_PAD src0_sel:WORD_1
	v_accvgpr_write_b32 a17, v35
	v_accvgpr_write_b32 a18, v36
	;; [unrolled: 1-line block ×3, first 2 shown]
	v_cvt_f32_f16_e32 v12, v40
	v_cvt_f32_f16_sdwa v13, v40 dst_sel:DWORD dst_unused:UNUSED_PAD src0_sel:WORD_1
	v_cvt_f32_f16_e32 v14, v41
	v_cvt_f32_f16_e32 v16, v42
	v_cvt_f32_f16_sdwa v17, v42 dst_sel:DWORD dst_unused:UNUSED_PAD src0_sel:WORD_1
	v_cvt_f32_f16_e32 v18, v43
	v_mfma_f32_16x16x16f16 a[16:19], v[4:5], v[0:1], a[16:19]
	s_waitcnt lgkmcnt(1)
	v_perm_b32 v5, v88, v81, s8
	v_perm_b32 v4, v74, v63, s8
	v_accvgpr_write_b32 a27, v15
	v_accvgpr_write_b32 a31, v19
	;; [unrolled: 1-line block ×5, first 2 shown]
	v_mfma_f32_16x16x16f16 a[20:23], v[8:9], v[0:1], a[20:23]
	s_waitcnt lgkmcnt(0)
	v_perm_b32 v9, v89, v82, s8
	v_perm_b32 v8, v75, v66, s8
	v_accvgpr_write_b32 a30, v18
	v_accvgpr_write_b32 a29, v17
	;; [unrolled: 1-line block ×3, first 2 shown]
	ds_read_u16 v7, v30 offset:256
	ds_read_u16 v10, v30 offset:288
	;; [unrolled: 1-line block ×8, first 2 shown]
	v_cvt_f32_f16_sdwa v23, v45 dst_sel:DWORD dst_unused:UNUSED_PAD src0_sel:WORD_1
	ds_read_u16 v11, v6 offset:784
	ds_read_u16 v12, v6 offset:816
	;; [unrolled: 1-line block ×8, first 2 shown]
	v_mfma_f32_16x16x16f16 a[24:27], v[4:5], v[0:1], a[24:27]
	ds_read_u16 v4, v6 offset:1312
	ds_read_u16 v13, v6 offset:1344
	;; [unrolled: 1-line block ×16, first 2 shown]
	v_cvt_f32_f16_e32 v20, v44
	v_cvt_f32_f16_sdwa v21, v44 dst_sel:DWORD dst_unused:UNUSED_PAD src0_sel:WORD_1
	v_cvt_f32_f16_e32 v22, v45
	v_cvt_f32_f16_e32 v6, v47
	s_waitcnt lgkmcnt(6)
	v_perm_b32 v13, v38, v13, s8
	v_mfma_f32_16x16x16f16 a[28:31], v[8:9], v[0:1], a[28:31]
	v_perm_b32 v8, v11, v7, s8
	v_cvt_f32_f16_sdwa v7, v47 dst_sel:DWORD dst_unused:UNUSED_PAD src0_sel:WORD_1
	v_perm_b32 v9, v5, v4, s8
	v_cvt_f32_f16_e32 v4, v46
	v_cvt_f32_f16_sdwa v5, v46 dst_sel:DWORD dst_unused:UNUSED_PAD src0_sel:WORD_1
	v_perm_b32 v12, v12, v10, s8
	v_accvgpr_write_b32 a35, v23
	v_accvgpr_write_b32 a39, v7
	;; [unrolled: 1-line block ×8, first 2 shown]
	v_cvt_f32_f16_sdwa v11, v49 dst_sel:DWORD dst_unused:UNUSED_PAD src0_sel:WORD_1
	v_mfma_f32_16x16x16f16 a[32:35], v[8:9], v[0:1], a[32:35]
	v_cvt_f32_f16_e32 v8, v48
	v_cvt_f32_f16_sdwa v9, v48 dst_sel:DWORD dst_unused:UNUSED_PAD src0_sel:WORD_1
	v_cvt_f32_f16_e32 v10, v49
	v_accvgpr_write_b32 a43, v11
	v_accvgpr_write_b32 a40, v8
	;; [unrolled: 1-line block ×4, first 2 shown]
	v_mfma_f32_16x16x16f16 a[36:39], v[12:13], v[0:1], a[36:39]
	s_waitcnt lgkmcnt(5)
	v_perm_b32 v13, v39, v30, s8
	v_perm_b32 v12, v24, v14, s8
	v_cvt_f32_f16_sdwa v7, v51 dst_sel:DWORD dst_unused:UNUSED_PAD src0_sel:WORD_1
	v_cvt_f32_f16_e32 v4, v50
	v_cvt_f32_f16_sdwa v5, v50 dst_sel:DWORD dst_unused:UNUSED_PAD src0_sel:WORD_1
	v_cvt_f32_f16_e32 v6, v51
	v_accvgpr_write_b32 a47, v7
	v_mfma_f32_16x16x16f16 a[40:43], v[12:13], v[0:1], a[40:43]
	s_waitcnt lgkmcnt(4)
	v_perm_b32 v13, v40, v33, s8
	v_perm_b32 v12, v25, v15, s8
	v_accvgpr_write_b32 a46, v6
	v_accvgpr_write_b32 a45, v5
	;; [unrolled: 1-line block ×3, first 2 shown]
	v_cvt_f32_f16_sdwa v11, v53 dst_sel:DWORD dst_unused:UNUSED_PAD src0_sel:WORD_1
	v_cvt_f32_f16_e32 v8, v52
	v_cvt_f32_f16_sdwa v9, v52 dst_sel:DWORD dst_unused:UNUSED_PAD src0_sel:WORD_1
	v_cvt_f32_f16_e32 v10, v53
	v_mfma_f32_16x16x16f16 a[44:47], v[12:13], v[0:1], a[44:47]
	s_waitcnt lgkmcnt(3)
	v_perm_b32 v13, v41, v34, s8
	v_perm_b32 v12, v26, v16, s8
	v_accvgpr_write_b32 a51, v11
	v_accvgpr_write_b32 a50, v10
	;; [unrolled: 1-line block ×4, first 2 shown]
	v_cvt_f32_f16_sdwa v7, v55 dst_sel:DWORD dst_unused:UNUSED_PAD src0_sel:WORD_1
	v_cvt_f32_f16_e32 v4, v54
	v_cvt_f32_f16_sdwa v5, v54 dst_sel:DWORD dst_unused:UNUSED_PAD src0_sel:WORD_1
	v_cvt_f32_f16_e32 v6, v55
	v_mfma_f32_16x16x16f16 a[48:51], v[12:13], v[0:1], a[48:51]
	s_waitcnt lgkmcnt(2)
	v_perm_b32 v13, v42, v35, s8
	v_perm_b32 v12, v27, v17, s8
	v_cvt_f32_f16_sdwa v11, v57 dst_sel:DWORD dst_unused:UNUSED_PAD src0_sel:WORD_1
	v_cvt_f32_f16_e32 v8, v56
	v_cvt_f32_f16_sdwa v9, v56 dst_sel:DWORD dst_unused:UNUSED_PAD src0_sel:WORD_1
	v_cvt_f32_f16_e32 v10, v57
	v_accvgpr_write_b32 a55, v7
	v_accvgpr_write_b32 a54, v6
	;; [unrolled: 1-line block ×5, first 2 shown]
	v_cvt_f32_f16_sdwa v7, v59 dst_sel:DWORD dst_unused:UNUSED_PAD src0_sel:WORD_1
	v_mfma_f32_16x16x16f16 a[52:55], v[12:13], v[0:1], a[52:55]
	s_waitcnt lgkmcnt(1)
	v_perm_b32 v13, v43, v36, s8
	v_perm_b32 v12, v28, v18, s8
	v_cvt_f32_f16_e32 v4, v58
	v_cvt_f32_f16_sdwa v5, v58 dst_sel:DWORD dst_unused:UNUSED_PAD src0_sel:WORD_1
	v_cvt_f32_f16_e32 v6, v59
	v_accvgpr_write_b32 a58, v10
	v_accvgpr_write_b32 a57, v9
	;; [unrolled: 1-line block ×3, first 2 shown]
	s_waitcnt lgkmcnt(0)
	v_perm_b32 v9, v3, v37, s8
	v_perm_b32 v8, v29, v19, s8
	v_fmac_f32_e32 v60, v32, v31
	ds_bpermute_b32 v10, v69, v60
	v_accvgpr_write_b32 a63, v7
	v_accvgpr_write_b32 a62, v6
	;; [unrolled: 1-line block ×4, first 2 shown]
	v_mfma_f32_16x16x16f16 a[56:59], v[12:13], v[0:1], a[56:59]
	v_cmp_gt_u32_e64 s[4:5], 16, v64
	s_waitcnt lgkmcnt(0)
	s_barrier
	v_mfma_f32_16x16x16f16 a[60:63], v[8:9], v[0:1], a[60:63]
	v_add_f32_e32 v0, v60, v10
	ds_bpermute_b32 v1, v67, v0
	s_and_saveexec_b64 s[6:7], s[4:5]
	s_cbranch_execz .LBB29_318
; %bb.317:
	s_waitcnt lgkmcnt(0)
	v_add_f32_e32 v0, v0, v1
	v_or_b32_e32 v1, v212, v64
	s_movk_i32 s8, 0x210
	v_mad_u32_u24 v1, v1, s8, 0
	ds_write2_b32 v1, v2, v0 offset0:128 offset1:129
.LBB29_318:
	s_or_b64 exec, exec, s[6:7]
	v_cmp_eq_u32_e32 vcc, 0, v214
	v_cmp_ne_u32_e64 s[6:7], 0, v214
	s_waitcnt lgkmcnt(0)
	s_barrier
	s_and_saveexec_b64 s[8:9], s[6:7]
	s_xor_b64 s[6:7], exec, s[8:9]
	s_cbranch_execz .LBB29_320
; %bb.319:
	s_barrier
	s_waitcnt lgkmcnt(0)
                                        ; implicit-def: $vgpr69
                                        ; implicit-def: $vgpr67
                                        ; implicit-def: $vgpr213
.LBB29_320:
	s_or_saveexec_b64 s[8:9], s[6:7]
	v_accvgpr_read_b32 v63, a3
	v_accvgpr_read_b32 v59, a7
	;; [unrolled: 1-line block ×64, first 2 shown]
	s_xor_b64 exec, exec, s[8:9]
	s_cbranch_execz .LBB29_324
; %bb.321:
	v_add_u32_e32 v66, v212, v64
	s_movk_i32 s6, 0x210
	v_mad_u32_u24 v72, v66, s6, 0
	ds_read_b64 v[70:71], v72 offset:512
	s_mov_b32 s6, 0x3fb8aa3b
	s_mov_b32 s10, 0x42b17218
	;; [unrolled: 1-line block ×3, first 2 shown]
	s_waitcnt lgkmcnt(0)
	ds_bpermute_b32 v66, v69, v70
	v_max_f32_e32 v68, v70, v70
	s_barrier
	s_waitcnt lgkmcnt(0)
	v_max_f32_e32 v66, v66, v66
	v_max_f32_e32 v66, v68, v66
	ds_bpermute_b32 v68, v67, v66
	s_waitcnt lgkmcnt(0)
	v_max_f32_e32 v68, v68, v68
	v_max_f32_e32 v66, v66, v68
	v_sub_f32_e32 v68, v70, v66
	v_mul_f32_e32 v70, 0x3fb8aa3b, v68
	v_fma_f32 v73, v68, s6, -v70
	v_rndne_f32_e32 v74, v70
	v_fmac_f32_e32 v73, 0x32a5705f, v68
	v_sub_f32_e32 v70, v70, v74
	v_add_f32_e32 v70, v70, v73
	v_cvt_i32_f32_e32 v74, v74
	v_exp_f32_e32 v70, v70
	s_mov_b32 s6, 0xc2ce8ed0
	v_cmp_ngt_f32_e64 s[6:7], s6, v68
	v_mov_b32_e32 v73, 0x7f800000
	v_ldexp_f32 v70, v70, v74
	v_cndmask_b32_e64 v70, 0, v70, s[6:7]
	v_cmp_nlt_f32_e64 s[6:7], s10, v68
	v_cndmask_b32_e64 v68, v73, v70, s[6:7]
	v_mul_f32_e32 v70, v71, v68
	ds_bpermute_b32 v69, v69, v70
	s_waitcnt lgkmcnt(0)
	v_fmac_f32_e32 v69, v71, v68
	ds_bpermute_b32 v67, v67, v69
	s_waitcnt lgkmcnt(0)
	v_add_f32_e32 v69, v69, v67
	ds_write_b64 v72, v[68:69] offset:512
	s_and_saveexec_b64 s[6:7], s[4:5]
	s_cbranch_execz .LBB29_323
; %bb.322:
	s_add_i32 s4, s65, s64
	s_lshl_b32 s10, s4, 4
	s_lshl_b64 s[4:5], s[10:11], 3
	s_add_u32 s4, s30, s4
	v_or_b32_e32 v67, v213, v64
	s_addc_u32 s5, s31, s5
	v_lshlrev_b32_e32 v68, 3, v67
	v_mov_b32_e32 v67, v69
	global_store_dwordx2 v68, v[66:67], s[4:5]
.LBB29_323:
	s_or_b64 exec, exec, s[6:7]
.LBB29_324:
	s_or_b64 exec, exec, s[8:9]
	v_cvt_f16_f32_e32 v0, v0
	v_cvt_f16_f32_e32 v1, v1
	;; [unrolled: 1-line block ×64, first 2 shown]
	v_pack_b32_f16 v0, v0, v1
	v_or_b32_e32 v1, v212, v90
	s_movk_i32 s4, 0x84
	v_mad_u32_u24 v1, v1, s4, v91
	v_pack_b32_f16 v62, v62, v63
	v_pack_b32_f16 v60, v60, v61
	s_mov_b32 s7, 0
	v_lshl_add_u32 v1, v1, 2, 0
	v_pack_b32_f16 v58, v58, v59
	v_pack_b32_f16 v56, v56, v57
	v_pack_b32_f16 v54, v54, v55
	v_pack_b32_f16 v52, v52, v53
	v_pack_b32_f16 v50, v50, v51
	v_pack_b32_f16 v48, v48, v49
	v_pack_b32_f16 v46, v46, v47
	v_pack_b32_f16 v44, v44, v45
	v_pack_b32_f16 v42, v42, v43
	v_pack_b32_f16 v40, v40, v41
	v_pack_b32_f16 v38, v38, v39
	v_pack_b32_f16 v36, v36, v37
	v_pack_b32_f16 v34, v34, v35
	v_pack_b32_f16 v32, v32, v33
	v_pack_b32_f16 v30, v30, v31
	v_pack_b32_f16 v28, v28, v29
	v_pack_b32_f16 v26, v26, v27
	v_pack_b32_f16 v24, v24, v25
	v_pack_b32_f16 v22, v22, v23
	v_pack_b32_f16 v20, v20, v21
	v_pack_b32_f16 v18, v18, v19
	v_pack_b32_f16 v16, v16, v17
	v_pack_b32_f16 v14, v14, v15
	v_pack_b32_f16 v12, v12, v13
	v_pack_b32_f16 v10, v10, v11
	v_pack_b32_f16 v8, v8, v9
	v_pack_b32_f16 v6, v6, v7
	v_pack_b32_f16 v4, v4, v5
	v_pack_b32_f16 v2, v2, v3
	ds_write2_b32 v1, v60, v62 offset1:1
	ds_write2_b32 v1, v56, v58 offset0:8 offset1:9
	ds_write2_b32 v1, v52, v54 offset0:16 offset1:17
	;; [unrolled: 1-line block ×15, first 2 shown]
	s_waitcnt lgkmcnt(0)
	s_barrier
	s_and_saveexec_b64 s[4:5], vcc
	s_cbranch_execz .LBB29_326
; %bb.325:
	s_lshl_b32 s6, s65, 5
	s_lshl_b64 s[8:9], s[6:7], 3
	s_add_u32 s8, s30, s8
	s_addc_u32 s9, s31, s9
	s_lshl_b32 s6, s64, 11
	s_lshl_b64 s[6:7], s[6:7], 3
	s_add_u32 s6, s8, s6
	v_bfe_u32 v0, v115, 2, 4
	s_movk_i32 s8, 0x3c0
	v_and_or_b32 v0, v115, s8, v0
	s_movk_i32 s8, 0x210
	v_mad_u32_u24 v12, v0, s8, 0
	v_add_u32_e32 v8, v12, v65
	ds_read2st64_b32 v[0:1], v8 offset1:1
	ds_read2st64_b32 v[2:3], v12 offset0:2 offset1:35
	ds_read2st64_b32 v[4:5], v8 offset0:33 offset1:34
	;; [unrolled: 1-line block ×4, first 2 shown]
	s_waitcnt lgkmcnt(4)
	v_cvt_f32_f16_e32 v10, v0
	v_cvt_f32_f16_sdwa v11, v0 dst_sel:DWORD dst_unused:UNUSED_PAD src0_sel:WORD_1
	ds_read2st64_b32 v[12:13], v12 offset0:68 offset1:101
	s_waitcnt lgkmcnt(3)
	v_cvt_f32_f16_e32 v14, v4
	v_cvt_f32_f16_sdwa v15, v4 dst_sel:DWORD dst_unused:UNUSED_PAD src0_sel:WORD_1
	s_waitcnt lgkmcnt(2)
	v_cvt_f32_f16_e32 v16, v6
	v_cvt_f32_f16_sdwa v17, v6 dst_sel:DWORD dst_unused:UNUSED_PAD src0_sel:WORD_1
	;; [unrolled: 3-line block ×3, first 2 shown]
	v_pk_fma_f32 v[10:11], v[2:3], v[10:11], 0 op_sel_hi:[0,1,0]
	v_mov_b32_e32 v4, v3
	v_pk_fma_f32 v[10:11], v[4:5], v[14:15], v[10:11] op_sel_hi:[0,1,1]
	v_lshlrev_b32_e32 v20, 5, v115
	s_waitcnt lgkmcnt(0)
	v_pk_fma_f32 v[10:11], v[12:13], v[16:17], v[10:11] op_sel_hi:[0,1,1]
	v_mov_b32_e32 v6, v13
	s_addc_u32 s7, s9, s7
	v_pk_fma_f32 v[10:11], v[6:7], v[18:19], v[10:11] op_sel_hi:[0,1,1]
	v_add_lshl_u32 v13, v64, v20, 3
	global_store_dwordx2 v13, v[10:11], s[6:7]
	v_cvt_f32_f16_e32 v10, v1
	v_cvt_f32_f16_sdwa v11, v1 dst_sel:DWORD dst_unused:UNUSED_PAD src0_sel:WORD_1
	v_cvt_f32_f16_e32 v14, v5
	v_cvt_f32_f16_sdwa v15, v5 dst_sel:DWORD dst_unused:UNUSED_PAD src0_sel:WORD_1
	;; [unrolled: 2-line block ×4, first 2 shown]
	v_pk_fma_f32 v[2:3], v[2:3], v[10:11], 0 op_sel_hi:[0,1,0]
	v_pk_fma_f32 v[2:3], v[4:5], v[14:15], v[2:3] op_sel_hi:[0,1,1]
	v_lshrrev_b32_e32 v0, 2, v115
	v_pk_fma_f32 v[2:3], v[12:13], v[16:17], v[2:3] op_sel_hi:[0,1,1]
	v_pk_fma_f32 v[2:3], v[6:7], v[8:9], v[2:3] op_sel_hi:[0,1,1]
	v_add_u32_e32 v1, 1, v0
	global_store_dwordx2 v13, v[2:3], s[6:7] offset:512
	v_lshlrev_b32_e32 v2, 2, v1
	v_and_b32_e32 v3, 15, v1
	s_movk_i32 s9, 0x7c0
	v_and_or_b32 v2, v2, s9, v3
	v_mad_u32_u24 v14, v2, s8, 0
	v_add_u32_e32 v10, v14, v65
	ds_read2st64_b32 v[2:3], v10 offset1:1
	ds_read2st64_b32 v[4:5], v14 offset0:2 offset1:35
	ds_read2st64_b32 v[6:7], v10 offset0:33 offset1:34
	ds_read2st64_b32 v[8:9], v10 offset0:66 offset1:67
	ds_read2st64_b32 v[10:11], v10 offset0:99 offset1:100
	s_waitcnt lgkmcnt(4)
	v_cvt_f32_f16_e32 v12, v2
	v_cvt_f32_f16_sdwa v13, v2 dst_sel:DWORD dst_unused:UNUSED_PAD src0_sel:WORD_1
	ds_read2st64_b32 v[14:15], v14 offset0:68 offset1:101
	s_waitcnt lgkmcnt(3)
	v_cvt_f32_f16_e32 v16, v6
	v_cvt_f32_f16_sdwa v17, v6 dst_sel:DWORD dst_unused:UNUSED_PAD src0_sel:WORD_1
	s_waitcnt lgkmcnt(2)
	v_cvt_f32_f16_e32 v18, v8
	v_cvt_f32_f16_sdwa v19, v8 dst_sel:DWORD dst_unused:UNUSED_PAD src0_sel:WORD_1
	s_waitcnt lgkmcnt(1)
	v_cvt_f32_f16_e32 v20, v10
	v_cvt_f32_f16_sdwa v21, v10 dst_sel:DWORD dst_unused:UNUSED_PAD src0_sel:WORD_1
	v_pk_fma_f32 v[12:13], v[4:5], v[12:13], 0 op_sel_hi:[0,1,0]
	v_mov_b32_e32 v2, v5
	v_pk_fma_f32 v[12:13], v[2:3], v[16:17], v[12:13] op_sel_hi:[0,1,1]
	v_cvt_f32_f16_e32 v16, v3
	v_cvt_f32_f16_sdwa v17, v3 dst_sel:DWORD dst_unused:UNUSED_PAD src0_sel:WORD_1
	v_lshlrev_b32_e32 v1, 7, v1
	s_waitcnt lgkmcnt(0)
	v_pk_fma_f32 v[12:13], v[14:15], v[18:19], v[12:13] op_sel_hi:[0,1,1]
	v_mov_b32_e32 v6, v15
	v_cvt_f32_f16_e32 v18, v7
	v_cvt_f32_f16_sdwa v19, v7 dst_sel:DWORD dst_unused:UNUSED_PAD src0_sel:WORD_1
	v_add_lshl_u32 v22, v64, v1, 3
	v_pk_fma_f32 v[12:13], v[6:7], v[20:21], v[12:13] op_sel_hi:[0,1,1]
	v_cvt_f32_f16_e32 v8, v9
	v_cvt_f32_f16_sdwa v9, v9 dst_sel:DWORD dst_unused:UNUSED_PAD src0_sel:WORD_1
	global_store_dwordx2 v22, v[12:13], s[6:7]
	v_add_co_u32_e32 v12, vcc, v64, v1
	v_cvt_f32_f16_e32 v10, v11
	v_cvt_f32_f16_sdwa v11, v11 dst_sel:DWORD dst_unused:UNUSED_PAD src0_sel:WORD_1
	v_addc_co_u32_e64 v13, s[10:11], 0, 0, vcc
	v_pk_fma_f32 v[4:5], v[4:5], v[16:17], 0 op_sel_hi:[0,1,0]
	v_lshlrev_b64 v[12:13], 3, v[12:13]
	v_pk_fma_f32 v[2:3], v[2:3], v[18:19], v[4:5] op_sel_hi:[0,1,1]
	v_mov_b32_e32 v1, s7
	v_add_co_u32_e32 v12, vcc, s6, v12
	v_pk_fma_f32 v[2:3], v[14:15], v[8:9], v[2:3] op_sel_hi:[0,1,1]
	v_addc_co_u32_e32 v13, vcc, v1, v13, vcc
	v_pk_fma_f32 v[2:3], v[6:7], v[10:11], v[2:3] op_sel_hi:[0,1,1]
	v_add_u32_e32 v1, 2, v0
	global_store_dwordx2 v[12:13], v[2:3], off offset:512
	v_lshlrev_b32_e32 v2, 2, v1
	v_and_b32_e32 v3, 15, v1
	v_and_or_b32 v2, v2, s9, v3
	v_mad_u32_u24 v14, v2, s8, 0
	v_add_u32_e32 v10, v14, v65
	ds_read2st64_b32 v[2:3], v10 offset1:1
	ds_read2st64_b32 v[4:5], v14 offset0:2 offset1:35
	ds_read2st64_b32 v[6:7], v10 offset0:33 offset1:34
	ds_read2st64_b32 v[8:9], v10 offset0:66 offset1:67
	ds_read2st64_b32 v[10:11], v10 offset0:99 offset1:100
	s_waitcnt lgkmcnt(4)
	v_cvt_f32_f16_e32 v12, v2
	v_cvt_f32_f16_sdwa v13, v2 dst_sel:DWORD dst_unused:UNUSED_PAD src0_sel:WORD_1
	ds_read2st64_b32 v[14:15], v14 offset0:68 offset1:101
	s_waitcnt lgkmcnt(3)
	v_cvt_f32_f16_e32 v16, v6
	v_cvt_f32_f16_sdwa v17, v6 dst_sel:DWORD dst_unused:UNUSED_PAD src0_sel:WORD_1
	s_waitcnt lgkmcnt(2)
	v_cvt_f32_f16_e32 v18, v8
	v_cvt_f32_f16_sdwa v19, v8 dst_sel:DWORD dst_unused:UNUSED_PAD src0_sel:WORD_1
	s_waitcnt lgkmcnt(1)
	v_cvt_f32_f16_e32 v20, v10
	v_cvt_f32_f16_sdwa v21, v10 dst_sel:DWORD dst_unused:UNUSED_PAD src0_sel:WORD_1
	v_pk_fma_f32 v[12:13], v[4:5], v[12:13], 0 op_sel_hi:[0,1,0]
	v_mov_b32_e32 v2, v5
	v_pk_fma_f32 v[12:13], v[2:3], v[16:17], v[12:13] op_sel_hi:[0,1,1]
	v_cvt_f32_f16_e32 v16, v3
	v_cvt_f32_f16_sdwa v17, v3 dst_sel:DWORD dst_unused:UNUSED_PAD src0_sel:WORD_1
	v_lshlrev_b32_e32 v1, 7, v1
	s_waitcnt lgkmcnt(0)
	v_pk_fma_f32 v[12:13], v[14:15], v[18:19], v[12:13] op_sel_hi:[0,1,1]
	v_mov_b32_e32 v6, v15
	v_cvt_f32_f16_e32 v18, v7
	v_cvt_f32_f16_sdwa v19, v7 dst_sel:DWORD dst_unused:UNUSED_PAD src0_sel:WORD_1
	v_add_lshl_u32 v22, v64, v1, 3
	v_pk_fma_f32 v[12:13], v[6:7], v[20:21], v[12:13] op_sel_hi:[0,1,1]
	v_cvt_f32_f16_e32 v8, v9
	v_cvt_f32_f16_sdwa v9, v9 dst_sel:DWORD dst_unused:UNUSED_PAD src0_sel:WORD_1
	global_store_dwordx2 v22, v[12:13], s[6:7]
	v_add_co_u32_e32 v12, vcc, v64, v1
	v_cvt_f32_f16_e32 v10, v11
	v_cvt_f32_f16_sdwa v11, v11 dst_sel:DWORD dst_unused:UNUSED_PAD src0_sel:WORD_1
	v_addc_co_u32_e64 v13, s[10:11], 0, 0, vcc
	v_pk_fma_f32 v[4:5], v[4:5], v[16:17], 0 op_sel_hi:[0,1,0]
	v_lshlrev_b64 v[12:13], 3, v[12:13]
	v_pk_fma_f32 v[2:3], v[2:3], v[18:19], v[4:5] op_sel_hi:[0,1,1]
	v_mov_b32_e32 v1, s7
	v_add_co_u32_e32 v12, vcc, s6, v12
	v_pk_fma_f32 v[2:3], v[14:15], v[8:9], v[2:3] op_sel_hi:[0,1,1]
	v_addc_co_u32_e32 v13, vcc, v1, v13, vcc
	v_pk_fma_f32 v[2:3], v[6:7], v[10:11], v[2:3] op_sel_hi:[0,1,1]
	v_add_u32_e32 v1, 3, v0
	global_store_dwordx2 v[12:13], v[2:3], off offset:512
	v_lshlrev_b32_e32 v2, 2, v1
	v_and_b32_e32 v3, 15, v1
	;; [unrolled: 53-line block ×13, first 2 shown]
	v_and_or_b32 v2, v2, s9, v3
	v_mad_u32_u24 v14, v2, s8, 0
	v_add_u32_e32 v10, v14, v65
	ds_read2st64_b32 v[2:3], v10 offset1:1
	ds_read2st64_b32 v[4:5], v14 offset0:2 offset1:35
	ds_read2st64_b32 v[6:7], v10 offset0:33 offset1:34
	;; [unrolled: 1-line block ×4, first 2 shown]
	s_waitcnt lgkmcnt(4)
	v_cvt_f32_f16_e32 v12, v2
	v_cvt_f32_f16_sdwa v13, v2 dst_sel:DWORD dst_unused:UNUSED_PAD src0_sel:WORD_1
	ds_read2st64_b32 v[14:15], v14 offset0:68 offset1:101
	s_waitcnt lgkmcnt(3)
	v_cvt_f32_f16_e32 v16, v6
	v_cvt_f32_f16_sdwa v17, v6 dst_sel:DWORD dst_unused:UNUSED_PAD src0_sel:WORD_1
	s_waitcnt lgkmcnt(2)
	v_cvt_f32_f16_e32 v18, v8
	v_cvt_f32_f16_sdwa v19, v8 dst_sel:DWORD dst_unused:UNUSED_PAD src0_sel:WORD_1
	s_waitcnt lgkmcnt(1)
	v_cvt_f32_f16_e32 v20, v10
	v_cvt_f32_f16_sdwa v21, v10 dst_sel:DWORD dst_unused:UNUSED_PAD src0_sel:WORD_1
	v_pk_fma_f32 v[12:13], v[4:5], v[12:13], 0 op_sel_hi:[0,1,0]
	v_mov_b32_e32 v2, v5
	v_pk_fma_f32 v[12:13], v[2:3], v[16:17], v[12:13] op_sel_hi:[0,1,1]
	v_cvt_f32_f16_e32 v16, v3
	v_cvt_f32_f16_sdwa v17, v3 dst_sel:DWORD dst_unused:UNUSED_PAD src0_sel:WORD_1
	v_lshlrev_b32_e32 v1, 7, v1
	s_waitcnt lgkmcnt(0)
	v_pk_fma_f32 v[12:13], v[14:15], v[18:19], v[12:13] op_sel_hi:[0,1,1]
	v_mov_b32_e32 v6, v15
	v_cvt_f32_f16_e32 v18, v7
	v_cvt_f32_f16_sdwa v19, v7 dst_sel:DWORD dst_unused:UNUSED_PAD src0_sel:WORD_1
	v_add_lshl_u32 v22, v64, v1, 3
	v_pk_fma_f32 v[12:13], v[6:7], v[20:21], v[12:13] op_sel_hi:[0,1,1]
	v_cvt_f32_f16_e32 v8, v9
	v_cvt_f32_f16_sdwa v9, v9 dst_sel:DWORD dst_unused:UNUSED_PAD src0_sel:WORD_1
	global_store_dwordx2 v22, v[12:13], s[6:7]
	v_add_co_u32_e32 v12, vcc, v64, v1
	v_cvt_f32_f16_e32 v10, v11
	v_cvt_f32_f16_sdwa v11, v11 dst_sel:DWORD dst_unused:UNUSED_PAD src0_sel:WORD_1
	v_addc_co_u32_e64 v13, s[10:11], 0, 0, vcc
	v_pk_fma_f32 v[4:5], v[4:5], v[16:17], 0 op_sel_hi:[0,1,0]
	v_lshlrev_b64 v[12:13], 3, v[12:13]
	v_pk_fma_f32 v[2:3], v[2:3], v[18:19], v[4:5] op_sel_hi:[0,1,1]
	v_mov_b32_e32 v1, s7
	v_add_co_u32_e32 v12, vcc, s6, v12
	v_pk_fma_f32 v[2:3], v[14:15], v[8:9], v[2:3] op_sel_hi:[0,1,1]
	v_addc_co_u32_e32 v13, vcc, v1, v13, vcc
	v_pk_fma_f32 v[2:3], v[6:7], v[10:11], v[2:3] op_sel_hi:[0,1,1]
	global_store_dwordx2 v[12:13], v[2:3], off offset:512
	v_add_u32_e32 v12, 15, v0
	v_lshlrev_b32_e32 v0, 2, v12
	v_and_b32_e32 v1, 15, v12
	v_and_or_b32 v0, v0, s9, v1
	v_mad_u32_u24 v13, v0, s8, 0
	v_add_u32_e32 v8, v13, v65
	ds_read2st64_b32 v[0:1], v8 offset1:1
	ds_read2st64_b32 v[2:3], v13 offset0:2 offset1:35
	ds_read2st64_b32 v[4:5], v8 offset0:33 offset1:34
	;; [unrolled: 1-line block ×4, first 2 shown]
	s_waitcnt lgkmcnt(4)
	v_cvt_f32_f16_e32 v10, v0
	v_cvt_f32_f16_sdwa v11, v0 dst_sel:DWORD dst_unused:UNUSED_PAD src0_sel:WORD_1
	v_lshlrev_b32_e32 v20, 7, v12
	ds_read2st64_b32 v[12:13], v13 offset0:68 offset1:101
	s_waitcnt lgkmcnt(3)
	v_cvt_f32_f16_e32 v14, v4
	v_cvt_f32_f16_sdwa v15, v4 dst_sel:DWORD dst_unused:UNUSED_PAD src0_sel:WORD_1
	s_waitcnt lgkmcnt(2)
	v_cvt_f32_f16_e32 v16, v6
	v_cvt_f32_f16_sdwa v17, v6 dst_sel:DWORD dst_unused:UNUSED_PAD src0_sel:WORD_1
	s_waitcnt lgkmcnt(1)
	v_cvt_f32_f16_e32 v18, v8
	v_cvt_f32_f16_sdwa v19, v8 dst_sel:DWORD dst_unused:UNUSED_PAD src0_sel:WORD_1
	v_pk_fma_f32 v[10:11], v[2:3], v[10:11], 0 op_sel_hi:[0,1,0]
	v_mov_b32_e32 v0, v3
	v_pk_fma_f32 v[10:11], v[0:1], v[14:15], v[10:11] op_sel_hi:[0,1,1]
	s_waitcnt lgkmcnt(0)
	v_pk_fma_f32 v[10:11], v[12:13], v[16:17], v[10:11] op_sel_hi:[0,1,1]
	v_mov_b32_e32 v4, v13
	v_add_lshl_u32 v21, v64, v20, 3
	v_pk_fma_f32 v[10:11], v[4:5], v[18:19], v[10:11] op_sel_hi:[0,1,1]
	global_store_dwordx2 v21, v[10:11], s[6:7]
	v_add_co_u32_e32 v10, vcc, v64, v20
	v_cvt_f32_f16_e32 v14, v1
	v_cvt_f32_f16_sdwa v15, v1 dst_sel:DWORD dst_unused:UNUSED_PAD src0_sel:WORD_1
	v_addc_co_u32_e64 v11, s[8:9], 0, 0, vcc
	v_cvt_f32_f16_e32 v16, v5
	v_cvt_f32_f16_sdwa v17, v5 dst_sel:DWORD dst_unused:UNUSED_PAD src0_sel:WORD_1
	v_lshlrev_b64 v[10:11], 3, v[10:11]
	v_cvt_f32_f16_e32 v6, v7
	v_cvt_f32_f16_sdwa v7, v7 dst_sel:DWORD dst_unused:UNUSED_PAD src0_sel:WORD_1
	v_mov_b32_e32 v3, s7
	v_add_co_u32_e32 v10, vcc, s6, v10
	v_cvt_f32_f16_e32 v8, v9
	v_cvt_f32_f16_sdwa v9, v9 dst_sel:DWORD dst_unused:UNUSED_PAD src0_sel:WORD_1
	v_addc_co_u32_e32 v11, vcc, v3, v11, vcc
	v_pk_fma_f32 v[2:3], v[2:3], v[14:15], 0 op_sel_hi:[0,1,0]
	v_pk_fma_f32 v[0:1], v[0:1], v[16:17], v[2:3] op_sel_hi:[0,1,1]
	;; [unrolled: 1-line block ×4, first 2 shown]
	global_store_dwordx2 v[10:11], v[0:1], off offset:512
.LBB29_326:
	s_or_b64 exec, exec, s[4:5]
	s_barrier
	s_endpgm
	.section	.rodata,"a",@progbits
	.p2align	6, 0x0
	.amdhsa_kernel _ZL18flash_attn_ext_f16ILi256ELi256ELi16ELi1ELb0ELb0EEvPKcS1_S1_S1_S1_PKiPfP15HIP_vector_typeIfLj2EEffffjfiS5_IjLj3EEiiiiiiiiiiiliiliiiiil
		.amdhsa_group_segment_fixed_size 0
		.amdhsa_private_segment_fixed_size 32
		.amdhsa_kernarg_size 464
		.amdhsa_user_sgpr_count 8
		.amdhsa_user_sgpr_private_segment_buffer 1
		.amdhsa_user_sgpr_dispatch_ptr 0
		.amdhsa_user_sgpr_queue_ptr 0
		.amdhsa_user_sgpr_kernarg_segment_ptr 1
		.amdhsa_user_sgpr_dispatch_id 0
		.amdhsa_user_sgpr_flat_scratch_init 1
		.amdhsa_user_sgpr_kernarg_preload_length 0
		.amdhsa_user_sgpr_kernarg_preload_offset 0
		.amdhsa_user_sgpr_private_segment_size 0
		.amdhsa_uses_dynamic_stack 0
		.amdhsa_system_sgpr_private_segment_wavefront_offset 1
		.amdhsa_system_sgpr_workgroup_id_x 1
		.amdhsa_system_sgpr_workgroup_id_y 0
		.amdhsa_system_sgpr_workgroup_id_z 0
		.amdhsa_system_sgpr_workgroup_info 0
		.amdhsa_system_vgpr_workitem_id 1
		.amdhsa_next_free_vgpr 334
		.amdhsa_next_free_sgpr 100
		.amdhsa_accum_offset 256
		.amdhsa_reserve_vcc 1
		.amdhsa_reserve_flat_scratch 1
		.amdhsa_float_round_mode_32 0
		.amdhsa_float_round_mode_16_64 0
		.amdhsa_float_denorm_mode_32 3
		.amdhsa_float_denorm_mode_16_64 3
		.amdhsa_dx10_clamp 1
		.amdhsa_ieee_mode 1
		.amdhsa_fp16_overflow 0
		.amdhsa_tg_split 0
		.amdhsa_exception_fp_ieee_invalid_op 0
		.amdhsa_exception_fp_denorm_src 0
		.amdhsa_exception_fp_ieee_div_zero 0
		.amdhsa_exception_fp_ieee_overflow 0
		.amdhsa_exception_fp_ieee_underflow 0
		.amdhsa_exception_fp_ieee_inexact 0
		.amdhsa_exception_int_div_zero 0
	.end_amdhsa_kernel
	.section	.text._ZL18flash_attn_ext_f16ILi256ELi256ELi16ELi1ELb0ELb0EEvPKcS1_S1_S1_S1_PKiPfP15HIP_vector_typeIfLj2EEffffjfiS5_IjLj3EEiiiiiiiiiiiliiliiiiil,"axG",@progbits,_ZL18flash_attn_ext_f16ILi256ELi256ELi16ELi1ELb0ELb0EEvPKcS1_S1_S1_S1_PKiPfP15HIP_vector_typeIfLj2EEffffjfiS5_IjLj3EEiiiiiiiiiiiliiliiiiil,comdat
.Lfunc_end29:
	.size	_ZL18flash_attn_ext_f16ILi256ELi256ELi16ELi1ELb0ELb0EEvPKcS1_S1_S1_S1_PKiPfP15HIP_vector_typeIfLj2EEffffjfiS5_IjLj3EEiiiiiiiiiiiliiliiiiil, .Lfunc_end29-_ZL18flash_attn_ext_f16ILi256ELi256ELi16ELi1ELb0ELb0EEvPKcS1_S1_S1_S1_PKiPfP15HIP_vector_typeIfLj2EEffffjfiS5_IjLj3EEiiiiiiiiiiiliiliiiiil
                                        ; -- End function
	.section	.AMDGPU.csdata,"",@progbits
; Kernel info:
; codeLenInByte = 79256
; NumSgprs: 106
; NumVgprs: 256
; NumAgprs: 78
; TotalNumVgprs: 334
; ScratchSize: 32
; MemoryBound: 0
; FloatMode: 240
; IeeeMode: 1
; LDSByteSize: 0 bytes/workgroup (compile time only)
; SGPRBlocks: 13
; VGPRBlocks: 41
; NumSGPRsForWavesPerEU: 106
; NumVGPRsForWavesPerEU: 334
; AccumOffset: 256
; Occupancy: 1
; WaveLimiterHint : 1
; COMPUTE_PGM_RSRC2:SCRATCH_EN: 1
; COMPUTE_PGM_RSRC2:USER_SGPR: 8
; COMPUTE_PGM_RSRC2:TRAP_HANDLER: 0
; COMPUTE_PGM_RSRC2:TGID_X_EN: 1
; COMPUTE_PGM_RSRC2:TGID_Y_EN: 0
; COMPUTE_PGM_RSRC2:TGID_Z_EN: 0
; COMPUTE_PGM_RSRC2:TIDIG_COMP_CNT: 1
; COMPUTE_PGM_RSRC3_GFX90A:ACCUM_OFFSET: 63
; COMPUTE_PGM_RSRC3_GFX90A:TG_SPLIT: 0
	.section	.text._ZL18flash_attn_ext_f16ILi256ELi256ELi16ELi1ELb1ELb0EEvPKcS1_S1_S1_S1_PKiPfP15HIP_vector_typeIfLj2EEffffjfiS5_IjLj3EEiiiiiiiiiiiliiliiiiil,"axG",@progbits,_ZL18flash_attn_ext_f16ILi256ELi256ELi16ELi1ELb1ELb0EEvPKcS1_S1_S1_S1_PKiPfP15HIP_vector_typeIfLj2EEffffjfiS5_IjLj3EEiiiiiiiiiiiliiliiiiil,comdat
	.globl	_ZL18flash_attn_ext_f16ILi256ELi256ELi16ELi1ELb1ELb0EEvPKcS1_S1_S1_S1_PKiPfP15HIP_vector_typeIfLj2EEffffjfiS5_IjLj3EEiiiiiiiiiiiliiliiiiil ; -- Begin function _ZL18flash_attn_ext_f16ILi256ELi256ELi16ELi1ELb1ELb0EEvPKcS1_S1_S1_S1_PKiPfP15HIP_vector_typeIfLj2EEffffjfiS5_IjLj3EEiiiiiiiiiiiliiliiiiil
	.p2align	8
	.type	_ZL18flash_attn_ext_f16ILi256ELi256ELi16ELi1ELb1ELb0EEvPKcS1_S1_S1_S1_PKiPfP15HIP_vector_typeIfLj2EEffffjfiS5_IjLj3EEiiiiiiiiiiiliiliiiiil,@function
_ZL18flash_attn_ext_f16ILi256ELi256ELi16ELi1ELb1ELb0EEvPKcS1_S1_S1_S1_PKiPfP15HIP_vector_typeIfLj2EEffffjfiS5_IjLj3EEiiiiiiiiiiiliiliiiiil: ; @_ZL18flash_attn_ext_f16ILi256ELi256ELi16ELi1ELb1ELb0EEvPKcS1_S1_S1_S1_PKiPfP15HIP_vector_typeIfLj2EEffffjfiS5_IjLj3EEiiiiiiiiiiiliiliiiiil
; %bb.0:
	s_load_dwordx2 s[14:15], s[4:5], 0x80
	s_load_dwordx4 s[24:27], s[4:5], 0x64
	s_add_u32 flat_scratch_lo, s6, s9
	s_addc_u32 flat_scratch_hi, s7, 0
	s_add_u32 s0, s0, s9
	s_addc_u32 s1, s1, 0
	s_waitcnt lgkmcnt(0)
	s_abs_i32 s6, s15
	v_mov_b32_e32 v19, v0
	v_cvt_f32_u32_e32 v0, s6
	s_sub_i32 s10, 0, s6
	s_abs_i32 s9, s25
	s_xor_b32 s7, s25, s15
	v_rcp_iflag_f32_e32 v0, v0
	s_ashr_i32 s7, s7, 31
                                        ; implicit-def: $vgpr254 : SGPR spill to VGPR lane
	s_load_dword s73, s[4:5], 0xd0
	s_mov_b32 s72, s8
	v_mul_f32_e32 v0, 0x4f7ffffe, v0
	v_cvt_u32_f32_e32 v0, v0
	s_mov_b32 s8, 0
	s_waitcnt lgkmcnt(0)
	v_cvt_f32_u32_e32 v1, s73
	v_cvt_f32_ubyte0_e32 v2, 0
	v_readfirstlane_b32 s11, v0
	s_mul_i32 s10, s10, s11
	s_mul_hi_u32 s10, s11, s10
	s_add_i32 s11, s11, s10
	s_mul_hi_u32 s10, s9, s11
	s_mul_i32 s11, s10, s6
	s_sub_i32 s9, s9, s11
	s_add_i32 s12, s10, 1
	s_sub_i32 s11, s9, s6
	s_cmp_ge_u32 s9, s6
	s_cselect_b32 s10, s12, s10
	s_cselect_b32 s9, s11, s9
	s_add_i32 s11, s10, 1
	s_cmp_ge_u32 s9, s6
	s_cselect_b32 s6, s11, s10
	s_add_i32 s9, s14, 63
	s_xor_b32 s6, s6, s7
	s_ashr_i32 s10, s9, 31
	s_sub_i32 s7, s6, s7
	s_lshr_b32 s6, s10, 26
	s_add_i32 s9, s9, s6
	s_add_i32 s6, s24, 15
	s_lshr_b32 s6, s6, 4
	s_ashr_i32 s9, s9, 6
	v_writelane_b32 v254, s6, 0
	v_writelane_b32 v254, s9, 1
	s_mul_i32 s6, s6, s9
	v_writelane_b32 v254, s7, 2
	v_writelane_b32 v254, s6, 3
	s_mul_i32 s7, s6, s7
	s_mov_b32 s6, s14
	v_writelane_b32 v254, s6, 4
	v_writelane_b32 v254, s7, 5
	s_mul_i32 s6, s7, s15
	s_mul_i32 s10, s6, s26
	v_writelane_b32 v254, s7, 6
	s_ashr_i32 s11, s10, 31
	v_writelane_b32 v254, s6, 7
	s_mul_i32 s6, s11, s72
	s_mul_hi_u32 s7, s10, s72
	s_add_i32 s9, s7, s6
	s_mul_i32 s12, s10, s72
	s_cmp_lg_u64 s[8:9], 0
	s_cbranch_scc0 .LBB30_2
; %bb.1:
	v_madmk_f32 v0, v2, 0x4f800000, v1
	v_rcp_f32_e32 v0, v0
	s_sub_u32 s8, 0, s73
	s_subb_u32 s13, 0, 0
	s_mov_b64 s[6:7], 0
	v_mul_f32_e32 v0, 0x5f7ffffc, v0
	v_mul_f32_e32 v3, 0x2f800000, v0
	v_trunc_f32_e32 v3, v3
	v_madmk_f32 v0, v3, 0xcf800000, v0
	v_cvt_u32_f32_e32 v3, v3
	v_cvt_u32_f32_e32 v0, v0
	v_readfirstlane_b32 s14, v3
	v_readfirstlane_b32 s15, v0
	s_mul_hi_u32 s17, s8, s15
	s_mul_i32 s18, s8, s14
	s_mul_i32 s16, s13, s15
	s_add_i32 s17, s17, s18
	s_add_i32 s17, s17, s16
	s_mul_i32 s19, s8, s15
	s_mul_hi_u32 s16, s15, s17
	s_mul_i32 s18, s15, s17
	s_mul_hi_u32 s15, s15, s19
	s_add_u32 s15, s15, s18
	s_addc_u32 s16, 0, s16
	s_mul_hi_u32 s20, s14, s19
	s_mul_i32 s19, s14, s19
	s_add_u32 s15, s15, s19
	s_mul_hi_u32 s18, s14, s17
	s_addc_u32 s15, s16, s20
	s_addc_u32 s16, s18, 0
	s_mul_i32 s17, s14, s17
	s_add_u32 s15, s15, s17
	s_addc_u32 s16, 0, s16
	v_add_co_u32_e32 v0, vcc, s15, v0
	s_cmp_lg_u64 vcc, 0
	s_addc_u32 s14, s14, s16
	v_readfirstlane_b32 s16, v0
	s_mul_i32 s15, s8, s14
	s_mul_hi_u32 s17, s8, s16
	s_add_i32 s15, s17, s15
	s_mul_i32 s13, s13, s16
	s_add_i32 s15, s15, s13
	s_mul_i32 s8, s8, s16
	s_mul_hi_u32 s17, s14, s8
	s_mul_i32 s18, s14, s8
	s_mul_i32 s20, s16, s15
	s_mul_hi_u32 s8, s16, s8
	s_mul_hi_u32 s19, s16, s15
	s_add_u32 s8, s8, s20
	s_addc_u32 s16, 0, s19
	s_add_u32 s8, s8, s18
	s_mul_hi_u32 s13, s14, s15
	s_addc_u32 s8, s16, s17
	s_addc_u32 s13, s13, 0
	s_mul_i32 s15, s14, s15
	s_add_u32 s8, s8, s15
	s_addc_u32 s13, 0, s13
	v_add_co_u32_e32 v0, vcc, s8, v0
	s_cmp_lg_u64 vcc, 0
	s_addc_u32 s13, s14, s13
	s_ashr_i32 s14, s9, 31
	s_add_u32 s8, s12, s14
	s_mov_b32 s15, s14
	s_addc_u32 s9, s9, s14
	s_xor_b64 s[8:9], s[8:9], s[14:15]
	v_readfirstlane_b32 s18, v0
	s_mul_i32 s17, s8, s13
	s_mul_hi_u32 s19, s8, s18
	s_mul_hi_u32 s16, s8, s13
	s_add_u32 s17, s19, s17
	s_addc_u32 s16, 0, s16
	s_mul_hi_u32 s20, s9, s18
	s_mul_i32 s18, s9, s18
	s_add_u32 s17, s17, s18
	s_mul_hi_u32 s19, s9, s13
	s_addc_u32 s16, s16, s20
	s_addc_u32 s17, s19, 0
	s_mul_i32 s13, s9, s13
	s_add_u32 s13, s16, s13
	s_addc_u32 s16, 0, s17
	s_add_u32 s17, s13, 1
	s_addc_u32 s18, s16, 0
	s_add_u32 s19, s13, 2
	s_mul_i32 s21, s73, s16
	s_mul_hi_u32 s22, s73, s13
	s_addc_u32 s20, s16, 0
	s_add_i32 s22, s22, s21
	s_mul_i32 s21, s73, s13
	v_mov_b32_e32 v0, s21
	v_sub_co_u32_e32 v0, vcc, s8, v0
	s_cmp_lg_u64 vcc, 0
	s_subb_u32 s8, s9, s22
	v_subrev_co_u32_e32 v3, vcc, s73, v0
	s_cmp_lg_u64 vcc, 0
	s_subb_u32 s9, s8, 0
	v_readfirstlane_b32 s21, v3
	s_cmp_ge_u32 s21, s73
	s_cselect_b32 s21, -1, 0
	s_cmp_eq_u32 s9, 0
	s_cselect_b32 s9, s21, -1
	s_cmp_lg_u32 s9, 0
	s_cselect_b32 s9, s20, s18
	v_readfirstlane_b32 s18, v0
	s_cselect_b32 s17, s19, s17
	s_cmp_ge_u32 s18, s73
	s_cselect_b32 s18, -1, 0
	s_cmp_eq_u32 s8, 0
	s_cselect_b32 s8, s18, -1
	s_cmp_lg_u32 s8, 0
	s_cselect_b32 s9, s9, s16
	s_cselect_b32 s8, s17, s13
	s_xor_b64 s[8:9], s[8:9], s[14:15]
	s_sub_u32 s38, s8, s14
	s_branch .LBB30_3
.LBB30_2:
	s_mov_b64 s[6:7], -1
                                        ; implicit-def: $sgpr38_sgpr39
.LBB30_3:
	s_load_dwordx2 s[8:9], s[4:5], 0x74
	v_cvt_f32_u32_e32 v0, s73
	s_andn2_b64 vcc, exec, s[6:7]
	s_waitcnt lgkmcnt(0)
	v_writelane_b32 v254, s8, 8
	v_writelane_b32 v254, s9, 9
	s_cbranch_vccnz .LBB30_5
; %bb.4:
	v_rcp_iflag_f32_e32 v3, v0
	s_sub_i32 s6, 0, s73
	v_mul_f32_e32 v3, 0x4f7ffffe, v3
	v_cvt_u32_f32_e32 v3, v3
	v_readfirstlane_b32 s7, v3
	s_mul_i32 s6, s6, s7
	s_mul_hi_u32 s6, s7, s6
	s_add_i32 s7, s7, s6
	s_mul_hi_u32 s6, s12, s7
	s_mul_i32 s8, s6, s73
	s_sub_i32 s8, s12, s8
	s_add_i32 s7, s6, 1
	s_sub_i32 s9, s8, s73
	s_cmp_ge_u32 s8, s73
	s_cselect_b32 s6, s7, s6
	s_cselect_b32 s8, s9, s8
	s_add_i32 s7, s6, 1
	s_cmp_ge_u32 s8, s73
	s_cselect_b32 s38, s7, s6
.LBB30_5:
	s_add_i32 s6, s72, 1
	s_mul_i32 s7, s11, s6
	s_mul_hi_u32 s8, s10, s6
	s_add_i32 s9, s8, s7
	s_mov_b32 s8, 0
	s_cmp_lg_u64 s[8:9], 0
	s_mul_i32 s8, s10, s6
	s_cbranch_scc0 .LBB30_7
; %bb.6:
	v_madmk_f32 v1, v2, 0x4f800000, v1
	v_rcp_f32_e32 v1, v1
	s_sub_u32 s10, 0, s73
	s_subb_u32 s11, 0, 0
	s_mov_b64 s[6:7], 0
	v_mul_f32_e32 v1, 0x5f7ffffc, v1
	v_mul_f32_e32 v2, 0x2f800000, v1
	v_trunc_f32_e32 v2, v2
	v_madmk_f32 v1, v2, 0xcf800000, v1
	v_cvt_u32_f32_e32 v2, v2
	v_cvt_u32_f32_e32 v1, v1
	v_readfirstlane_b32 s12, v2
	v_readfirstlane_b32 s13, v1
	s_mul_hi_u32 s15, s10, s13
	s_mul_i32 s16, s10, s12
	s_mul_i32 s14, s11, s13
	s_add_i32 s15, s15, s16
	s_add_i32 s15, s15, s14
	s_mul_i32 s17, s10, s13
	s_mul_hi_u32 s14, s13, s15
	s_mul_i32 s16, s13, s15
	s_mul_hi_u32 s13, s13, s17
	s_add_u32 s13, s13, s16
	s_addc_u32 s14, 0, s14
	s_mul_hi_u32 s18, s12, s17
	s_mul_i32 s17, s12, s17
	s_add_u32 s13, s13, s17
	s_mul_hi_u32 s16, s12, s15
	s_addc_u32 s13, s14, s18
	s_addc_u32 s14, s16, 0
	s_mul_i32 s15, s12, s15
	s_add_u32 s13, s13, s15
	s_addc_u32 s14, 0, s14
	v_add_co_u32_e32 v1, vcc, s13, v1
	s_cmp_lg_u64 vcc, 0
	s_addc_u32 s12, s12, s14
	v_readfirstlane_b32 s14, v1
	s_mul_i32 s13, s10, s12
	s_mul_hi_u32 s15, s10, s14
	s_add_i32 s13, s15, s13
	s_mul_i32 s11, s11, s14
	s_add_i32 s13, s13, s11
	s_mul_i32 s10, s10, s14
	s_mul_hi_u32 s15, s12, s10
	s_mul_i32 s16, s12, s10
	s_mul_i32 s18, s14, s13
	s_mul_hi_u32 s10, s14, s10
	s_mul_hi_u32 s17, s14, s13
	s_add_u32 s10, s10, s18
	s_addc_u32 s14, 0, s17
	s_add_u32 s10, s10, s16
	s_mul_hi_u32 s11, s12, s13
	s_addc_u32 s10, s14, s15
	s_addc_u32 s11, s11, 0
	s_mul_i32 s13, s12, s13
	s_add_u32 s10, s10, s13
	s_addc_u32 s11, 0, s11
	v_add_co_u32_e32 v1, vcc, s10, v1
	s_cmp_lg_u64 vcc, 0
	s_addc_u32 s14, s12, s11
	s_ashr_i32 s10, s9, 31
	s_add_u32 s12, s8, s10
	s_mov_b32 s11, s10
	s_addc_u32 s13, s9, s10
	s_xor_b64 s[12:13], s[12:13], s[10:11]
	v_readfirstlane_b32 s16, v1
	s_mul_i32 s15, s12, s14
	s_mul_hi_u32 s17, s12, s16
	s_mul_hi_u32 s9, s12, s14
	s_add_u32 s15, s17, s15
	s_addc_u32 s9, 0, s9
	s_mul_hi_u32 s18, s13, s16
	s_mul_i32 s16, s13, s16
	s_add_u32 s15, s15, s16
	s_mul_hi_u32 s17, s13, s14
	s_addc_u32 s9, s9, s18
	s_addc_u32 s15, s17, 0
	s_mul_i32 s14, s13, s14
	s_add_u32 s9, s9, s14
	s_addc_u32 s14, 0, s15
	s_add_u32 s15, s9, 1
	s_addc_u32 s16, s14, 0
	s_add_u32 s17, s9, 2
	s_mul_i32 s19, s73, s14
	s_mul_hi_u32 s20, s73, s9
	s_addc_u32 s18, s14, 0
	s_add_i32 s20, s20, s19
	s_mul_i32 s19, s73, s9
	v_mov_b32_e32 v1, s19
	v_sub_co_u32_e32 v1, vcc, s12, v1
	s_cmp_lg_u64 vcc, 0
	s_subb_u32 s12, s13, s20
	v_subrev_co_u32_e32 v2, vcc, s73, v1
	s_cmp_lg_u64 vcc, 0
	s_subb_u32 s13, s12, 0
	v_readfirstlane_b32 s19, v2
	s_cmp_ge_u32 s19, s73
	s_cselect_b32 s19, -1, 0
	s_cmp_eq_u32 s13, 0
	s_cselect_b32 s13, s19, -1
	s_cmp_lg_u32 s13, 0
	s_cselect_b32 s13, s18, s16
	v_readfirstlane_b32 s16, v1
	s_cselect_b32 s15, s17, s15
	s_cmp_ge_u32 s16, s73
	s_cselect_b32 s16, -1, 0
	s_cmp_eq_u32 s12, 0
	s_cselect_b32 s12, s16, -1
	s_cmp_lg_u32 s12, 0
	s_cselect_b32 s13, s13, s14
	s_cselect_b32 s12, s15, s9
	s_xor_b64 s[12:13], s[12:13], s[10:11]
	s_sub_u32 s10, s12, s10
	v_writelane_b32 v254, s10, 16
	v_writelane_b32 v254, s11, 17
	s_branch .LBB30_8
.LBB30_7:
	s_mov_b64 s[6:7], -1
                                        ; implicit-def: $sgpr10_sgpr11
                                        ; kill: killed $sgpr10_sgpr11
.LBB30_8:
	s_load_dwordx2 s[10:11], s[4:5], 0x5c
	v_writelane_b32 v254, s24, 10
	v_writelane_b32 v254, s25, 11
	;; [unrolled: 1-line block ×4, first 2 shown]
	s_waitcnt lgkmcnt(0)
	v_writelane_b32 v254, s10, 14
	v_writelane_b32 v254, s11, 15
	s_andn2_b64 vcc, exec, s[6:7]
	s_cbranch_vccnz .LBB30_10
; %bb.9:
	v_rcp_iflag_f32_e32 v0, v0
	s_sub_i32 s6, 0, s73
	v_mul_f32_e32 v0, 0x4f7ffffe, v0
	v_cvt_u32_f32_e32 v0, v0
	v_readfirstlane_b32 s7, v0
	s_mul_i32 s6, s6, s7
	s_mul_hi_u32 s6, s7, s6
	s_add_i32 s7, s7, s6
	s_mul_hi_u32 s6, s8, s7
	s_mul_i32 s9, s6, s73
	s_sub_i32 s8, s8, s9
	s_add_i32 s7, s6, 1
	s_sub_i32 s9, s8, s73
	s_cmp_ge_u32 s8, s73
	s_cselect_b32 s6, s7, s6
	s_cselect_b32 s8, s9, s8
	s_add_i32 s7, s6, 1
	s_cmp_ge_u32 s8, s73
	s_cselect_b32 s6, s7, s6
	v_writelane_b32 v254, s6, 16
	v_writelane_b32 v254, s7, 17
.LBB30_10:
	s_load_dwordx16 s[56:71], s[4:5], 0x0
	s_load_dwordx4 s[20:23], s[4:5], 0x40
	s_load_dwordx2 s[92:93], s[4:5], 0x50
	s_load_dwordx2 s[6:7], s[4:5], 0x8c
	s_load_dwordx4 s[8:11], s[4:5], 0x98
	s_load_dwordx2 s[12:13], s[4:5], 0xa8
	s_load_dwordx2 s[18:19], s[4:5], 0xb8
	s_nop 0
	s_load_dwordx2 s[4:5], s[4:5], 0xc8
	v_bfe_u32 v119, v19, 10, 10
	s_waitcnt lgkmcnt(0)
	s_ashr_i32 s98, s6, 2
	s_ashr_i32 s84, s10, 2
	v_writelane_b32 v254, s12, 18
	v_writelane_b32 v254, s13, 19
	;; [unrolled: 1-line block ×4, first 2 shown]
	v_readlane_b32 s12, v254, 1
	s_abs_i32 s87, s12
	v_cvt_f32_u32_e32 v0, s87
	v_readlane_b32 s52, v254, 10
	s_mov_b32 s5, s7
	v_readlane_b32 s53, v254, 11
	v_rcp_iflag_f32_e32 v0, v0
	v_readlane_b32 s54, v254, 12
	v_readlane_b32 s55, v254, 13
	v_writelane_b32 v254, s4, 22
	v_mul_f32_e32 v0, 0x4f7ffffe, v0
	v_writelane_b32 v254, s5, 23
	s_mov_b64 s[4:5], s[8:9]
	s_mov_b32 s7, s11
	v_cvt_u32_f32_e32 v0, v0
	v_writelane_b32 v254, s4, 24
	v_writelane_b32 v254, s5, 25
	;; [unrolled: 1-line block ×4, first 2 shown]
	s_sub_i32 s6, 0, s87
	v_readfirstlane_b32 s7, v0
	s_mul_i32 s6, s6, s7
	s_ashr_i32 s5, s12, 31
	s_mul_hi_u32 s6, s7, s6
	v_writelane_b32 v254, s5, 28
	s_abs_i32 s5, s38
	s_add_i32 s6, s7, s6
	v_writelane_b32 v254, s6, 29
	s_mul_hi_u32 s6, s5, s6
	s_mul_i32 s6, s6, s87
	s_sub_i32 s5, s5, s6
	s_ashr_i32 s86, s55, 3
	s_ashr_i32 s74, s19, 1
	;; [unrolled: 1-line block ×3, first 2 shown]
	s_sub_i32 s6, s5, s87
	s_cmp_ge_u32 s5, s87
	s_cselect_b32 s5, s6, s5
	s_sub_i32 s6, s5, s87
	s_cmp_ge_u32 s5, s87
	s_cselect_b32 s5, s6, s5
	s_xor_b32 s5, s5, s4
	s_sub_i32 s46, s5, s4
	v_readlane_b32 s4, v254, 16
	v_readlane_b32 s5, v254, 17
	v_writelane_b32 v254, s56, 30
	v_writelane_b32 v254, s57, 31
	;; [unrolled: 1-line block ×7, first 2 shown]
	s_mov_b32 s10, s4
	s_sub_i32 s4, s4, s38
	v_writelane_b32 v254, s63, 37
	s_add_i32 s6, s4, s46
	v_writelane_b32 v254, s64, 38
	s_min_i32 s33, s12, s6
	v_writelane_b32 v254, s65, 39
	s_cmp_gt_i32 s10, s38
	v_writelane_b32 v254, s66, 40
	s_cselect_b64 s[30:31], -1, 0
	s_cmp_le_i32 s10, s38
	v_cvt_f16_f32_e32 v0, s20
	v_writelane_b32 v254, s67, 41
	s_cselect_b64 s[4:5], -1, 0
	s_cmp_gt_i32 s12, s6
	v_writelane_b32 v254, s68, 42
	s_cselect_b64 s[6:7], -1, 0
	v_writelane_b32 v254, s69, 43
	s_or_b64 s[4:5], s[6:7], s[4:5]
	v_writelane_b32 v254, s70, 44
	s_mov_b32 s9, 0
	s_and_b64 vcc, exec, s[4:5]
	v_pack_b32_f16 v127, v0, v0
	v_lshlrev_b32_e32 v220, 2, v119
	v_add_u32_e32 v130, 4, v119
	v_add_u32_e32 v129, 8, v119
	;; [unrolled: 1-line block ×3, first 2 shown]
	v_lshlrev_b32_e32 v219, 4, v119
	v_and_b32_e32 v221, 3, v119
	v_writelane_b32 v254, s71, 45
	s_mov_b32 s8, s38
	s_cbranch_vccnz .LBB30_339
; %bb.11:
	s_cmp_lg_u64 s[62:63], 0
	v_writelane_b32 v254, s73, 46
	s_cselect_b64 s[4:5], -1, 0
	v_writelane_b32 v254, s4, 47
	v_writelane_b32 v254, s5, 48
	s_mul_i32 s4, s52, s53
	s_cmp_eq_u64 s[64:65], 0
	v_writelane_b32 v254, s4, 49
	s_cselect_b64 s[4:5], -1, 0
	v_writelane_b32 v254, s4, 50
	v_writelane_b32 v254, s5, 51
	s_mov_b64 s[6:7], s[22:23]
	s_mov_b32 s5, s21
	v_writelane_b32 v254, s4, 52
	v_writelane_b32 v254, s5, 53
	v_and_b32_e32 v42, 0x3ff, v19
	v_writelane_b32 v254, s6, 54
	v_lshrrev_b32_e32 v4, 3, v42
	v_writelane_b32 v254, s7, 55
	v_and_b32_e32 v0, 0x3f0, v220
	s_movk_i32 s6, 0x210
	v_and_b32_e32 v2, 15, v42
	v_and_b32_e32 v4, 30, v4
	v_mad_u32_u24 v1, v0, s6, 0
	v_mul_u32_u24_e32 v3, 0x210, v2
	v_lshlrev_b32_e32 v5, 2, v4
	v_add3_u32 v131, v1, v3, v5
	v_mul_u32_u24_e32 v1, 0x90, v119
	v_lshlrev_b32_e32 v6, 1, v42
	v_add3_u32 v132, 0, v1, v6
	v_lshrrev_b32_e32 v1, 5, v42
	v_lshlrev_b32_e32 v3, 2, v42
	v_lshl_add_u32 v133, v119, 1, v1
	v_and_b32_e32 v46, 0x7c, v3
	v_mul_u32_u24_e32 v1, 0x210, v133
	v_lshlrev_b32_e32 v3, 2, v46
	v_and_b32_e32 v16, 48, v219
	v_add3_u32 v134, 0, v1, v3
	v_mad_u32_u24 v1, v16, s6, 0
	v_lshrrev_b32_e32 v32, 2, v42
	v_mad_u32_u24 v3, v2, s6, v1
	v_and_b32_e32 v33, 60, v32
	v_cmp_nle_f32_e64 s[4:5], s21, 0
	v_add_u32_e32 v135, v3, v5
	v_add_u16_e32 v5, v16, v33
	v_writelane_b32 v254, s4, 56
	s_cmp_lg_u64 s[66:67], 0
	v_or_b32_e32 v0, v0, v2
	v_lshrrev_b16_e32 v5, 1, v5
	v_writelane_b32 v254, s5, 57
	s_cselect_b64 s[4:5], -1, 0
	v_mul_u32_u24_e32 v0, 0x90, v0
	v_lshlrev_b32_e32 v5, 2, v5
	s_movk_i32 s6, 0xfdf2
	v_mul_u32_u24_e32 v34, 0x108, v33
	s_lshl_b32 s8, s72, 4
	s_ashr_i32 s75, s74, 31
	s_ashr_i32 s99, s98, 31
	;; [unrolled: 1-line block ×3, first 2 shown]
	s_lshl_b32 s14, s98, 3
	v_add3_u32 v136, 0, v0, v5
	s_lshl_b32 s15, s84, 3
	v_mad_i32_i24 v137, v2, s6, v3
	v_or_b32_e32 v0, v34, v2
	s_lshl_b64 s[6:7], s[8:9], 3
	v_lshl_add_u32 v138, v0, 1, v1
	s_add_u32 s6, s70, s6
	v_or_b32_e32 v0, v220, v42
	s_addc_u32 s7, s71, s7
	v_lshlrev_b32_e32 v0, 3, v0
	v_mov_b32_e32 v1, s7
	v_add_co_u32_e32 v0, vcc, s6, v0
	v_addc_co_u32_e32 v1, vcc, 0, v1, vcc
	v_accvgpr_write_b32 a11, v1
	v_lshrrev_b32_e32 v139, 2, v119
	v_accvgpr_write_b32 a10, v0
	v_or_b32_e32 v0, v219, v2
	s_movk_i32 s8, 0x84
	v_add_u32_e32 v1, 1, v139
	s_movk_i32 s10, 0x1c0
	v_mad_u32_u24 v35, v0, s8, v4
	v_lshlrev_b32_e32 v0, 2, v1
	v_accvgpr_write_b32 a9, v1
	v_and_b32_e32 v1, 15, v1
	v_and_or_b32 v36, v0, s10, v1
	v_add_u32_e32 v1, 2, v139
	v_lshlrev_b32_e32 v0, 2, v1
	v_accvgpr_write_b32 a12, v1
	v_and_b32_e32 v1, 15, v1
	v_and_or_b32 v37, v0, s10, v1
	v_add_u32_e32 v1, 3, v139
	;; [unrolled: 5-line block ×11, first 2 shown]
	v_writelane_b32 v254, s4, 58
	v_lshlrev_b32_e32 v0, 2, v1
	v_accvgpr_write_b32 a22, v1
	v_and_b32_e32 v1, 15, v1
	v_writelane_b32 v254, s5, 59
	v_and_or_b32 v49, v0, s10, v1
	v_add_u32_e32 v1, 13, v139
	v_writelane_b32 v254, s72, 60
	v_lshlrev_b32_e32 v0, 2, v1
	v_accvgpr_write_b32 a23, v1
	v_and_b32_e32 v1, 15, v1
	v_and_or_b32 v50, v0, s10, v1
	v_add_u32_e32 v1, 14, v139
	v_readlane_b32 s22, v254, 7
	v_lshlrev_b32_e32 v0, 2, v1
	v_accvgpr_write_b32 a24, v1
	v_and_b32_e32 v1, 15, v1
	s_abs_i32 s23, s22
	v_and_or_b32 v51, v0, s10, v1
	v_cvt_f32_u32_e32 v0, s23
	v_readlane_b32 s21, v254, 6
	s_abs_i32 s24, s21
	v_cvt_f32_u32_e32 v3, s24
	v_rcp_iflag_f32_e32 v0, v0
	v_add_u32_e32 v2, 15, v139
	v_readlane_b32 s20, v254, 3
	v_lshlrev_b32_e32 v1, 2, v2
	v_accvgpr_write_b32 a25, v2
	v_and_b32_e32 v2, 15, v2
	v_mul_f32_e32 v0, 0x4f7ffffe, v0
	s_abs_i32 s25, s20
	v_and_or_b32 v52, v1, s10, v2
	v_cvt_u32_f32_e32 v0, v0
	v_rcp_iflag_f32_e32 v1, v3
	v_cvt_f32_u32_e32 v2, s25
	s_abs_i32 s26, s18
	v_readfirstlane_b32 s16, v0
	v_mul_f32_e32 v0, 0x4f7ffffe, v1
	v_rcp_iflag_f32_e32 v1, v2
	v_cvt_f32_u32_e32 v2, s26
	v_cvt_u32_f32_e32 v0, v0
	v_accvgpr_write_b32 a8, v6
	v_or_b32_e32 v32, 3, v32
	v_rcp_iflag_f32_e32 v2, v2
	v_readfirstlane_b32 s17, v0
	v_mul_u32_u24_e32 v157, 0x210, v32
	v_add_u32_e32 v32, v219, v42
	v_mul_f32_e32 v0, 0x4f7ffffe, v2
	v_cvt_u32_f32_e32 v2, v0
	v_mul_lo_u32 v0, s98, v133
	v_mul_u32_u24_e32 v159, 0x210, v32
	v_mad_u32_u24 v32, v119, s8, v42
	v_readfirstlane_b32 s19, v2
	v_add_u32_e32 v2, s14, v0
	v_add_u32_e32 v4, s14, v2
	;; [unrolled: 1-line block ×7, first 2 shown]
	s_movk_i32 s14, 0xc0
	v_lshl_add_u32 v161, v32, 2, 0
	v_bfe_u32 v32, v119, 2, 4
	v_and_or_b32 v32, v119, s14, v32
	v_add_u32_e32 v155, v16, v33
	v_mul_u32_u24_e32 v156, 0x210, v33
	v_mad_u32_u24 v33, v32, s8, v42
	v_lshl_add_u32 v162, v33, 2, 0
	v_add_u32_e32 v33, 64, v42
	v_lshl_add_u32 v158, v34, 1, v137
	v_mul_u32_u24_e32 v34, 0x210, v32
	v_mad_u32_u24 v32, v32, s8, v33
	v_lshl_add_u32 v164, v32, 2, 0
	v_mad_u32_u24 v32, v36, s8, v42
	v_lshl_add_u32 v32, v32, 2, 0
	v_accvgpr_write_b32 a27, v32
	v_mul_u32_u24_e32 v32, 0x210, v36
	v_accvgpr_write_b32 a28, v32
	v_mad_u32_u24 v32, v36, s8, v33
	v_lshl_add_u32 v32, v32, 2, 0
	v_accvgpr_write_b32 a29, v32
	v_mad_u32_u24 v32, v37, s8, v42
	v_lshl_add_u32 v32, v32, 2, 0
	v_accvgpr_write_b32 a30, v32
	v_mul_u32_u24_e32 v32, 0x210, v37
	v_accvgpr_write_b32 a31, v32
	v_mad_u32_u24 v32, v37, s8, v33
	v_lshl_add_u32 v32, v32, 2, 0
	v_accvgpr_write_b32 a32, v32
	;; [unrolled: 8-line block ×13, first 2 shown]
	v_mad_u32_u24 v32, v51, s8, v42
	v_lshl_add_u32 v32, v32, 2, 0
	v_mul_lo_u32 v16, s84, v133
	v_accvgpr_write_b32 a66, v32
	v_mul_u32_u24_e32 v32, 0x210, v51
	v_ashrrev_i32_e32 v17, 31, v16
	v_accvgpr_write_b32 a67, v32
	v_mad_u32_u24 v32, v51, s8, v33
	v_add_u32_e32 v18, s15, v16
	v_lshl_add_u32 v32, v32, 2, 0
	v_lshlrev_b64 v[50:51], 2, v[16:17]
	v_accvgpr_write_b32 a7, v19
	v_ashrrev_i32_e32 v19, 31, v18
	v_accvgpr_write_b32 a68, v32
	v_mad_u32_u24 v32, v52, s8, v33
	v_mul_u32_u24_e32 v33, 0x210, v52
	v_mov_b32_e32 v16, s61
	v_add_co_u32_e32 v17, vcc, s60, v50
	v_add_u32_e32 v20, s15, v18
	v_accvgpr_write_b32 a69, v33
	v_mad_u32_u24 v33, v52, s8, v42
	v_addc_co_u32_e32 v16, vcc, v16, v51, vcc
	v_lshlrev_b64 v[52:53], 2, v[18:19]
	v_ashrrev_i32_e32 v21, 31, v20
	v_accvgpr_write_b32 a72, v17
	v_accvgpr_write_b32 a73, v16
	v_mov_b32_e32 v16, s61
	v_add_co_u32_e32 v17, vcc, s60, v52
	v_add_u32_e32 v22, s15, v20
	v_addc_co_u32_e32 v16, vcc, v16, v53, vcc
	v_lshlrev_b64 v[54:55], 2, v[20:21]
	v_ashrrev_i32_e32 v23, 31, v22
	s_ashr_i32 s8, s22, 31
                                        ; implicit-def: $vgpr255 : SGPR spill to VGPR lane
	v_accvgpr_write_b32 a74, v17
	v_accvgpr_write_b32 a75, v16
	v_mov_b32_e32 v16, s61
	v_add_co_u32_e32 v17, vcc, s60, v54
	v_add_u32_e32 v24, s15, v22
	v_writelane_b32 v255, s8, 0
	s_sub_i32 s8, 0, s23
	v_addc_co_u32_e32 v16, vcc, v16, v55, vcc
	v_lshlrev_b64 v[56:57], 2, v[22:23]
	v_ashrrev_i32_e32 v25, 31, v24
	s_mul_i32 s8, s8, s16
	v_accvgpr_write_b32 a76, v17
	v_accvgpr_write_b32 a77, v16
	v_mov_b32_e32 v16, s61
	v_add_co_u32_e32 v17, vcc, s60, v56
	v_add_u32_e32 v26, s15, v24
	s_mul_hi_u32 s8, s16, s8
	v_addc_co_u32_e32 v16, vcc, v16, v57, vcc
	v_lshlrev_b64 v[58:59], 2, v[24:25]
	v_ashrrev_i32_e32 v27, 31, v26
	v_writelane_b32 v255, s23, 1
	s_add_i32 s8, s16, s8
	v_accvgpr_write_b32 a78, v17
	v_accvgpr_write_b32 a79, v16
	v_mov_b32_e32 v16, s61
	v_add_co_u32_e32 v17, vcc, s60, v58
	v_mul_f32_e32 v1, 0x4f7ffffe, v1
	v_add_u32_e32 v28, s15, v26
	v_writelane_b32 v255, s8, 2
	s_ashr_i32 s8, s21, 31
	v_addc_co_u32_e32 v16, vcc, v16, v59, vcc
	v_lshlrev_b64 v[60:61], 2, v[26:27]
	v_cvt_u32_f32_e32 v1, v1
	v_ashrrev_i32_e32 v29, 31, v28
	v_writelane_b32 v255, s8, 3
	s_sub_i32 s8, 0, s24
	v_accvgpr_write_b32 a80, v17
	v_accvgpr_write_b32 a81, v16
	v_mov_b32_e32 v16, s61
	v_add_co_u32_e32 v17, vcc, s60, v60
	v_add_u32_e32 v30, s15, v28
	s_mul_i32 s8, s8, s17
	v_addc_co_u32_e32 v16, vcc, v16, v61, vcc
	v_lshlrev_b64 v[62:63], 2, v[28:29]
	v_ashrrev_i32_e32 v31, 31, v30
	s_mul_hi_u32 s8, s17, s8
	v_accvgpr_write_b32 a82, v17
	v_accvgpr_write_b32 a83, v16
	v_mov_b32_e32 v16, s61
	v_add_co_u32_e32 v17, vcc, s60, v62
	v_writelane_b32 v255, s24, 4
	s_add_i32 s8, s17, s8
	v_addc_co_u32_e32 v223, vcc, v16, v63, vcc
	v_lshlrev_b64 v[64:65], 2, v[30:31]
	s_mov_b32 s6, s18
	v_readfirstlane_b32 s18, v1
	v_ashrrev_i32_e32 v1, 31, v0
	v_writelane_b32 v255, s8, 5
	s_ashr_i32 s8, s20, 31
	v_add_co_u32_e32 v224, vcc, s60, v64
	v_writelane_b32 v255, s8, 6
	s_sub_i32 s8, 0, s25
	v_addc_co_u32_e32 v225, vcc, v16, v65, vcc
	v_lshlrev_b64 v[66:67], 2, v[0:1]
	v_ashrrev_i32_e32 v3, 31, v2
	s_mul_i32 s8, s8, s18
	v_mov_b32_e32 v0, s59
	v_add_co_u32_e32 v226, vcc, s58, v66
	s_mul_hi_u32 s8, s18, s8
	v_addc_co_u32_e32 v227, vcc, v0, v67, vcc
	v_lshlrev_b64 v[68:69], 2, v[2:3]
	v_ashrrev_i32_e32 v5, 31, v4
	v_writelane_b32 v255, s25, 7
	s_add_i32 s8, s18, s8
	v_add_co_u32_e32 v228, vcc, s58, v68
	v_writelane_b32 v255, s8, 8
	s_sub_i32 s8, 0, s26
	v_addc_co_u32_e32 v229, vcc, v0, v69, vcc
	v_lshlrev_b64 v[70:71], 2, v[4:5]
	v_ashrrev_i32_e32 v7, 31, v6
	s_mul_i32 s8, s8, s19
	v_add_co_u32_e32 v230, vcc, s58, v70
	s_mul_hi_u32 s8, s19, s8
	v_addc_co_u32_e32 v231, vcc, v0, v71, vcc
	v_lshlrev_b64 v[72:73], 2, v[6:7]
	v_ashrrev_i32_e32 v9, 31, v8
	v_writelane_b32 v255, s26, 9
	s_add_i32 s8, s19, s8
	v_add_co_u32_e32 v232, vcc, s58, v72
	v_writelane_b32 v255, s8, 10
	v_addc_co_u32_e32 v233, vcc, v0, v73, vcc
	v_lshlrev_b64 v[74:75], 2, v[8:9]
	v_cmp_eq_u32_e64 s[30:31], 0, v221
	v_ashrrev_i32_e32 v11, 31, v10
	v_add_co_u32_e32 v234, vcc, s58, v74
	v_writelane_b32 v255, s30, 11
	v_addc_co_u32_e32 v235, vcc, v0, v75, vcc
	v_lshlrev_b64 v[76:77], 2, v[10:11]
	v_writelane_b32 v255, s31, 12
	v_cmp_ne_u32_e64 s[30:31], 0, v221
	v_ashrrev_i32_e32 v13, 31, v12
	v_add_co_u32_e32 v236, vcc, s58, v76
	v_writelane_b32 v255, s30, 13
	v_addc_co_u32_e32 v237, vcc, v0, v77, vcc
	v_lshlrev_b64 v[78:79], 2, v[12:13]
	v_writelane_b32 v255, s31, 14
	v_cmp_gt_u32_e64 s[30:31], 16, v42
	v_ashrrev_i32_e32 v15, 31, v14
	v_add_co_u32_e32 v238, vcc, s58, v78
	v_writelane_b32 v255, s30, 15
	v_addc_co_u32_e32 v239, vcc, v0, v79, vcc
	v_lshlrev_b64 v[80:81], 2, v[14:15]
	v_writelane_b32 v255, s31, 16
	s_mov_b32 s8, s74
	v_add_co_u32_e32 v240, vcc, s58, v80
	v_writelane_b32 v255, s8, 17
	v_writelane_b32 v254, s6, 61
	v_addc_co_u32_e32 v241, vcc, v0, v81, vcc
	v_mbcnt_lo_u32_b32 v0, -1, 0
	v_writelane_b32 v255, s9, 18
	s_lshl_b64 s[30:31], s[74:75], 1
	s_mov_b64 s[36:37], src_private_base
	v_writelane_b32 v254, s7, 62
	s_lshl_b32 s15, s53, 7
	v_lshl_add_u32 v33, v33, 2, 0
	v_lshl_add_u32 v32, v32, 2, 0
	v_mbcnt_hi_u32_b32 v242, -1, v0
	v_and_b32_e32 v0, 31, v42
	v_writelane_b32 v255, s30, 19
	v_cmp_gt_u32_e64 s[4:5], 64, v42
	v_accvgpr_write_b32 a5, v220
	s_mov_b32 s88, 0
	v_cmp_gt_u32_e64 s[6:7], 64, v133
	v_cmp_gt_u32_e64 s[54:55], 56, v133
	;; [unrolled: 1-line block ×4, first 2 shown]
	s_movk_i32 s96, 0x80
	v_accvgpr_write_b32 a4, v219
	v_lshl_add_u32 v160, v35, 2, 0
	v_writelane_b32 v254, s15, 63
	v_accvgpr_write_b32 a26, v34
	v_accvgpr_write_b32 a70, v33
	;; [unrolled: 1-line block ×4, first 2 shown]
	s_mov_b32 s97, 0x42b17218
	s_mov_b32 s65, 0x3fb8aa3b
	;; [unrolled: 1-line block ×3, first 2 shown]
	s_brev_b32 s89, -2
	s_mov_b32 s95, 0x3f200000
	s_mov_b32 s94, 0xc1a00000
	;; [unrolled: 1-line block ×3, first 2 shown]
	v_mov_b32_e32 v243, 0
	v_add_u32_e32 v244, 0x240, v132
	v_add_u32_e32 v245, 0x480, v132
	;; [unrolled: 1-line block ×32, first 2 shown]
	v_or_b32_e32 v184, 1, v155
	v_or_b32_e32 v188, 2, v155
	;; [unrolled: 1-line block ×3, first 2 shown]
	v_lshlrev_b32_e32 v82, 4, v0
	v_mov_b32_e32 v210, 0x3ecccdef
	v_mov_b32_e32 v185, 0xbd5c1c4e
	;; [unrolled: 1-line block ×7, first 2 shown]
	v_cmp_gt_u32_e64 s[14:15], 32, v133
	v_cmp_gt_u32_e64 s[16:17], 24, v133
	;; [unrolled: 1-line block ×8, first 2 shown]
	v_accvgpr_write_b32 a6, v221
	v_writelane_b32 v255, s31, 20
	s_lshl_b64 s[90:91], s[84:85], 8
	s_lshl_b64 s[34:35], s[98:99], 8
	s_mov_b32 s50, s38
	s_branch .LBB30_14
.LBB30_12:                              ;   in Loop: Header=BB30_14 Depth=1
	s_or_b64 exec, exec, s[30:31]
	s_barrier
.LBB30_13:                              ;   in Loop: Header=BB30_14 Depth=1
	v_readlane_b32 s39, v254, 1
	s_add_i32 s8, s48, s39
	s_abs_i32 s31, s8
	v_readlane_b32 s33, v254, 29
	s_mul_hi_u32 s38, s31, s33
	s_mul_i32 s38, s38, s87
	s_sub_i32 s31, s31, s38
	s_ashr_i32 s30, s8, 31
	s_sub_i32 s38, s31, s87
	s_cmp_ge_u32 s31, s87
	s_cselect_b32 s31, s38, s31
	s_sub_i32 s38, s31, s87
	s_cmp_ge_u32 s31, s87
	s_cselect_b32 s31, s38, s31
	s_xor_b32 s31, s31, s30
	s_sub_i32 s30, s30, s31
	s_add_i32 s50, s8, s30
	v_readlane_b32 s30, v254, 16
	s_sub_i32 s8, s30, s50
	s_min_i32 s33, s39, s8
	v_readlane_b32 s31, v254, 17
	s_cmp_gt_i32 s30, s50
	s_cselect_b64 s[30:31], -1, 0
	s_cmp_le_i32 s39, s8
	s_cselect_b64 s[38:39], -1, 0
	s_and_b64 s[38:39], s[38:39], s[30:31]
	s_mov_b32 s46, 0
	s_and_b64 vcc, exec, s[38:39]
	s_cbranch_vccz .LBB30_341
.LBB30_14:                              ; =>This Loop Header: Depth=1
                                        ;     Child Loop BB30_202 Depth 2
                                        ;     Child Loop BB30_43 Depth 2
	s_ashr_i32 s8, s50, 31
	v_readlane_b32 s30, v255, 0
	s_xor_b32 s8, s8, s30
	s_abs_i32 s30, s50
	v_readlane_b32 s31, v255, 2
	s_mul_hi_u32 s31, s30, s31
	v_readlane_b32 s40, v255, 1
	s_mul_i32 s38, s31, s40
	s_sub_i32 s30, s30, s38
	s_add_i32 s38, s31, 1
	s_sub_i32 s39, s30, s40
	s_cmp_ge_u32 s30, s40
	s_cselect_b32 s31, s38, s31
	s_cselect_b32 s30, s39, s30
	s_add_i32 s38, s31, 1
	s_cmp_ge_u32 s30, s40
	s_cselect_b32 s30, s38, s31
	s_xor_b32 s30, s30, s8
	s_sub_i32 s47, s30, s8
	v_readlane_b32 s30, v254, 47
	v_readlane_b32 s31, v254, 48
	s_ashr_i32 s48, s47, 31
	s_andn2_b64 vcc, exec, s[30:31]
	s_mov_b64 s[66:67], 0
	s_cbranch_vccnz .LBB30_16
; %bb.15:                               ;   in Loop: Header=BB30_14 Depth=1
	s_abs_i32 s8, s47
	v_readlane_b32 s30, v255, 10
	s_mul_hi_u32 s30, s8, s30
	v_readlane_b32 s31, v255, 9
	s_mul_i32 s30, s30, s31
	s_sub_i32 s8, s8, s30
	s_sub_i32 s30, s8, s31
	s_cmp_ge_u32 s8, s31
	s_cselect_b32 s8, s30, s8
	s_sub_i32 s30, s8, s31
	s_cmp_ge_u32 s8, s31
	s_cselect_b32 s8, s30, s8
	s_xor_b32 s8, s8, s48
	v_readlane_b32 s40, v254, 20
	s_sub_i32 s8, s8, s48
	v_readlane_b32 s41, v254, 21
	s_ashr_i32 s30, s8, 31
	s_mul_i32 s31, s8, s41
	s_mul_hi_u32 s38, s8, s40
	s_add_i32 s31, s38, s31
	s_mul_i32 s30, s30, s40
	v_readlane_b32 s68, v254, 30
	s_add_i32 s31, s31, s30
	s_mul_i32 s8, s8, s40
	v_readlane_b32 s74, v254, 36
	v_readlane_b32 s75, v254, 37
	s_add_u32 s66, s74, s8
	s_addc_u32 s67, s75, s31
	v_readlane_b32 s69, v254, 31
	v_readlane_b32 s70, v254, 32
	;; [unrolled: 1-line block ×13, first 2 shown]
.LBB30_16:                              ;   in Loop: Header=BB30_14 Depth=1
	v_readlane_b32 s8, v254, 7
	s_mul_i32 s8, s47, s8
	s_sub_i32 s8, s50, s8
	s_ashr_i32 s30, s8, 31
	v_readlane_b32 s31, v255, 3
	s_xor_b32 s30, s30, s31
	s_abs_i32 s31, s8
	v_readlane_b32 s38, v255, 5
	s_mul_hi_u32 s38, s31, s38
	v_readlane_b32 s41, v255, 4
	s_mul_i32 s39, s38, s41
	s_sub_i32 s31, s31, s39
	s_add_i32 s39, s38, 1
	s_sub_i32 s40, s31, s41
	s_cmp_ge_u32 s31, s41
	s_cselect_b32 s38, s39, s38
	s_cselect_b32 s31, s40, s31
	s_add_i32 s39, s38, 1
	s_cmp_ge_u32 s31, s41
	s_cselect_b32 s31, s39, s38
	s_xor_b32 s31, s31, s30
	s_sub_i32 s49, s31, s30
	v_readlane_b32 s30, v254, 6
	s_mul_i32 s30, s49, s30
	s_sub_i32 s8, s8, s30
	s_ashr_i32 s30, s8, 31
	v_readlane_b32 s31, v255, 6
	s_xor_b32 s30, s30, s31
	s_abs_i32 s31, s8
	v_readlane_b32 s38, v255, 8
	s_mul_hi_u32 s38, s31, s38
	v_readlane_b32 s41, v255, 7
	s_mul_i32 s39, s38, s41
	s_sub_i32 s31, s31, s39
	s_add_i32 s39, s38, 1
	s_sub_i32 s40, s31, s41
	s_cmp_ge_u32 s31, s41
	s_cselect_b32 s38, s39, s38
	s_cselect_b32 s31, s40, s31
	s_add_i32 s39, s38, 1
	s_cmp_ge_u32 s31, s41
	s_cselect_b32 s31, s39, s38
	s_xor_b32 s31, s31, s30
	s_sub_i32 s30, s31, s30
	v_readlane_b32 s31, v254, 2
	v_readlane_b32 s38, v254, 56
	s_mul_i32 s31, s49, s31
	v_readlane_b32 s39, v254, 57
	s_add_i32 s44, s31, s30
	s_andn2_b64 vcc, exec, s[38:39]
	v_mov_b32_e32 v84, 1.0
	s_cbranch_vccnz .LBB30_18
; %bb.17:                               ;   in Loop: Header=BB30_14 Depth=1
	s_sub_i32 s38, s44, s92
	s_lshl_b32 s38, s38, 1
	s_add_i32 s31, s44, 1
	s_or_b32 s40, s38, 1
	s_cmp_lt_u32 s44, s92
	v_readlane_b32 s56, v254, 52
	v_readlane_b32 s58, v254, 54
	;; [unrolled: 1-line block ×3, first 2 shown]
	s_cselect_b64 vcc, -1, 0
	s_mov_b64 s[42:43], s[58:59]
	s_and_b64 s[38:39], vcc, exec
	v_mov_b32_e32 v0, s43
	v_mov_b32_e32 v1, s42
	s_cselect_b32 s31, s31, s40
	v_cndmask_b32_e32 v16, v0, v1, vcc
	v_cvt_f32_i32_e32 v0, s31
	v_cmp_neq_f32_e32 vcc, 1.0, v16
	s_mov_b32 s31, 0x3f2aaaab
	s_mov_b32 s40, 0x7f800000
	v_cndmask_b32_e32 v17, 1.0, v0, vcc
	v_cmp_eq_f32_e32 vcc, 0, v17
	v_cndmask_b32_e64 v18, |v16|, 1.0, vcc
	v_frexp_mant_f32_e32 v0, v18
	v_cmp_gt_f32_e64 s[38:39], s31, v0
	v_cndmask_b32_e64 v1, 1.0, 2.0, s[38:39]
	v_mul_f32_e32 v0, v0, v1
	v_add_f32_e32 v3, 1.0, v0
	v_rcp_f32_e32 v8, v3
	v_add_f32_e32 v1, -1.0, v3
	v_sub_f32_e32 v5, v0, v1
	v_add_f32_e32 v1, -1.0, v0
	v_mul_f32_e32 v9, v1, v8
	v_mul_f32_e32 v2, v3, v9
	v_fma_f32 v4, v9, v3, -v2
	v_fmac_f32_e32 v4, v9, v5
	v_add_f32_e32 v0, v2, v4
	v_sub_f32_e32 v3, v1, v0
	v_pk_add_f32 v[6:7], v[0:1], v[2:3] neg_lo:[0,1] neg_hi:[0,1]
	v_mov_b32_e32 v5, v0
	v_pk_add_f32 v[0:1], v[6:7], v[4:5] neg_lo:[0,1] neg_hi:[0,1]
	v_add_f32_e32 v0, v0, v1
	v_add_f32_e32 v0, v3, v0
	v_mul_f32_e32 v1, v8, v0
	v_add_f32_e32 v0, v9, v1
	v_sub_f32_e32 v2, v0, v9
	v_sub_f32_e32 v10, v1, v2
	v_mul_f32_e32 v1, v0, v0
	v_fma_f32 v3, v0, v0, -v1
	v_add_f32_e32 v2, v10, v10
	v_fmac_f32_e32 v3, v0, v2
	v_add_f32_e32 v2, v1, v3
	v_mov_b32_e32 v4, 0x3e91f4c4
	v_fmac_f32_e32 v4, 0x3e76c4e1, v2
	v_fma_f32 v4, v2, v4, v210
	v_sub_f32_e32 v1, v2, v1
	v_sub_f32_e32 v11, v3, v1
	v_mul_f32_e32 v1, v2, v4
	v_fma_f32 v3, v2, v4, -v1
	v_fmac_f32_e32 v3, v11, v4
	v_add_f32_e32 v4, v1, v3
	v_add_f32_e32 v5, 0x3f2aaaaa, v4
	v_sub_f32_e32 v1, v4, v1
	v_sub_f32_e32 v1, v3, v1
	v_add_f32_e32 v3, 0xbf2aaaaa, v5
	v_add_f32_e32 v1, 0x31739010, v1
	v_sub_f32_e32 v3, v4, v3
	v_pk_mul_f32 v[6:7], v[0:1], v[2:3]
	v_fma_f32 v4, v2, v0, -v6
	v_pk_add_f32 v[8:9], v[0:1], v[2:3]
	v_fmac_f32_e32 v4, v2, v10
	v_mov_b32_e32 v7, v9
	v_fmac_f32_e32 v4, v11, v0
	v_pk_add_f32 v[2:3], v[6:7], v[4:5]
	v_sub_f32_e32 v1, v2, v6
	v_sub_f32_e32 v1, v4, v1
	;; [unrolled: 1-line block ×3, first 2 shown]
	v_add_f32_e32 v8, v9, v4
	v_mov_b32_e32 v4, v3
	v_pk_mul_f32 v[4:5], v[2:3], v[4:5]
	v_cvt_f64_f32_e32 v[6:7], v18
	v_frexp_exp_i32_f64_e32 v5, v[6:7]
	v_subbrev_co_u32_e64 v5, s[38:39], 0, v5, s[38:39]
	v_cvt_f32_i32_e32 v5, v5
	v_fma_f32 v6, v2, v3, -v4
	v_fmac_f32_e32 v6, v2, v8
	s_mov_b32 s31, 0x3f317218
	v_mul_f32_e32 v2, 0x3f317218, v5
	v_fmac_f32_e32 v6, v1, v3
	v_fma_f32 v8, v5, s31, -v2
	v_fmac_f32_e32 v8, 0xb102e308, v5
	v_ldexp_f32 v9, v0, 1
	v_add_f32_e32 v3, v4, v6
	v_pk_add_f32 v[0:1], v[2:3], v[8:9]
	v_ldexp_f32 v12, v10, 1
	v_mov_b32_e32 v10, v3
	v_mov_b32_e32 v11, v1
	;; [unrolled: 1-line block ×3, first 2 shown]
	v_pk_add_f32 v[4:5], v[10:11], v[4:5] neg_lo:[0,1] neg_hi:[0,1]
	v_mov_b32_e32 v7, v3
	v_pk_add_f32 v[4:5], v[6:7], v[4:5] neg_lo:[0,1] neg_hi:[0,1]
	v_add_f32_e32 v3, v12, v4
	v_add_f32_e32 v3, v3, v5
	v_pk_add_f32 v[4:5], v[0:1], v[2:3] neg_lo:[0,1] neg_hi:[0,1]
	v_pk_add_f32 v[6:7], v[0:1], v[2:3]
	v_mov_b32_e32 v10, v4
	v_mov_b32_e32 v11, v7
	;; [unrolled: 1-line block ×3, first 2 shown]
	v_pk_add_f32 v[10:11], v[8:9], v[10:11]
	v_mov_b32_e32 v2, v11
	v_pk_add_f32 v[12:13], v[2:3], v[0:1] neg_lo:[0,1] neg_hi:[0,1]
	v_mov_b32_e32 v13, v12
	v_mov_b32_e32 v10, v7
	;; [unrolled: 1-line block ×4, first 2 shown]
	v_pk_add_f32 v[4:5], v[8:9], v[4:5] neg_lo:[0,1] neg_hi:[0,1]
	v_pk_add_f32 v[14:15], v[6:7], v[12:13] neg_lo:[0,1] neg_hi:[0,1]
	;; [unrolled: 1-line block ×3, first 2 shown]
	v_mov_b32_e32 v8, v3
	v_pk_add_f32 v[0:1], v[8:9], v[0:1] neg_lo:[0,1] neg_hi:[0,1]
	v_mov_b32_e32 v14, v4
	v_pk_add_f32 v[6:7], v[14:15], v[0:1]
	v_mov_b32_e32 v8, v7
	v_pk_add_f32 v[8:9], v[6:7], v[8:9]
	v_pk_add_f32 v[2:3], v[2:3], v[8:9]
	v_mov_b32_e32 v5, v11
	v_mov_b32_e32 v7, v2
	v_pk_add_f32 v[10:11], v[6:7], v[4:5] neg_lo:[0,1] neg_hi:[0,1]
	v_mov_b32_e32 v1, v8
	v_sub_f32_e32 v3, v6, v10
	v_pk_add_f32 v[0:1], v[0:1], v[10:11] neg_lo:[0,1] neg_hi:[0,1]
	v_sub_f32_e32 v3, v4, v3
	v_add_f32_e32 v0, v0, v3
	v_add_f32_e32 v0, v0, v1
	;; [unrolled: 1-line block ×3, first 2 shown]
	v_sub_f32_e32 v2, v1, v2
	v_sub_f32_e32 v0, v0, v2
	v_mul_f32_e32 v2, v17, v1
	v_fma_f32 v1, v17, v1, -v2
	v_fmac_f32_e32 v1, v17, v0
	s_movk_i32 s31, 0x204
	v_add_f32_e32 v0, v2, v1
	v_cmp_class_f32_e64 s[38:39], v2, s31
	v_sub_f32_e32 v3, v0, v2
	v_cndmask_b32_e64 v0, v0, v2, s[38:39]
	v_cmp_eq_f32_e64 s[38:39], s97, v0
	v_cndmask_b32_e64 v2, 0, v211, s[38:39]
	v_sub_f32_e32 v1, v1, v3
	v_sub_f32_e32 v3, v0, v2
	v_mul_f32_e32 v4, 0x3fb8aa3b, v3
	v_fma_f32 v5, v3, s65, -v4
	v_rndne_f32_e32 v6, v4
	v_fmac_f32_e32 v5, 0x32a5705f, v3
	v_sub_f32_e32 v4, v4, v6
	v_add_f32_e32 v4, v4, v5
	v_exp_f32_e32 v4, v4
	v_cvt_i32_f32_e32 v5, v6
	v_cmp_neq_f32_e64 s[38:39], |v0|, s40
	v_cndmask_b32_e64 v0, 0, v1, s[38:39]
	v_cmp_ngt_f32_e64 s[38:39], s36, v3
	v_ldexp_f32 v1, v4, v5
	v_cndmask_b32_e64 v1, 0, v1, s[38:39]
	v_cmp_nlt_f32_e64 s[38:39], s97, v3
	v_add_f32_e32 v0, v2, v0
	v_cndmask_b32_e64 v1, v180, v1, s[38:39]
	v_fma_f32 v0, v1, v0, v1
	v_cmp_class_f32_e64 s[38:39], v1, s31
	v_trunc_f32_e32 v2, v17
	v_cndmask_b32_e64 v0, v0, v1, s[38:39]
	v_cndmask_b32_e64 v1, v16, 1.0, vcc
	v_cmp_eq_f32_e32 vcc, v2, v17
	v_mul_f32_e32 v2, 0.5, v17
	v_trunc_f32_e32 v3, v2
	v_cmp_neq_f32_e64 s[38:39], v3, v2
	s_and_b64 s[38:39], vcc, s[38:39]
	v_cndmask_b32_e64 v2, 1.0, v1, s[38:39]
	v_bfi_b32 v0, s89, v0, v2
	v_cndmask_b32_e32 v2, v175, v0, vcc
	v_cmp_gt_f32_e32 vcc, 0, v1
	v_cndmask_b32_e32 v0, v0, v2, vcc
	v_cmp_eq_f32_e32 vcc, s40, v18
	v_cmp_eq_f32_e64 s[40:41], 0, v1
	v_cmp_gt_f32_e64 s[42:43], 0, v17
	s_xor_b64 s[42:43], s[42:43], s[40:41]
	v_cndmask_b32_e64 v2, v180, 0, s[42:43]
	v_cndmask_b32_e64 v3, 0, v1, s[38:39]
	v_bfi_b32 v2, s89, v2, v3
	s_or_b64 vcc, vcc, s[40:41]
	v_cndmask_b32_e32 v0, v0, v2, vcc
	v_cmp_o_f32_e32 vcc, v1, v1
	v_cndmask_b32_e32 v84, v175, v0, vcc
	v_readlane_b32 s57, v254, 53
.LBB30_18:                              ;   in Loop: Header=BB30_14 Depth=1
	v_readlane_b32 s31, v254, 3
	s_mul_i32 s30, s30, s31
	s_sub_i32 s8, s8, s30
	s_ashr_i32 s30, s8, 31
	v_readlane_b32 s31, v254, 28
	s_xor_b32 s30, s30, s31
	s_abs_i32 s8, s8
	v_readlane_b32 s31, v254, 29
	s_mul_hi_u32 s31, s8, s31
	s_mul_i32 s38, s31, s87
	s_sub_i32 s8, s8, s38
	s_add_i32 s38, s31, 1
	s_sub_i32 s39, s8, s87
	s_cmp_ge_u32 s8, s87
	s_cselect_b32 s31, s38, s31
	s_cselect_b32 s8, s39, s8
	s_add_i32 s38, s31, 1
	s_cmp_ge_u32 s8, s87
	s_cselect_b32 s8, s38, s31
	v_readlane_b32 s38, v254, 58
	s_xor_b32 s8, s8, s30
	v_readlane_b32 s39, v254, 59
	v_writelane_b32 v255, s50, 21
	s_andn2_b64 vcc, exec, s[38:39]
	s_sub_i32 s53, s8, s30
	v_writelane_b32 v255, s51, 22
	s_cbranch_vccnz .LBB30_20
; %bb.19:                               ;   in Loop: Header=BB30_14 Depth=1
	v_readlane_b32 s8, v254, 0
	s_mul_i32 s8, s47, s8
	s_add_i32 s30, s53, s8
	s_ashr_i32 s31, s30, 31
	v_readlane_b32 s68, v254, 30
	s_lshl_b64 s[30:31], s[30:31], 2
	v_readlane_b32 s78, v254, 40
	v_readlane_b32 s79, v254, 41
	s_add_u32 s30, s78, s30
	s_addc_u32 s31, s79, s31
	global_load_dword v0, v243, s[30:31]
	v_readlane_b32 s69, v254, 31
	v_readlane_b32 s70, v254, 32
	;; [unrolled: 1-line block ×13, first 2 shown]
	s_waitcnt vmcnt(0)
	v_readfirstlane_b32 s8, v0
	s_ashr_i32 s30, s8, 31
	s_lshr_b32 s30, s30, 26
	s_add_i32 s8, s8, s30
	s_ashr_i32 s8, s8, 6
	s_min_i32 s33, s33, s8
	s_branch .LBB30_21
.LBB30_20:                              ;   in Loop: Header=BB30_14 Depth=1
	v_readlane_b32 s68, v254, 30
	v_readlane_b32 s69, v254, 31
	;; [unrolled: 1-line block ×16, first 2 shown]
.LBB30_21:                              ;   in Loop: Header=BB30_14 Depth=1
	v_readlane_b32 s8, v254, 49
	s_mul_i32 s8, s8, s47
	s_add_i32 s8, s44, s8
	s_lshl_b32 s8, s8, 7
	s_lshl_b64 s[30:31], s[8:9], 3
	s_add_u32 s8, s80, s30
	v_readlane_b32 s38, v254, 18
	v_writelane_b32 v255, s8, 23
	s_addc_u32 s8, s81, s31
	v_readlane_b32 s39, v254, 19
	v_writelane_b32 v255, s8, 24
	s_mul_i32 s8, s47, s39
	s_mul_hi_u32 s30, s47, s38
	s_add_i32 s8, s30, s8
	s_mul_i32 s30, s48, s38
	v_readlane_b32 s40, v254, 24
	s_add_i32 s79, s8, s30
	s_mul_i32 s80, s47, s38
	v_readlane_b32 s43, v254, 27
	s_add_u32 s8, s72, s80
	s_mul_i32 s81, s49, s43
	s_addc_u32 s30, s73, s79
	s_ashr_i32 s82, s81, 31
	s_add_u32 s73, s8, s81
	s_addc_u32 s78, s30, s82
	s_ashr_i32 s45, s44, 31
	s_lshl_b64 s[30:31], s[44:45], 2
	s_add_u32 s8, s76, s30
	v_readlane_b32 s41, v254, 25
	s_addc_u32 s38, s77, s31
	v_readlane_b32 s30, v254, 50
	s_mov_b64 s[56:57], s[40:41]
	v_readlane_b32 s31, v254, 51
	v_readlane_b32 s40, v254, 8
	s_and_b64 s[30:31], s[30:31], exec
	v_readlane_b32 s41, v254, 9
	s_cselect_b32 s30, 0, s8
	s_mul_i32 s8, s47, s41
	s_cselect_b32 s31, 0, s38
	s_ashr_i32 s38, s8, 31
	s_add_u32 s8, s68, s8
	s_mul_i32 s39, s44, s40
	s_addc_u32 s38, s69, s38
	s_ashr_i32 s40, s39, 31
	s_add_u32 s68, s8, s39
	s_addc_u32 s69, s38, s40
	s_mul_i32 s8, s47, s57
	s_mul_hi_u32 s38, s47, s56
	s_add_i32 s8, s38, s8
	s_mul_i32 s48, s48, s56
	v_readlane_b32 s40, v254, 22
	s_add_i32 s8, s8, s48
	s_mul_i32 s77, s47, s56
	v_readlane_b32 s41, v254, 23
	s_add_u32 s38, s70, s77
	s_mul_i32 s75, s49, s41
	s_addc_u32 s39, s71, s8
	s_ashr_i32 s76, s75, 31
	s_add_u32 s70, s38, s75
	s_addc_u32 s71, s39, s76
	s_cmp_lg_u32 s46, 0
	v_readlane_b32 s42, v254, 26
	s_cbranch_scc0 .LBB30_65
; %bb.22:                               ;   in Loop: Header=BB30_14 Depth=1
	s_lshl_b32 s74, s53, 4
	v_add_u32_e32 v1, s74, v119
	v_cmp_le_i32_e32 vcc, s52, v1
	s_and_saveexec_b64 s[38:39], vcc
	s_xor_b64 s[38:39], exec, s[38:39]
	s_cbranch_execz .LBB30_24
; %bb.23:                               ;   in Loop: Header=BB30_14 Depth=1
	ds_write2st64_b32 v161, v243, v243 offset1:1
.LBB30_24:                              ;   in Loop: Header=BB30_14 Depth=1
	s_andn2_saveexec_b64 s[38:39], s[38:39]
	s_cbranch_execz .LBB30_26
; %bb.25:                               ;   in Loop: Header=BB30_14 Depth=1
	v_mad_u64_u32 v[2:3], s[40:41], v1, s86, v[42:43]
	v_ashrrev_i32_e32 v3, 31, v2
	v_lshlrev_b64 v[2:3], 3, v[2:3]
	v_add_co_u32_e32 v2, vcc, s68, v2
	v_mov_b32_e32 v0, s69
	v_addc_co_u32_e32 v3, vcc, v0, v3, vcc
	global_load_dwordx2 v[4:5], v[2:3], off
	s_waitcnt vmcnt(0)
	v_cvt_f16_f32_e32 v0, v4
	global_load_dwordx2 v[2:3], v[2:3], off offset:512
	v_cvt_f16_f32_e32 v4, v5
	v_pack_b32_f16 v0, v0, v4
	v_pk_mul_f16 v0, v127, v0
	s_waitcnt vmcnt(0)
	v_cvt_f16_f32_e32 v2, v2
	v_cvt_f16_f32_e32 v3, v3
	v_pack_b32_f16 v2, v2, v3
	v_pk_mul_f16 v2, v127, v2
	ds_write2st64_b32 v161, v0, v2 offset1:1
.LBB30_26:                              ;   in Loop: Header=BB30_14 Depth=1
	s_or_b64 exec, exec, s[38:39]
	v_add_u32_e32 v43, s74, v130
	v_cmp_le_i32_e32 vcc, s52, v43
	s_and_saveexec_b64 s[38:39], vcc
	s_xor_b64 s[38:39], exec, s[38:39]
	s_cbranch_execz .LBB30_28
; %bb.27:                               ;   in Loop: Header=BB30_14 Depth=1
	v_add_u32_e32 v0, 64, v161
	ds_write2st64_b32 v0, v243, v243 offset0:8 offset1:9
.LBB30_28:                              ;   in Loop: Header=BB30_14 Depth=1
	s_andn2_saveexec_b64 s[38:39], s[38:39]
	s_cbranch_execz .LBB30_30
; %bb.29:                               ;   in Loop: Header=BB30_14 Depth=1
	v_mad_u64_u32 v[2:3], s[40:41], v43, s86, v[42:43]
	v_ashrrev_i32_e32 v3, 31, v2
	v_lshlrev_b64 v[2:3], 3, v[2:3]
	v_add_co_u32_e32 v2, vcc, s68, v2
	v_mov_b32_e32 v0, s69
	v_addc_co_u32_e32 v3, vcc, v0, v3, vcc
	global_load_dwordx2 v[4:5], v[2:3], off
	s_waitcnt vmcnt(0)
	v_cvt_f16_f32_e32 v0, v4
	global_load_dwordx2 v[2:3], v[2:3], off offset:512
	v_cvt_f16_f32_e32 v4, v5
	v_pack_b32_f16 v0, v0, v4
	v_pk_mul_f16 v0, v127, v0
	s_waitcnt vmcnt(0)
	v_cvt_f16_f32_e32 v2, v2
	v_cvt_f16_f32_e32 v3, v3
	v_pack_b32_f16 v2, v2, v3
	v_pk_mul_f16 v2, v127, v2
	v_add_u32_e32 v3, 64, v161
	ds_write2st64_b32 v3, v0, v2 offset0:8 offset1:9
.LBB30_30:                              ;   in Loop: Header=BB30_14 Depth=1
	s_or_b64 exec, exec, s[38:39]
	v_add_u32_e32 v45, s74, v129
	v_cmp_le_i32_e32 vcc, s52, v45
	s_and_saveexec_b64 s[38:39], vcc
	s_xor_b64 s[38:39], exec, s[38:39]
	s_cbranch_execz .LBB30_32
; %bb.31:                               ;   in Loop: Header=BB30_14 Depth=1
	v_add_u32_e32 v0, 0x80, v161
	ds_write2st64_b32 v0, v243, v243 offset0:16 offset1:17
.LBB30_32:                              ;   in Loop: Header=BB30_14 Depth=1
	s_andn2_saveexec_b64 s[38:39], s[38:39]
	s_cbranch_execz .LBB30_34
; %bb.33:                               ;   in Loop: Header=BB30_14 Depth=1
	v_mad_u64_u32 v[2:3], s[40:41], v45, s86, v[42:43]
	v_ashrrev_i32_e32 v3, 31, v2
	v_lshlrev_b64 v[2:3], 3, v[2:3]
	v_add_co_u32_e32 v2, vcc, s68, v2
	v_mov_b32_e32 v0, s69
	v_addc_co_u32_e32 v3, vcc, v0, v3, vcc
	global_load_dwordx2 v[4:5], v[2:3], off
	s_waitcnt vmcnt(0)
	v_cvt_f16_f32_e32 v0, v4
	global_load_dwordx2 v[2:3], v[2:3], off offset:512
	v_cvt_f16_f32_e32 v4, v5
	v_pack_b32_f16 v0, v0, v4
	v_pk_mul_f16 v0, v127, v0
	s_waitcnt vmcnt(0)
	v_cvt_f16_f32_e32 v2, v2
	v_cvt_f16_f32_e32 v3, v3
	v_pack_b32_f16 v2, v2, v3
	v_pk_mul_f16 v2, v127, v2
	v_add_u32_e32 v3, 0x80, v161
	ds_write2st64_b32 v3, v0, v2 offset0:16 offset1:17
.LBB30_34:                              ;   in Loop: Header=BB30_14 Depth=1
	;; [unrolled: 34-line block ×3, first 2 shown]
	s_or_b64 exec, exec, s[38:39]
	s_waitcnt lgkmcnt(0)
	s_barrier
	ds_read2_b64 v[30:33], v131 offset1:4
	ds_read2_b64 v[26:29], v131 offset0:8 offset1:12
	ds_read2_b64 v[22:25], v131 offset0:16 offset1:20
	;; [unrolled: 1-line block ×7, first 2 shown]
	s_add_i32 s44, s33, -1
	s_cmp_le_i32 s44, s46
	v_mov_b32_e32 v83, 0
	s_waitcnt lgkmcnt(0)
	s_barrier
	s_cbranch_scc1 .LBB30_66
; %bb.39:                               ;   in Loop: Header=BB30_14 Depth=1
	v_lshlrev_b32_e32 v0, 1, v42
	v_readlane_b32 s42, v254, 14
	v_add_co_u32_e32 v105, vcc, s66, v0
	v_mul_hi_u32 v0, s42, v1
	v_readlane_b32 s43, v254, 15
	v_add_u32_e32 v0, v1, v0
	v_lshrrev_b32_e32 v0, s43, v0
	v_mul_lo_u32 v0, v0, s52
	v_readlane_b32 s40, v255, 17
	v_mov_b32_e32 v34, s67
	v_sub_u32_e32 v0, v1, v0
	v_readlane_b32 s41, v255, 18
	s_mov_b32 s48, s40
	v_addc_co_u32_e32 v106, vcc, 0, v34, vcc
	v_mad_i64_i32 v[34:35], s[40:41], v0, s48, 0
	v_mul_hi_u32 v0, s42, v43
	v_add_u32_e32 v0, v43, v0
	v_lshrrev_b32_e32 v0, s43, v0
	v_mul_lo_u32 v0, v0, s52
	v_sub_u32_e32 v0, v43, v0
	v_mad_i64_i32 v[36:37], s[40:41], v0, s48, 0
	v_mul_hi_u32 v0, s42, v45
	v_add_u32_e32 v0, v45, v0
	v_lshrrev_b32_e32 v0, s43, v0
	v_mul_lo_u32 v0, v0, s52
	v_sub_u32_e32 v0, v45, v0
	;; [unrolled: 6-line block ×3, first 2 shown]
	v_mad_i64_i32 v[40:41], s[40:41], v0, s48, 0
	v_and_b32_e32 v0, 64, v242
	v_add_u32_e32 v0, 64, v0
	v_xor_b32_e32 v44, 32, v242
	v_cmp_lt_i32_e32 vcc, v44, v0
	v_cndmask_b32_e32 v44, v242, v44, vcc
	v_lshlrev_b32_e32 v112, 2, v44
	v_xor_b32_e32 v44, 16, v242
	v_cmp_lt_i32_e32 vcc, v44, v0
	s_cmp_lg_u64 s[66:67], 0
	v_cndmask_b32_e32 v0, v242, v44, vcc
	s_cselect_b64 s[38:39], -1, 0
	v_mov_b32_e32 v124, 0
	v_lshlrev_b32_e32 v113, 2, v0
	v_mov_b32_e32 v86, v84
	v_mov_b32_e32 v87, v84
	s_lshl_b32 s40, s46, 6
	v_mov_b32_e32 v142, 0
	v_mov_b32_e32 v143, 0xfeffffff
	v_lshlrev_b64 v[88:89], 1, v[34:35]
	v_lshlrev_b64 v[90:91], 1, v[36:37]
	;; [unrolled: 1-line block ×4, first 2 shown]
	v_mov_b32_e32 v140, 0
	v_mov_b32_e32 v126, 0
	v_mov_b32_e32 v125, 0
	v_mov_b32_e32 v123, 0
	v_mov_b32_e32 v122, 0
	v_mov_b32_e32 v121, 0
	v_mov_b32_e32 v120, 0
	v_mov_b32_e32 v118, 0
	v_mov_b32_e32 v117, 0
	v_mov_b32_e32 v49, 0
	v_mov_b32_e32 v48, 0
	v_mov_b32_e32 v116, 0
	v_mov_b32_e32 v0, 0
	v_mov_b32_e32 v115, 0
	v_mov_b32_e32 v114, 0
	v_mov_b32_e32 v111, 0
	v_mov_b32_e32 v44, 0
	v_mov_b32_e32 v110, 0
	v_mov_b32_e32 v109, 0
	v_mov_b32_e32 v108, 0
	v_mov_b32_e32 v107, 0
	v_mov_b32_e32 v104, 0
	v_mov_b32_e32 v103, 0
	v_mov_b32_e32 v102, 0
	v_mov_b32_e32 v101, 0
	v_mov_b32_e32 v100, 0
	v_mov_b32_e32 v99, 0
	v_mov_b32_e32 v98, 0
	v_mov_b32_e32 v97, 0
	v_mov_b32_e32 v96, 0
	v_mov_b32_e32 v83, 0
	s_andn2_b64 vcc, exec, s[38:39]
	s_ashr_i32 s41, s40, 31
	s_cbranch_vccnz .LBB30_43
.LBB30_40:                              ;   in Loop: Header=BB30_14 Depth=1
	v_mov_b32_e32 v34, 0
	v_mov_b32_e32 v35, 0
	;; [unrolled: 1-line block ×4, first 2 shown]
	s_and_saveexec_b64 s[42:43], s[4:5]
	s_cbranch_execz .LBB30_42
; %bb.41:                               ;   in Loop: Header=BB30_14 Depth=1
	s_lshl_b64 s[48:49], s[40:41], 1
	v_add_co_u32_e32 v38, vcc, s48, v105
	v_mov_b32_e32 v34, s49
	v_addc_co_u32_e32 v39, vcc, v106, v34, vcc
	v_add_co_u32_e32 v34, vcc, v38, v88
	v_addc_co_u32_e32 v35, vcc, v39, v89, vcc
	v_add_co_u32_e32 v36, vcc, v38, v90
	v_addc_co_u32_e32 v37, vcc, v39, v91, vcc
	flat_load_ushort v34, v[34:35]
	s_nop 0
	flat_load_ushort v35, v[36:37]
	v_add_co_u32_e32 v36, vcc, v38, v92
	v_addc_co_u32_e32 v37, vcc, v39, v93, vcc
	v_add_co_u32_e32 v38, vcc, v38, v94
	v_addc_co_u32_e32 v39, vcc, v39, v95, vcc
	flat_load_ushort v36, v[36:37]
	s_nop 0
	flat_load_ushort v37, v[38:39]
.LBB30_42:                              ;   in Loop: Header=BB30_14 Depth=1
	s_or_b64 exec, exec, s[42:43]
	s_waitcnt vmcnt(0) lgkmcnt(0)
	ds_write_b16 v132, v34 offset:33792
	ds_write_b16 v244, v35 offset:33792
	;; [unrolled: 1-line block ×4, first 2 shown]
.LBB30_43:                              ;   Parent Loop BB30_14 Depth=1
                                        ; =>  This Inner Loop Header: Depth=2
	s_mul_hi_i32 s43, s40, s98
	s_mul_i32 s42, s40, s98
	s_lshl_b64 s[42:43], s[42:43], 2
	s_add_u32 s42, s70, s42
	s_addc_u32 s41, s71, s43
	v_add_co_u32_e32 v34, vcc, s42, v66
	v_mov_b32_e32 v35, s41
	v_addc_co_u32_e32 v35, vcc, v35, v67, vcc
	v_lshlrev_b32_e32 v141, 2, v46
	v_add_co_u32_e32 v34, vcc, v34, v141
	v_addc_co_u32_e32 v35, vcc, 0, v35, vcc
	v_mov_b32_e32 v38, s37
	v_mov_b32_e32 v39, s88
	buffer_store_dword v243, off, s[0:3], 0
	buffer_store_dword v243, off, s[0:3], 0 offset:4
	buffer_store_dword v243, off, s[0:3], 0 offset:8
	;; [unrolled: 1-line block ×3, first 2 shown]
	v_cndmask_b32_e64 v35, v38, v35, s[6:7]
	v_cndmask_b32_e64 v34, v39, v34, s[6:7]
	flat_load_dwordx4 v[34:37], v[34:35]
	s_waitcnt vmcnt(0) lgkmcnt(0)
	ds_write_b128 v134, v[34:37]
	v_add_co_u32_e32 v34, vcc, s42, v68
	v_mov_b32_e32 v35, s41
	v_addc_co_u32_e32 v35, vcc, v35, v69, vcc
	v_add_co_u32_e32 v34, vcc, v34, v141
	v_addc_co_u32_e32 v35, vcc, 0, v35, vcc
	v_cndmask_b32_e64 v35, v38, v35, s[54:55]
	v_cndmask_b32_e64 v34, v39, v34, s[54:55]
	flat_load_dwordx4 v[34:37], v[34:35]
	s_waitcnt vmcnt(0) lgkmcnt(0)
	ds_write_b128 v248, v[34:37]
	v_add_co_u32_e32 v34, vcc, s42, v70
	v_mov_b32_e32 v35, s41
	v_addc_co_u32_e32 v35, vcc, v35, v71, vcc
	v_add_co_u32_e32 v34, vcc, v34, v141
	v_addc_co_u32_e32 v35, vcc, 0, v35, vcc
	;; [unrolled: 10-line block ×7, first 2 shown]
	v_cndmask_b32_e64 v35, v38, v35, s[20:21]
	v_cndmask_b32_e64 v34, v39, v34, s[20:21]
	flat_load_dwordx4 v[34:37], v[34:35]
                                        ; implicit-def: $vgpr39
	s_waitcnt vmcnt(0) lgkmcnt(0)
	ds_write_b128 v204, v[34:37]
	s_waitcnt lgkmcnt(0)
	s_barrier
	ds_read2_b64 v[34:37], v135 offset1:4
	s_waitcnt lgkmcnt(0)
	v_mfma_f32_16x16x16f16 a[0:3], v[34:35], v[30:31], 0
	v_mfma_f32_16x16x16f16 a[0:3], v[36:37], v[32:33], a[0:3]
	ds_read2_b64 v[34:37], v135 offset0:8 offset1:12
	s_waitcnt lgkmcnt(0)
	v_mfma_f32_16x16x16f16 a[0:3], v[34:35], v[26:27], a[0:3]
	v_mfma_f32_16x16x16f16 a[0:3], v[36:37], v[28:29], a[0:3]
	ds_read2_b64 v[34:37], v135 offset0:16 offset1:20
	s_waitcnt lgkmcnt(0)
	v_mfma_f32_16x16x16f16 a[0:3], v[34:35], v[22:23], a[0:3]
	v_mfma_f32_16x16x16f16 a[0:3], v[36:37], v[24:25], a[0:3]
	ds_read2_b64 v[34:37], v135 offset0:24 offset1:28
	s_waitcnt lgkmcnt(0)
	v_mfma_f32_16x16x16f16 a[0:3], v[34:35], v[18:19], a[0:3]
	v_mfma_f32_16x16x16f16 a[0:3], v[36:37], v[20:21], a[0:3]
	ds_read2_b64 v[34:37], v135 offset0:32 offset1:36
	s_waitcnt lgkmcnt(0)
	v_mfma_f32_16x16x16f16 a[0:3], v[34:35], v[14:15], a[0:3]
	v_mfma_f32_16x16x16f16 a[0:3], v[36:37], v[16:17], a[0:3]
	ds_read2_b64 v[34:37], v135 offset0:40 offset1:44
	s_waitcnt lgkmcnt(0)
	v_mfma_f32_16x16x16f16 a[0:3], v[34:35], v[10:11], a[0:3]
	v_mfma_f32_16x16x16f16 a[0:3], v[36:37], v[12:13], a[0:3]
	ds_read2_b64 v[34:37], v135 offset0:48 offset1:52
	s_waitcnt lgkmcnt(0)
	v_mfma_f32_16x16x16f16 a[0:3], v[34:35], v[6:7], a[0:3]
	v_mfma_f32_16x16x16f16 a[0:3], v[36:37], v[8:9], a[0:3]
	ds_read2_b64 v[34:37], v135 offset0:56 offset1:60
	s_waitcnt lgkmcnt(0)
	s_barrier
	v_mfma_f32_16x16x16f16 a[0:3], v[34:35], v[2:3], a[0:3]
	v_mfma_f32_16x16x16f16 a[0:3], v[36:37], v[4:5], a[0:3]
	s_nop 7
	s_nop 2
	v_accvgpr_read_b32 v38, a0
	v_cmp_nlt_f32_e64 s[42:43], |v38|, s95
	s_and_saveexec_b64 s[48:49], s[42:43]
	s_xor_b64 s[42:43], exec, s[48:49]
	s_cbranch_execz .LBB30_45
; %bb.44:                               ;   in Loop: Header=BB30_43 Depth=2
	v_add_f32_e64 v34, |v38|, |v38|
	v_mul_f32_e32 v35, 0x3fb8aa3b, v34
	v_rndne_f32_e32 v36, v35
	v_sub_f32_e32 v37, v35, v36
	v_fma_f32 v35, v34, s65, -v35
	v_fmac_f32_e32 v35, 0x32a5705f, v34
	v_add_f32_e32 v35, v37, v35
	v_cvt_i32_f32_e32 v36, v36
	v_exp_f32_e32 v35, v35
	v_cmp_ngt_f32_e32 vcc, s36, v34
	v_ldexp_f32 v35, v35, v36
	v_cndmask_b32_e32 v35, 0, v35, vcc
	v_cmp_nlt_f32_e32 vcc, s97, v34
	v_cndmask_b32_e32 v34, v180, v35, vcc
	v_add_f32_e32 v34, 1.0, v34
	v_rcp_f32_e32 v34, v34
	v_fma_f32 v39, v34, -2.0, 1.0
.LBB30_45:                              ;   in Loop: Header=BB30_43 Depth=2
	s_andn2_saveexec_b64 s[42:43], s[42:43]
; %bb.46:                               ;   in Loop: Header=BB30_43 Depth=2
	v_mul_f32_e32 v34, v38, v38
	v_mov_b32_e32 v35, 0x3ca908c9
	v_fmac_f32_e32 v35, 0xbbbac73d, v34
	v_fma_f32 v35, v34, v35, v185
	v_fma_f32 v35, v34, v35, v183
	;; [unrolled: 1-line block ×3, first 2 shown]
	v_mul_f32_e64 v35, |v38|, v35
	v_fma_f32 v39, v34, v35, |v38|
; %bb.47:                               ;   in Loop: Header=BB30_43 Depth=2
	s_or_b64 exec, exec, s[42:43]
	v_accvgpr_read_b32 v37, a3
	v_accvgpr_read_b32 v35, a1
	;; [unrolled: 1-line block ×4, first 2 shown]
	v_cmp_nlt_f32_e64 s[42:43], |v35|, s95
                                        ; implicit-def: $vgpr34
	s_and_saveexec_b64 s[48:49], s[42:43]
	s_xor_b64 s[42:43], exec, s[48:49]
	s_cbranch_execz .LBB30_49
; %bb.48:                               ;   in Loop: Header=BB30_43 Depth=2
	v_add_f32_e64 v34, |v35|, |v35|
	v_mul_f32_e32 v40, 0x3fb8aa3b, v34
	v_rndne_f32_e32 v41, v40
	v_sub_f32_e32 v85, v40, v41
	v_fma_f32 v40, v34, s65, -v40
	v_fmac_f32_e32 v40, 0x32a5705f, v34
	v_add_f32_e32 v40, v85, v40
	v_cvt_i32_f32_e32 v41, v41
	v_exp_f32_e32 v40, v40
	v_cmp_ngt_f32_e32 vcc, s36, v34
	v_ldexp_f32 v40, v40, v41
	v_cndmask_b32_e32 v40, 0, v40, vcc
	v_cmp_nlt_f32_e32 vcc, s97, v34
	v_cndmask_b32_e32 v34, v180, v40, vcc
	v_add_f32_e32 v34, 1.0, v34
	v_rcp_f32_e32 v34, v34
	v_fma_f32 v34, v34, -2.0, 1.0
.LBB30_49:                              ;   in Loop: Header=BB30_43 Depth=2
	s_andn2_saveexec_b64 s[42:43], s[42:43]
; %bb.50:                               ;   in Loop: Header=BB30_43 Depth=2
	v_mul_f32_e32 v34, v35, v35
	v_mov_b32_e32 v40, 0x3ca908c9
	v_fmac_f32_e32 v40, 0xbbbac73d, v34
	v_fma_f32 v40, v34, v40, v185
	v_fma_f32 v40, v34, v40, v183
	;; [unrolled: 1-line block ×3, first 2 shown]
	v_mul_f32_e64 v40, |v35|, v40
	v_fma_f32 v34, v34, v40, |v35|
; %bb.51:                               ;   in Loop: Header=BB30_43 Depth=2
	s_or_b64 exec, exec, s[42:43]
	v_cmp_nlt_f32_e64 s[42:43], |v36|, s95
                                        ; implicit-def: $vgpr40
	s_and_saveexec_b64 s[48:49], s[42:43]
	s_xor_b64 s[42:43], exec, s[48:49]
	s_cbranch_execz .LBB30_53
; %bb.52:                               ;   in Loop: Header=BB30_43 Depth=2
	v_add_f32_e64 v40, |v36|, |v36|
	v_mul_f32_e32 v41, 0x3fb8aa3b, v40
	v_rndne_f32_e32 v85, v41
	v_sub_f32_e32 v144, v41, v85
	v_fma_f32 v41, v40, s65, -v41
	v_fmac_f32_e32 v41, 0x32a5705f, v40
	v_add_f32_e32 v41, v144, v41
	v_cvt_i32_f32_e32 v85, v85
	v_exp_f32_e32 v41, v41
	v_cmp_ngt_f32_e32 vcc, s36, v40
	v_ldexp_f32 v41, v41, v85
	v_cndmask_b32_e32 v41, 0, v41, vcc
	v_cmp_nlt_f32_e32 vcc, s97, v40
	v_cndmask_b32_e32 v40, v180, v41, vcc
	v_add_f32_e32 v40, 1.0, v40
	v_rcp_f32_e32 v40, v40
	v_fma_f32 v40, v40, -2.0, 1.0
.LBB30_53:                              ;   in Loop: Header=BB30_43 Depth=2
	s_andn2_saveexec_b64 s[42:43], s[42:43]
; %bb.54:                               ;   in Loop: Header=BB30_43 Depth=2
	v_mul_f32_e32 v40, v36, v36
	v_mov_b32_e32 v41, 0x3ca908c9
	v_fmac_f32_e32 v41, 0xbbbac73d, v40
	v_fma_f32 v41, v40, v41, v185
	v_fma_f32 v41, v40, v41, v183
	;; [unrolled: 1-line block ×3, first 2 shown]
	v_mul_f32_e64 v41, |v36|, v41
	v_fma_f32 v40, v40, v41, |v36|
; %bb.55:                               ;   in Loop: Header=BB30_43 Depth=2
	s_or_b64 exec, exec, s[42:43]
	v_cmp_nlt_f32_e64 s[42:43], |v37|, s95
                                        ; implicit-def: $vgpr41
	s_and_saveexec_b64 s[48:49], s[42:43]
	s_xor_b64 s[42:43], exec, s[48:49]
	s_cbranch_execz .LBB30_57
; %bb.56:                               ;   in Loop: Header=BB30_43 Depth=2
	v_add_f32_e64 v41, |v37|, |v37|
	v_mul_f32_e32 v85, 0x3fb8aa3b, v41
	v_rndne_f32_e32 v144, v85
	v_sub_f32_e32 v145, v85, v144
	v_fma_f32 v85, v41, s65, -v85
	v_fmac_f32_e32 v85, 0x32a5705f, v41
	v_add_f32_e32 v85, v145, v85
	v_cvt_i32_f32_e32 v144, v144
	v_exp_f32_e32 v85, v85
	v_cmp_ngt_f32_e32 vcc, s36, v41
	v_ldexp_f32 v85, v85, v144
	v_cndmask_b32_e32 v85, 0, v85, vcc
	v_cmp_nlt_f32_e32 vcc, s97, v41
	v_cndmask_b32_e32 v41, v180, v85, vcc
	v_add_f32_e32 v41, 1.0, v41
	v_rcp_f32_e32 v41, v41
	v_fma_f32 v41, v41, -2.0, 1.0
.LBB30_57:                              ;   in Loop: Header=BB30_43 Depth=2
	s_andn2_saveexec_b64 s[42:43], s[42:43]
; %bb.58:                               ;   in Loop: Header=BB30_43 Depth=2
	v_mul_f32_e32 v41, v37, v37
	v_mov_b32_e32 v85, 0x3ca908c9
	v_fmac_f32_e32 v85, 0xbbbac73d, v41
	v_fma_f32 v85, v41, v85, v185
	v_fma_f32 v85, v41, v85, v183
	;; [unrolled: 1-line block ×3, first 2 shown]
	v_mul_f32_e64 v85, |v37|, v85
	v_fma_f32 v41, v41, v85, |v37|
; %bb.59:                               ;   in Loop: Header=BB30_43 Depth=2
	s_or_b64 exec, exec, s[42:43]
	v_bfi_b32 v34, s89, v34, v35
	v_bfi_b32 v38, s89, v39, v38
	v_mul_f32_e32 v39, s93, v34
	v_bfi_b32 v34, s89, v40, v36
	v_mul_f32_e32 v40, s93, v34
	;; [unrolled: 2-line block ×3, first 2 shown]
	v_mul_f32_e32 v41, s93, v34
	s_and_b64 vcc, exec, s[38:39]
	s_cbranch_vccz .LBB30_64
; %bb.60:                               ;   in Loop: Header=BB30_43 Depth=2
	v_add_u32_e32 v34, 0x8400, v136
	ds_read2_b32 v[34:35], v34 offset1:1
	v_mov_b32_e32 v85, v84
	s_waitcnt lgkmcnt(0)
	v_cvt_f32_f16_e32 v144, v34
	v_cvt_f32_f16_e32 v36, v35
	v_cvt_f32_f16_sdwa v37, v35 dst_sel:DWORD dst_unused:UNUSED_PAD src0_sel:WORD_1
	v_cvt_f32_f16_sdwa v145, v34 dst_sel:DWORD dst_unused:UNUSED_PAD src0_sel:WORD_1
	v_pk_fma_f32 v[36:37], v[84:85], v[36:37], v[40:41]
	v_pk_fma_f32 v[34:35], v[86:87], v[144:145], v[38:39]
	s_cbranch_execnz .LBB30_62
.LBB30_61:                              ;   in Loop: Header=BB30_43 Depth=2
	v_pk_mov_b32 v[34:35], v[38:39], v[38:39] op_sel:[0,1]
	v_pk_mov_b32 v[36:37], v[40:41], v[40:41] op_sel:[0,1]
.LBB30_62:                              ;   in Loop: Header=BB30_43 Depth=2
	v_add_f32_e32 v38, 0x40051340, v34
	v_max_f32_e32 v39, v143, v143
	v_max_f32_e32 v38, v39, v38
	v_cndmask_b32_e64 v38, v143, v38, s[22:23]
	v_add_f32_e32 v39, 0x40051340, v35
	v_max_f32_e32 v40, v38, v38
	v_max_f32_e32 v39, v40, v39
	v_cndmask_b32_e64 v38, v38, v39, s[24:25]
	;; [unrolled: 4-line block ×4, first 2 shown]
	ds_bpermute_b32 v39, v112, v38
	v_max_f32_e32 v38, v38, v38
	v_cndmask_b32_e64 v36, v36, v36, s[24:25]
	v_cndmask_b32_e64 v37, v37, v37, s[24:25]
	s_mul_hi_i32 s43, s40, s84
	s_waitcnt lgkmcnt(0)
	v_max_f32_e32 v39, v39, v39
	v_max_f32_e32 v38, v38, v39
	ds_bpermute_b32 v39, v113, v38
	s_mul_i32 s42, s40, s84
	s_lshl_b64 s[42:43], s[42:43], 2
	s_add_u32 s41, s73, s42
	s_addc_u32 s42, s78, s43
	s_waitcnt lgkmcnt(0)
	v_max_f32_e32 v39, v39, v39
	v_max_f32_e32 v38, v38, v39
	v_sub_f32_e32 v34, v34, v38
	v_mul_f32_e32 v39, 0x3fb8aa3b, v34
	v_fma_f32 v40, v34, s65, -v39
	v_rndne_f32_e32 v41, v39
	v_fmac_f32_e32 v40, 0x32a5705f, v34
	v_sub_f32_e32 v39, v39, v41
	v_add_f32_e32 v39, v39, v40
	v_exp_f32_e32 v39, v39
	v_cvt_i32_f32_e32 v40, v41
	v_cmp_ngt_f32_e32 vcc, s36, v34
	v_sub_f32_e32 v35, v35, v38
	v_sub_f32_e32 v36, v36, v38
	v_ldexp_f32 v39, v39, v40
	v_cndmask_b32_e32 v39, 0, v39, vcc
	v_cmp_nlt_f32_e32 vcc, s97, v34
	v_cndmask_b32_e32 v34, v180, v39, vcc
	v_mul_f32_e32 v39, 0x3fb8aa3b, v35
	v_fma_f32 v40, v35, s65, -v39
	v_rndne_f32_e32 v41, v39
	v_fmac_f32_e32 v40, 0x32a5705f, v35
	v_sub_f32_e32 v39, v39, v41
	v_add_f32_e32 v39, v39, v40
	v_exp_f32_e32 v39, v39
	v_cvt_i32_f32_e32 v40, v41
	v_cmp_ngt_f32_e32 vcc, s36, v35
	v_cndmask_b32_e64 v34, 0, v34, s[22:23]
	buffer_store_dword v243, off, s[0:3], 0
	buffer_store_dword v243, off, s[0:3], 0 offset:4
	buffer_store_dword v243, off, s[0:3], 0 offset:8
	;; [unrolled: 1-line block ×3, first 2 shown]
	v_ldexp_f32 v39, v39, v40
	v_cndmask_b32_e32 v39, 0, v39, vcc
	v_cmp_nlt_f32_e32 vcc, s97, v35
	v_cndmask_b32_e32 v39, v180, v39, vcc
	v_mov_b32_e32 v35, s9
	v_add_f32_e32 v40, v39, v34
	v_cndmask_b32_e64 v144, v35, v39, s[24:25]
	v_mul_f32_e32 v39, 0x3fb8aa3b, v36
	v_cndmask_b32_e64 v35, v34, v40, s[24:25]
	v_fma_f32 v40, v36, s65, -v39
	v_rndne_f32_e32 v41, v39
	v_fmac_f32_e32 v40, 0x32a5705f, v36
	v_sub_f32_e32 v39, v39, v41
	v_add_f32_e32 v39, v39, v40
	v_exp_f32_e32 v39, v39
	v_cvt_i32_f32_e32 v40, v41
	v_cmp_ngt_f32_e32 vcc, s36, v36
	v_cvt_f16_f32_e32 v34, v34
	s_add_i32 s46, s46, 1
	v_ldexp_f32 v39, v39, v40
	v_cndmask_b32_e32 v39, 0, v39, vcc
	v_cmp_nlt_f32_e32 vcc, s97, v36
	v_cndmask_b32_e32 v39, v180, v39, vcc
	v_add_f32_e32 v40, v35, v39
	v_mov_b32_e32 v36, s9
	v_cndmask_b32_e64 v145, v36, v39, s[26:27]
	v_cndmask_b32_e64 v36, v35, v40, s[26:27]
	v_sub_f32_e32 v35, v37, v38
	v_mul_f32_e32 v37, 0x3fb8aa3b, v35
	v_fma_f32 v39, v35, s65, -v37
	v_rndne_f32_e32 v40, v37
	v_fmac_f32_e32 v39, 0x32a5705f, v35
	v_sub_f32_e32 v37, v37, v40
	v_add_f32_e32 v37, v37, v39
	v_exp_f32_e32 v37, v37
	v_cvt_i32_f32_e32 v39, v40
	v_cmp_ngt_f32_e32 vcc, s36, v35
	s_add_i32 s40, s40, 64
	s_cmp_lt_i32 s46, s44
	v_ldexp_f32 v37, v37, v39
	v_cndmask_b32_e32 v37, 0, v37, vcc
	v_cmp_nlt_f32_e32 vcc, s97, v35
	v_cndmask_b32_e32 v37, v180, v37, vcc
	v_mov_b32_e32 v35, s9
	v_add_f32_e32 v39, v36, v37
	v_cndmask_b32_e64 v35, v35, v37, s[28:29]
	v_sub_f32_e32 v37, v143, v38
	v_cndmask_b32_e64 v36, v36, v39, s[28:29]
	v_mul_f32_e32 v39, 0x3fb8aa3b, v37
	v_fma_f32 v40, v37, s65, -v39
	v_rndne_f32_e32 v41, v39
	v_fmac_f32_e32 v40, 0x32a5705f, v37
	v_sub_f32_e32 v39, v39, v41
	v_add_f32_e32 v39, v39, v40
	v_exp_f32_e32 v39, v39
	v_cvt_i32_f32_e32 v40, v41
	v_cmp_ngt_f32_e32 vcc, s36, v37
	v_cvt_f16_f32_e32 v35, v35
	v_ldexp_f32 v39, v39, v40
	v_cndmask_b32_e32 v39, 0, v39, vcc
	v_cmp_nlt_f32_e32 vcc, s97, v37
	v_cndmask_b32_e32 v39, v180, v39, vcc
	v_cmp_le_f32_e32 vcc, s94, v37
	v_cndmask_b32_e32 v37, 0, v39, vcc
	v_fmac_f32_e32 v36, v142, v37
	v_cvt_f16_f32_e32 v37, v37
	v_pk_mul_f16 v85, v37, v122 op_sel_hi:[0,1]
	v_cvt_f16_f32_e32 v122, v144
	v_pk_mul_f16 v39, v37, v124 op_sel_hi:[0,1]
	v_mov_b32_e32 v124, s42
	v_pk_mul_f16 v96, v37, v96 op_sel_hi:[0,1]
	v_pack_b32_f16 v34, v34, v122
	v_cvt_f16_f32_e32 v122, v145
	v_pk_mul_f16 v83, v37, v83 op_sel_hi:[0,1]
	v_pk_mul_f16 v98, v37, v98 op_sel_hi:[0,1]
	;; [unrolled: 1-line block ×3, first 2 shown]
	v_pack_b32_f16 v35, v122, v35
	v_add_co_u32_e32 v122, vcc, s41, v50
	v_addc_co_u32_e32 v124, vcc, v124, v51, vcc
	v_add_co_u32_e32 v122, vcc, v122, v141
	v_pk_mul_f16 v100, v37, v100 op_sel_hi:[0,1]
	v_pk_mul_f16 v99, v37, v99 op_sel_hi:[0,1]
	;; [unrolled: 1-line block ×26, first 2 shown]
	v_addc_co_u32_e32 v124, vcc, 0, v124, vcc
	v_mov_b32_e32 v126, s37
	v_mov_b32_e32 v140, s88
	v_cndmask_b32_e64 v125, v126, v124, s[6:7]
	v_cndmask_b32_e64 v124, v140, v122, s[6:7]
	flat_load_dwordx4 v[142:145], v[124:125]
	v_add_co_u32_e32 v122, vcc, s41, v52
	v_mov_b32_e32 v124, s42
	v_addc_co_u32_e32 v124, vcc, v124, v53, vcc
	v_add_co_u32_e32 v122, vcc, v122, v141
	v_addc_co_u32_e32 v124, vcc, 0, v124, vcc
	v_cndmask_b32_e64 v125, v126, v124, s[54:55]
	v_cndmask_b32_e64 v124, v140, v122, s[54:55]
	v_add_co_u32_e32 v122, vcc, s41, v54
	s_waitcnt vmcnt(0) lgkmcnt(0)
	ds_write_b128 v134, v[142:145]
	flat_load_dwordx4 v[142:145], v[124:125]
	v_mov_b32_e32 v124, s42
	v_addc_co_u32_e32 v124, vcc, v124, v55, vcc
	v_add_co_u32_e32 v122, vcc, v122, v141
	v_addc_co_u32_e32 v124, vcc, 0, v124, vcc
	v_cndmask_b32_e64 v125, v126, v124, s[10:11]
	v_cndmask_b32_e64 v124, v140, v122, s[10:11]
	v_add_co_u32_e32 v122, vcc, s41, v56
	s_waitcnt vmcnt(0) lgkmcnt(0)
	ds_write_b128 v248, v[142:145]
	flat_load_dwordx4 v[142:145], v[124:125]
	;; [unrolled: 10-line block ×6, first 2 shown]
	v_mov_b32_e32 v124, s42
	v_addc_co_u32_e32 v124, vcc, v124, v65, vcc
	v_add_co_u32_e32 v122, vcc, v122, v141
	v_addc_co_u32_e32 v124, vcc, 0, v124, vcc
	v_cndmask_b32_e64 v125, v126, v124, s[20:21]
	v_cndmask_b32_e64 v124, v140, v122, s[20:21]
	s_waitcnt vmcnt(0) lgkmcnt(0)
	ds_write_b128 v208, v[142:145]
	flat_load_dwordx4 v[140:143], v[124:125]
	v_add_u32_e32 v145, v137, v157
	v_add_u32_e32 v144, v137, v156
	s_waitcnt vmcnt(0) lgkmcnt(0)
	ds_write_b128 v204, v[140:143]
	s_waitcnt lgkmcnt(0)
	s_barrier
	ds_read_u16 v122, v158 offset:1056
	v_cvt_f32_f16_e32 v142, v83
	v_cvt_f32_f16_sdwa v143, v83 dst_sel:DWORD dst_unused:UNUSED_PAD src0_sel:WORD_1
	ds_read_u16 v83, v145
	ds_read_u16 v126, v145 offset:32
	v_cvt_f32_f16_e32 v140, v96
	v_cvt_f32_f16_sdwa v141, v96 dst_sel:DWORD dst_unused:UNUSED_PAD src0_sel:WORD_1
	s_waitcnt lgkmcnt(1)
	v_perm_b32 v125, v83, v122, s64
	ds_read_u16 v83, v138
	ds_read_u16 v122, v138 offset:32
	ds_read_u16 v96, v144 offset:528
	ds_read_u16 v146, v144 offset:560
	v_accvgpr_write_b32 a0, v140
	v_accvgpr_write_b32 a1, v141
	;; [unrolled: 1-line block ×3, first 2 shown]
	s_waitcnt lgkmcnt(1)
	v_perm_b32 v124, v96, v83, s64
	v_accvgpr_write_b32 a3, v143
	v_cvt_f32_f16_e32 v140, v98
	v_cvt_f32_f16_sdwa v141, v98 dst_sel:DWORD dst_unused:UNUSED_PAD src0_sel:WORD_1
	v_mfma_f32_16x16x16f16 a[0:3], v[124:125], v[34:35], a[0:3]
	v_cvt_f32_f16_e32 v142, v97
	v_cvt_f32_f16_sdwa v143, v97 dst_sel:DWORD dst_unused:UNUSED_PAD src0_sel:WORD_1
	s_nop 7
	s_nop 0
	v_accvgpr_read_b32 v83, a0
	v_accvgpr_read_b32 v96, a1
	;; [unrolled: 1-line block ×4, first 2 shown]
	v_cvt_f16_f32_e32 v83, v83
	v_cvt_f16_f32_e32 v96, v96
	v_cvt_f16_f32_e32 v124, v124
	v_cvt_f16_f32_e32 v125, v125
	v_accvgpr_write_b32 a0, v140
	v_pack_b32_f16 v96, v83, v96
	v_accvgpr_write_b32 a1, v141
	v_pack_b32_f16 v83, v124, v125
	ds_read_u16 v124, v199 offset:1056
	v_accvgpr_write_b32 a2, v142
	v_accvgpr_write_b32 a3, v143
	v_cvt_f32_f16_e32 v140, v100
	v_cvt_f32_f16_sdwa v141, v100 dst_sel:DWORD dst_unused:UNUSED_PAD src0_sel:WORD_1
	s_waitcnt lgkmcnt(0)
	v_perm_b32 v125, v126, v124, s64
	v_perm_b32 v124, v146, v122, s64
	v_cvt_f32_f16_e32 v142, v99
	v_cvt_f32_f16_sdwa v143, v99 dst_sel:DWORD dst_unused:UNUSED_PAD src0_sel:WORD_1
	v_mfma_f32_16x16x16f16 a[0:3], v[124:125], v[34:35], a[0:3]
	s_nop 7
	s_nop 2
	v_accvgpr_read_b32 v97, a0
	v_accvgpr_read_b32 v98, a1
	v_accvgpr_read_b32 v122, a2
	v_accvgpr_read_b32 v124, a3
	v_cvt_f16_f32_e32 v97, v97
	v_cvt_f16_f32_e32 v98, v98
	v_cvt_f16_f32_e32 v122, v122
	v_cvt_f16_f32_e32 v124, v124
	v_accvgpr_write_b32 a0, v140
	v_pack_b32_f16 v98, v97, v98
	v_accvgpr_write_b32 a1, v141
	v_pack_b32_f16 v97, v122, v124
	ds_read_u16 v122, v138 offset:64
	ds_read_u16 v124, v144 offset:592
	ds_read_u16 v125, v203 offset:1056
	ds_read_u16 v126, v145 offset:64
	v_accvgpr_write_b32 a2, v142
	v_accvgpr_write_b32 a3, v143
	s_waitcnt lgkmcnt(2)
	v_perm_b32 v124, v124, v122, s64
	v_cvt_f32_f16_e32 v140, v102
	s_waitcnt lgkmcnt(0)
	v_perm_b32 v125, v126, v125, s64
	v_cvt_f32_f16_sdwa v141, v102 dst_sel:DWORD dst_unused:UNUSED_PAD src0_sel:WORD_1
	v_cvt_f32_f16_e32 v142, v101
	v_mfma_f32_16x16x16f16 a[0:3], v[124:125], v[34:35], a[0:3]
	v_cvt_f32_f16_sdwa v143, v101 dst_sel:DWORD dst_unused:UNUSED_PAD src0_sel:WORD_1
	s_nop 7
	s_nop 1
	v_accvgpr_read_b32 v99, a0
	v_accvgpr_read_b32 v100, a1
	v_accvgpr_read_b32 v122, a2
	v_accvgpr_read_b32 v124, a3
	v_cvt_f16_f32_e32 v99, v99
	v_cvt_f16_f32_e32 v100, v100
	v_cvt_f16_f32_e32 v122, v122
	v_cvt_f16_f32_e32 v124, v124
	v_accvgpr_write_b32 a0, v140
	v_pack_b32_f16 v100, v99, v100
	v_accvgpr_write_b32 a1, v141
	v_pack_b32_f16 v99, v122, v124
	ds_read_u16 v122, v138 offset:96
	ds_read_u16 v124, v144 offset:624
	ds_read_u16 v125, v201 offset:1056
	ds_read_u16 v126, v145 offset:96
	v_accvgpr_write_b32 a2, v142
	v_accvgpr_write_b32 a3, v143
	s_waitcnt lgkmcnt(2)
	v_perm_b32 v124, v124, v122, s64
	v_cvt_f32_f16_e32 v140, v104
	s_waitcnt lgkmcnt(0)
	v_perm_b32 v125, v126, v125, s64
	v_cvt_f32_f16_sdwa v141, v104 dst_sel:DWORD dst_unused:UNUSED_PAD src0_sel:WORD_1
	v_cvt_f32_f16_e32 v142, v103
	v_mfma_f32_16x16x16f16 a[0:3], v[124:125], v[34:35], a[0:3]
	v_cvt_f32_f16_sdwa v143, v103 dst_sel:DWORD dst_unused:UNUSED_PAD src0_sel:WORD_1
	;; [unrolled: 29-line block ×10, first 2 shown]
	s_nop 7
	s_nop 1
	v_accvgpr_read_b32 v117, a0
	v_accvgpr_read_b32 v118, a1
	v_accvgpr_read_b32 v122, a2
	v_accvgpr_read_b32 v124, a3
	v_cvt_f16_f32_e32 v117, v117
	v_cvt_f16_f32_e32 v118, v118
	;; [unrolled: 1-line block ×4, first 2 shown]
	v_accvgpr_write_b32 a0, v140
	v_pack_b32_f16 v118, v117, v118
	v_accvgpr_write_b32 a1, v141
	v_pack_b32_f16 v117, v122, v124
	ds_read_u16 v122, v138 offset:384
	ds_read_u16 v124, v144 offset:912
	;; [unrolled: 1-line block ×4, first 2 shown]
	v_accvgpr_write_b32 a2, v142
	v_accvgpr_write_b32 a3, v143
	s_waitcnt lgkmcnt(2)
	v_perm_b32 v120, v124, v122, s64
	v_cvt_f32_f16_sdwa v143, v40 dst_sel:DWORD dst_unused:UNUSED_PAD src0_sel:WORD_1
	s_waitcnt lgkmcnt(0)
	v_perm_b32 v121, v126, v125, s64
	ds_read_u16 v126, v138 offset:416
	ds_read_u16 v140, v144 offset:944
	ds_read_u16 v141, v187 offset:1056
	ds_read_u16 v142, v145 offset:416
	v_mfma_f32_16x16x16f16 a[0:3], v[120:121], v[34:35], a[0:3]
	v_cvt_f32_f16_sdwa v125, v85 dst_sel:DWORD dst_unused:UNUSED_PAD src0_sel:WORD_1
	s_waitcnt lgkmcnt(0)
	v_perm_b32 v141, v142, v141, s64
	v_perm_b32 v140, v140, v126, s64
	v_cvt_f32_f16_e32 v142, v40
	s_nop 5
	v_accvgpr_read_b32 v120, a0
	v_accvgpr_read_b32 v121, a1
	;; [unrolled: 1-line block ×4, first 2 shown]
	v_cvt_f16_f32_e32 v120, v120
	v_cvt_f16_f32_e32 v121, v121
	;; [unrolled: 1-line block ×4, first 2 shown]
	v_pack_b32_f16 v121, v120, v121
	v_pack_b32_f16 v120, v122, v124
	v_cvt_f32_f16_e32 v122, v123
	v_cvt_f32_f16_sdwa v123, v123 dst_sel:DWORD dst_unused:UNUSED_PAD src0_sel:WORD_1
	v_cvt_f32_f16_e32 v124, v85
	v_accvgpr_write_b32 a0, v122
	v_accvgpr_write_b32 a1, v123
	;; [unrolled: 1-line block ×4, first 2 shown]
	s_nop 1
	v_mfma_f32_16x16x16f16 a[0:3], v[140:141], v[34:35], a[0:3]
	v_cvt_f32_f16_e32 v140, v41
	v_cvt_f32_f16_sdwa v141, v41 dst_sel:DWORD dst_unused:UNUSED_PAD src0_sel:WORD_1
	s_nop 7
	s_nop 0
	v_accvgpr_read_b32 v123, a2
	v_accvgpr_read_b32 v85, a0
	;; [unrolled: 1-line block ×3, first 2 shown]
	v_cvt_f16_f32_e32 v124, v123
	v_accvgpr_read_b32 v123, a3
	v_cvt_f16_f32_e32 v85, v85
	v_cvt_f16_f32_e32 v122, v122
	;; [unrolled: 1-line block ×3, first 2 shown]
	v_accvgpr_write_b32 a0, v140
	v_accvgpr_write_b32 a1, v141
	v_pack_b32_f16 v123, v85, v122
	v_pack_b32_f16 v122, v124, v125
	ds_read_u16 v85, v138 offset:448
	ds_read_u16 v124, v144 offset:976
	;; [unrolled: 1-line block ×4, first 2 shown]
	v_accvgpr_write_b32 a2, v142
	v_accvgpr_write_b32 a3, v143
	s_waitcnt lgkmcnt(2)
	v_perm_b32 v40, v124, v85, s64
	v_cvt_f32_f16_e32 v140, v39
	s_waitcnt lgkmcnt(0)
	v_perm_b32 v41, v126, v125, s64
	v_cvt_f32_f16_sdwa v141, v39 dst_sel:DWORD dst_unused:UNUSED_PAD src0_sel:WORD_1
	v_cvt_f32_f16_e32 v142, v37
	v_mfma_f32_16x16x16f16 a[0:3], v[40:41], v[34:35], a[0:3]
	v_cvt_f32_f16_sdwa v143, v37 dst_sel:DWORD dst_unused:UNUSED_PAD src0_sel:WORD_1
	s_nop 7
	s_nop 1
	v_accvgpr_read_b32 v40, a0
	v_accvgpr_read_b32 v41, a1
	;; [unrolled: 1-line block ×4, first 2 shown]
	v_cvt_f16_f32_e32 v40, v40
	v_cvt_f16_f32_e32 v41, v41
	;; [unrolled: 1-line block ×4, first 2 shown]
	v_accvgpr_write_b32 a0, v140
	v_pack_b32_f16 v126, v40, v41
	v_accvgpr_write_b32 a1, v141
	v_pack_b32_f16 v125, v85, v124
	ds_read_u16 v40, v138 offset:480
	ds_read_u16 v85, v144 offset:1008
	;; [unrolled: 1-line block ×4, first 2 shown]
	v_accvgpr_write_b32 a2, v142
	v_accvgpr_write_b32 a3, v143
	s_waitcnt lgkmcnt(2)
	v_perm_b32 v40, v85, v40, s64
	s_waitcnt lgkmcnt(0)
	v_perm_b32 v41, v124, v41, s64
	s_barrier
	s_nop 0
	v_mfma_f32_16x16x16f16 a[0:3], v[40:41], v[34:35], a[0:3]
	s_nop 7
	s_nop 2
	v_accvgpr_read_b32 v34, a0
	v_accvgpr_read_b32 v35, a1
	;; [unrolled: 1-line block ×4, first 2 shown]
	v_cvt_f16_f32_e32 v34, v34
	v_cvt_f16_f32_e32 v35, v35
	;; [unrolled: 1-line block ×4, first 2 shown]
	v_pack_b32_f16 v124, v34, v35
	v_pack_b32_f16 v140, v37, v39
	s_cbranch_scc0 .LBB30_67
; %bb.63:                               ;   in Loop: Header=BB30_43 Depth=2
	v_mov_b32_e32 v142, v36
	v_mov_b32_e32 v143, v38
	s_andn2_b64 vcc, exec, s[38:39]
	s_ashr_i32 s41, s40, 31
	s_cbranch_vccz .LBB30_40
	s_branch .LBB30_43
.LBB30_64:                              ;   in Loop: Header=BB30_43 Depth=2
                                        ; implicit-def: $vgpr34_vgpr35_vgpr36_vgpr37
	s_branch .LBB30_61
.LBB30_65:                              ;   in Loop: Header=BB30_14 Depth=1
	v_readlane_b32 s48, v255, 21
	v_readlane_b32 s49, v255, 22
	s_cbranch_execz .LBB30_13
	s_branch .LBB30_181
.LBB30_66:                              ;   in Loop: Header=BB30_14 Depth=1
	v_mov_b32_e32 v36, 0
	v_mov_b32_e32 v38, 0xfeffffff
	;; [unrolled: 1-line block ×33, first 2 shown]
.LBB30_67:                              ;   in Loop: Header=BB30_14 Depth=1
	s_mov_b32 s72, s86
	s_lshl_b32 s86, s46, 6
	v_readlane_b32 s38, v254, 4
	s_sub_i32 s60, s38, s86
	s_cmp_lg_u64 s[66:67], 0
	s_mov_b32 s61, s87
	s_cselect_b64 s[56:57], -1, 0
	s_ashr_i32 s87, s86, 31
	s_cmp_eq_u64 s[66:67], 0
	v_readlane_b32 s39, v254, 5
	s_cbranch_scc1 .LBB30_73
; %bb.68:                               ;   in Loop: Header=BB30_14 Depth=1
	v_cmp_le_i32_e32 vcc, s60, v42
                                        ; implicit-def: $sgpr40
	s_and_saveexec_b64 s[38:39], vcc
	s_xor_b64 s[38:39], exec, s[38:39]
	s_cbranch_execz .LBB30_70
; %bb.69:                               ;   in Loop: Header=BB30_14 Depth=1
	ds_write_b16 v132, v243 offset:33792
	ds_write_b16 v244, v243 offset:33792
	s_mov_b32 s40, 0
                                        ; implicit-def: $vgpr1
                                        ; implicit-def: $vgpr43
                                        ; implicit-def: $vgpr45
                                        ; implicit-def: $vgpr47
.LBB30_70:                              ;   in Loop: Header=BB30_14 Depth=1
	s_or_saveexec_b64 s[38:39], s[38:39]
	v_mov_b32_e32 v34, s40
	v_mov_b32_e32 v35, s40
	s_xor_b64 exec, exec, s[38:39]
	s_cbranch_execz .LBB30_72
; %bb.71:                               ;   in Loop: Header=BB30_14 Depth=1
	s_lshl_b64 s[40:41], s[86:87], 1
	s_add_u32 s40, s66, s40
	s_addc_u32 s41, s67, s41
	v_lshlrev_b32_e32 v34, 1, v42
	v_add_co_u32_e32 v37, vcc, s40, v34
	v_mov_b32_e32 v34, s41
	v_readlane_b32 s42, v254, 14
	v_addc_co_u32_e32 v39, vcc, 0, v34, vcc
	v_mul_hi_u32 v34, s42, v1
	v_readlane_b32 s43, v254, 15
	v_add_u32_e32 v34, v1, v34
	v_lshrrev_b32_e32 v34, s43, v34
	v_readlane_b32 s44, v254, 10
	v_readlane_b32 s46, v254, 12
	v_mul_lo_u32 v34, v34, s44
	v_readlane_b32 s40, v255, 17
	v_sub_u32_e32 v1, v1, v34
	v_readlane_b32 s41, v255, 18
	s_mov_b32 s46, s40
	v_mad_i64_i32 v[34:35], s[40:41], v1, s46, 0
	v_lshlrev_b64 v[34:35], 1, v[34:35]
	v_add_co_u32_e32 v34, vcc, v37, v34
	v_addc_co_u32_e32 v35, vcc, v39, v35, vcc
	flat_load_ushort v1, v[34:35]
	v_mul_hi_u32 v34, s42, v43
	v_add_u32_e32 v34, v43, v34
	v_lshrrev_b32_e32 v34, s43, v34
	v_mul_lo_u32 v34, v34, s44
	v_sub_u32_e32 v34, v43, v34
	v_mad_i64_i32 v[34:35], s[40:41], v34, s46, 0
	v_lshlrev_b64 v[34:35], 1, v[34:35]
	v_add_co_u32_e32 v34, vcc, v37, v34
	v_addc_co_u32_e32 v35, vcc, v39, v35, vcc
	flat_load_ushort v34, v[34:35]
	v_readlane_b32 s45, v254, 11
	v_readlane_b32 s47, v254, 13
	s_waitcnt vmcnt(0) lgkmcnt(0)
	ds_write_b16 v132, v1 offset:33792
	ds_write_b16 v244, v34 offset:33792
	v_mul_hi_u32 v1, s42, v45
	v_add_u32_e32 v1, v45, v1
	v_lshrrev_b32_e32 v1, s43, v1
	v_mul_lo_u32 v1, v1, s44
	v_sub_u32_e32 v1, v45, v1
	v_mad_i64_i32 v[34:35], s[40:41], v1, s46, 0
	v_mul_hi_u32 v1, s42, v47
	v_add_u32_e32 v1, v47, v1
	v_lshrrev_b32_e32 v1, s43, v1
	v_mul_lo_u32 v1, v1, s44
	v_lshlrev_b64 v[34:35], 1, v[34:35]
	v_sub_u32_e32 v1, v47, v1
	v_add_co_u32_e32 v34, vcc, v37, v34
	v_mad_i64_i32 v[40:41], s[40:41], v1, s46, 0
	v_addc_co_u32_e32 v35, vcc, v39, v35, vcc
	v_lshlrev_b64 v[40:41], 1, v[40:41]
	v_add_co_u32_e32 v40, vcc, v37, v40
	v_addc_co_u32_e32 v41, vcc, v39, v41, vcc
	flat_load_ushort v34, v[34:35]
	s_nop 0
	flat_load_ushort v35, v[40:41]
.LBB30_72:                              ;   in Loop: Header=BB30_14 Depth=1
	s_or_b64 exec, exec, s[38:39]
	s_waitcnt vmcnt(0) lgkmcnt(0)
	ds_write_b16 v245, v34 offset:33792
	ds_write_b16 v246, v35 offset:33792
.LBB30_73:                              ;   in Loop: Header=BB30_14 Depth=1
	s_mul_hi_i32 s39, s86, s98
	s_mul_i32 s38, s86, s98
	s_lshl_b64 s[38:39], s[38:39], 2
	s_add_u32 s59, s70, s38
	s_addc_u32 s58, s71, s39
	v_add_co_u32_e32 v34, vcc, s59, v66
	v_mov_b32_e32 v1, s58
	v_addc_co_u32_e32 v35, vcc, v1, v67, vcc
	v_lshlrev_b32_e32 v1, 2, v46
	v_add_co_u32_e32 v34, vcc, v34, v1
	v_cmp_gt_i32_e64 s[40:41], s60, v133
	v_addc_co_u32_e32 v35, vcc, 0, v35, vcc
	v_mov_b32_e32 v37, s37
	v_mov_b32_e32 v39, s88
	buffer_store_dword v243, off, s[0:3], 0
	buffer_store_dword v243, off, s[0:3], 0 offset:4
	buffer_store_dword v243, off, s[0:3], 0 offset:8
	;; [unrolled: 1-line block ×3, first 2 shown]
	v_cndmask_b32_e64 v35, v37, v35, s[40:41]
	v_cndmask_b32_e64 v34, v39, v34, s[40:41]
	flat_load_dwordx4 v[86:89], v[34:35]
	v_add_co_u32_e32 v34, vcc, s59, v68
	v_mov_b32_e32 v35, s58
	v_addc_co_u32_e32 v35, vcc, v35, v69, vcc
	v_add_co_u32_e32 v34, vcc, v34, v1
	v_cmp_gt_i32_e64 s[38:39], s60, v247
	v_addc_co_u32_e32 v35, vcc, 0, v35, vcc
	v_cndmask_b32_e64 v35, v37, v35, s[38:39]
	v_cndmask_b32_e64 v34, v39, v34, s[38:39]
	v_cmp_gt_i32_e64 s[42:43], s60, v249
	v_cmp_gt_i32_e64 s[44:45], s60, v251
	;; [unrolled: 1-line block ×5, first 2 shown]
	s_mov_b32 s83, s53
	v_cmp_gt_i32_e64 s[52:53], s60, v206
	s_waitcnt vmcnt(0) lgkmcnt(0)
	ds_write_b128 v134, v[86:89]
	flat_load_dwordx4 v[86:89], v[34:35]
	v_add_co_u32_e32 v34, vcc, s59, v70
	v_mov_b32_e32 v35, s58
	v_addc_co_u32_e32 v35, vcc, v35, v71, vcc
	v_add_co_u32_e32 v34, vcc, v34, v1
	v_addc_co_u32_e32 v35, vcc, 0, v35, vcc
	v_cndmask_b32_e64 v35, v37, v35, s[42:43]
	v_cndmask_b32_e64 v34, v39, v34, s[42:43]
	s_waitcnt vmcnt(0) lgkmcnt(0)
	ds_write_b128 v248, v[86:89]
	flat_load_dwordx4 v[86:89], v[34:35]
	v_add_co_u32_e32 v34, vcc, s59, v72
	v_mov_b32_e32 v35, s58
	v_addc_co_u32_e32 v35, vcc, v35, v73, vcc
	v_add_co_u32_e32 v34, vcc, v34, v1
	v_addc_co_u32_e32 v35, vcc, 0, v35, vcc
	v_cndmask_b32_e64 v35, v37, v35, s[44:45]
	v_cndmask_b32_e64 v34, v39, v34, s[44:45]
	s_waitcnt vmcnt(0) lgkmcnt(0)
	ds_write_b128 v250, v[86:89]
	flat_load_dwordx4 v[86:89], v[34:35]
	v_add_co_u32_e32 v34, vcc, s59, v74
	v_mov_b32_e32 v35, s58
	v_addc_co_u32_e32 v35, vcc, v35, v75, vcc
	v_add_co_u32_e32 v34, vcc, v34, v1
	v_addc_co_u32_e32 v35, vcc, 0, v35, vcc
	v_cndmask_b32_e64 v35, v37, v35, s[46:47]
	v_cndmask_b32_e64 v34, v39, v34, s[46:47]
	s_waitcnt vmcnt(0) lgkmcnt(0)
	ds_write_b128 v252, v[86:89]
	flat_load_dwordx4 v[86:89], v[34:35]
	v_add_co_u32_e32 v34, vcc, s59, v76
	v_mov_b32_e32 v35, s58
	v_addc_co_u32_e32 v35, vcc, v35, v77, vcc
	v_add_co_u32_e32 v34, vcc, v34, v1
	v_addc_co_u32_e32 v35, vcc, 0, v35, vcc
	v_cndmask_b32_e64 v35, v37, v35, s[48:49]
	v_cndmask_b32_e64 v34, v39, v34, s[48:49]
	s_waitcnt vmcnt(0) lgkmcnt(0)
	ds_write_b128 v207, v[86:89]
	flat_load_dwordx4 v[86:89], v[34:35]
	v_add_co_u32_e32 v34, vcc, s59, v78
	v_mov_b32_e32 v35, s58
	v_addc_co_u32_e32 v35, vcc, v35, v79, vcc
	v_add_co_u32_e32 v34, vcc, v34, v1
	v_addc_co_u32_e32 v35, vcc, 0, v35, vcc
	v_cndmask_b32_e64 v35, v37, v35, s[50:51]
	v_cndmask_b32_e64 v34, v39, v34, s[50:51]
	s_waitcnt vmcnt(0) lgkmcnt(0)
	ds_write_b128 v209, v[86:89]
	flat_load_dwordx4 v[86:89], v[34:35]
	v_add_co_u32_e32 v34, vcc, s59, v80
	v_mov_b32_e32 v35, s58
	v_addc_co_u32_e32 v35, vcc, v35, v81, vcc
	v_add_co_u32_e32 v34, vcc, v34, v1
	v_addc_co_u32_e32 v35, vcc, 0, v35, vcc
	v_cndmask_b32_e64 v35, v37, v35, s[52:53]
	v_cndmask_b32_e64 v34, v39, v34, s[52:53]
	s_waitcnt vmcnt(0) lgkmcnt(0)
	ds_write_b128 v208, v[86:89]
	flat_load_dwordx4 v[86:89], v[34:35]
	s_waitcnt vmcnt(0) lgkmcnt(0)
	ds_write_b128 v204, v[86:89]
	s_waitcnt lgkmcnt(0)
	s_barrier
	ds_read2_b64 v[86:89], v135 offset1:4
	s_waitcnt lgkmcnt(0)
	v_mfma_f32_16x16x16f16 a[0:3], v[86:87], v[30:31], 0
	v_mfma_f32_16x16x16f16 a[0:3], v[88:89], v[32:33], a[0:3]
	ds_read2_b64 v[30:33], v135 offset0:8 offset1:12
	s_waitcnt lgkmcnt(0)
	v_mfma_f32_16x16x16f16 a[0:3], v[30:31], v[26:27], a[0:3]
	v_mfma_f32_16x16x16f16 a[0:3], v[32:33], v[28:29], a[0:3]
	ds_read2_b64 v[26:29], v135 offset0:16 offset1:20
	;; [unrolled: 4-line block ×7, first 2 shown]
	s_waitcnt lgkmcnt(0)
	s_barrier
	v_mfma_f32_16x16x16f16 a[0:3], v[6:7], v[2:3], a[0:3]
                                        ; implicit-def: $vgpr7
	v_mfma_f32_16x16x16f16 a[0:3], v[8:9], v[4:5], a[0:3]
	s_nop 7
	s_nop 2
	v_accvgpr_read_b32 v6, a0
	v_cmp_nlt_f32_e64 s[58:59], |v6|, s95
	s_and_saveexec_b64 s[62:63], s[58:59]
	s_xor_b64 s[58:59], exec, s[62:63]
	s_cbranch_execz .LBB30_75
; %bb.74:                               ;   in Loop: Header=BB30_14 Depth=1
	v_add_f32_e64 v2, |v6|, |v6|
	v_mul_f32_e32 v3, 0x3fb8aa3b, v2
	v_rndne_f32_e32 v4, v3
	v_sub_f32_e32 v5, v3, v4
	v_fma_f32 v3, v2, s65, -v3
	v_fmac_f32_e32 v3, 0x32a5705f, v2
	v_add_f32_e32 v3, v5, v3
	v_cvt_i32_f32_e32 v4, v4
	v_exp_f32_e32 v3, v3
	v_cmp_ngt_f32_e32 vcc, s36, v2
	v_ldexp_f32 v3, v3, v4
	v_cndmask_b32_e32 v3, 0, v3, vcc
	v_cmp_nlt_f32_e32 vcc, s97, v2
	v_cndmask_b32_e32 v2, v180, v3, vcc
	v_add_f32_e32 v2, 1.0, v2
	v_rcp_f32_e32 v2, v2
	v_fma_f32 v7, v2, -2.0, 1.0
.LBB30_75:                              ;   in Loop: Header=BB30_14 Depth=1
	s_or_saveexec_b64 s[58:59], s[58:59]
	s_mov_b32 s87, s61
	s_xor_b64 exec, exec, s[58:59]
; %bb.76:                               ;   in Loop: Header=BB30_14 Depth=1
	v_mul_f32_e32 v2, v6, v6
	v_mov_b32_e32 v3, 0x3ca908c9
	v_fmac_f32_e32 v3, 0xbbbac73d, v2
	v_fma_f32 v3, v2, v3, v185
	v_fma_f32 v3, v2, v3, v183
	;; [unrolled: 1-line block ×3, first 2 shown]
	v_mul_f32_e64 v3, |v6|, v3
	v_fma_f32 v7, v2, v3, |v6|
; %bb.77:                               ;   in Loop: Header=BB30_14 Depth=1
	s_or_b64 exec, exec, s[58:59]
	v_accvgpr_read_b32 v5, a3
	v_accvgpr_read_b32 v3, a1
	;; [unrolled: 1-line block ×4, first 2 shown]
	v_cmp_nlt_f32_e64 s[58:59], |v3|, s95
                                        ; implicit-def: $vgpr2
	s_and_saveexec_b64 s[62:63], s[58:59]
	s_xor_b64 s[58:59], exec, s[62:63]
	s_cbranch_execz .LBB30_79
; %bb.78:                               ;   in Loop: Header=BB30_14 Depth=1
	v_add_f32_e64 v2, |v3|, |v3|
	v_mul_f32_e32 v8, 0x3fb8aa3b, v2
	v_rndne_f32_e32 v9, v8
	v_sub_f32_e32 v10, v8, v9
	v_fma_f32 v8, v2, s65, -v8
	v_fmac_f32_e32 v8, 0x32a5705f, v2
	v_add_f32_e32 v8, v10, v8
	v_cvt_i32_f32_e32 v9, v9
	v_exp_f32_e32 v8, v8
	v_cmp_ngt_f32_e32 vcc, s36, v2
	v_ldexp_f32 v8, v8, v9
	v_cndmask_b32_e32 v8, 0, v8, vcc
	v_cmp_nlt_f32_e32 vcc, s97, v2
	v_cndmask_b32_e32 v2, v180, v8, vcc
	v_add_f32_e32 v2, 1.0, v2
	v_rcp_f32_e32 v2, v2
	v_fma_f32 v2, v2, -2.0, 1.0
.LBB30_79:                              ;   in Loop: Header=BB30_14 Depth=1
	s_andn2_saveexec_b64 s[58:59], s[58:59]
; %bb.80:                               ;   in Loop: Header=BB30_14 Depth=1
	v_mul_f32_e32 v2, v3, v3
	v_mov_b32_e32 v8, 0x3ca908c9
	v_fmac_f32_e32 v8, 0xbbbac73d, v2
	v_fma_f32 v8, v2, v8, v185
	v_fma_f32 v8, v2, v8, v183
	;; [unrolled: 1-line block ×3, first 2 shown]
	v_mul_f32_e64 v8, |v3|, v8
	v_fma_f32 v2, v2, v8, |v3|
; %bb.81:                               ;   in Loop: Header=BB30_14 Depth=1
	s_or_b64 exec, exec, s[58:59]
	v_cmp_nlt_f32_e64 s[58:59], |v4|, s95
                                        ; implicit-def: $vgpr8
	s_and_saveexec_b64 s[62:63], s[58:59]
	s_xor_b64 s[58:59], exec, s[62:63]
	s_cbranch_execz .LBB30_83
; %bb.82:                               ;   in Loop: Header=BB30_14 Depth=1
	v_add_f32_e64 v8, |v4|, |v4|
	v_mul_f32_e32 v9, 0x3fb8aa3b, v8
	v_rndne_f32_e32 v10, v9
	v_sub_f32_e32 v11, v9, v10
	v_fma_f32 v9, v8, s65, -v9
	v_fmac_f32_e32 v9, 0x32a5705f, v8
	v_add_f32_e32 v9, v11, v9
	v_cvt_i32_f32_e32 v10, v10
	v_exp_f32_e32 v9, v9
	v_cmp_ngt_f32_e32 vcc, s36, v8
	v_ldexp_f32 v9, v9, v10
	v_cndmask_b32_e32 v9, 0, v9, vcc
	v_cmp_nlt_f32_e32 vcc, s97, v8
	v_cndmask_b32_e32 v8, v180, v9, vcc
	v_add_f32_e32 v8, 1.0, v8
	v_rcp_f32_e32 v8, v8
	v_fma_f32 v8, v8, -2.0, 1.0
.LBB30_83:                              ;   in Loop: Header=BB30_14 Depth=1
	s_andn2_saveexec_b64 s[58:59], s[58:59]
; %bb.84:                               ;   in Loop: Header=BB30_14 Depth=1
	v_mul_f32_e32 v8, v4, v4
	v_mov_b32_e32 v9, 0x3ca908c9
	v_fmac_f32_e32 v9, 0xbbbac73d, v8
	v_fma_f32 v9, v8, v9, v185
	v_fma_f32 v9, v8, v9, v183
	;; [unrolled: 1-line block ×3, first 2 shown]
	v_mul_f32_e64 v9, |v4|, v9
	v_fma_f32 v8, v8, v9, |v4|
; %bb.85:                               ;   in Loop: Header=BB30_14 Depth=1
	s_or_b64 exec, exec, s[58:59]
	v_cmp_nlt_f32_e64 s[58:59], |v5|, s95
                                        ; implicit-def: $vgpr9
	s_and_saveexec_b64 s[62:63], s[58:59]
	s_xor_b64 s[58:59], exec, s[62:63]
	s_cbranch_execz .LBB30_87
; %bb.86:                               ;   in Loop: Header=BB30_14 Depth=1
	v_add_f32_e64 v9, |v5|, |v5|
	v_mul_f32_e32 v10, 0x3fb8aa3b, v9
	v_rndne_f32_e32 v11, v10
	v_sub_f32_e32 v12, v10, v11
	v_fma_f32 v10, v9, s65, -v10
	v_fmac_f32_e32 v10, 0x32a5705f, v9
	v_add_f32_e32 v10, v12, v10
	v_cvt_i32_f32_e32 v11, v11
	v_exp_f32_e32 v10, v10
	v_cmp_ngt_f32_e32 vcc, s36, v9
	v_ldexp_f32 v10, v10, v11
	v_cndmask_b32_e32 v10, 0, v10, vcc
	v_cmp_nlt_f32_e32 vcc, s97, v9
	v_cndmask_b32_e32 v9, v180, v10, vcc
	v_add_f32_e32 v9, 1.0, v9
	v_rcp_f32_e32 v9, v9
	v_fma_f32 v9, v9, -2.0, 1.0
.LBB30_87:                              ;   in Loop: Header=BB30_14 Depth=1
	s_andn2_saveexec_b64 s[58:59], s[58:59]
; %bb.88:                               ;   in Loop: Header=BB30_14 Depth=1
	v_mul_f32_e32 v9, v5, v5
	v_mov_b32_e32 v10, 0x3ca908c9
	v_fmac_f32_e32 v10, 0xbbbac73d, v9
	v_fma_f32 v10, v9, v10, v185
	v_fma_f32 v10, v9, v10, v183
	;; [unrolled: 1-line block ×3, first 2 shown]
	v_mul_f32_e64 v10, |v5|, v10
	v_fma_f32 v9, v9, v10, |v5|
; %bb.89:                               ;   in Loop: Header=BB30_14 Depth=1
	s_or_b64 exec, exec, s[58:59]
	v_bfi_b32 v2, s89, v2, v3
	v_bfi_b32 v6, s89, v7, v6
	v_mul_f32_e32 v7, s93, v2
	v_bfi_b32 v2, s89, v8, v4
	v_mul_f32_e32 v8, s93, v2
	;; [unrolled: 2-line block ×3, first 2 shown]
	v_mul_f32_e32 v9, s93, v2
	s_and_b64 vcc, exec, s[56:57]
	s_cbranch_vccz .LBB30_337
; %bb.90:                               ;   in Loop: Header=BB30_14 Depth=1
	v_add_u32_e32 v2, 0x8400, v136
	ds_read2_b32 v[2:3], v2 offset1:1
	s_waitcnt lgkmcnt(0)
	v_cvt_f32_f16_e32 v10, v2
	v_cvt_f32_f16_e32 v4, v3
	v_cvt_f32_f16_sdwa v5, v3 dst_sel:DWORD dst_unused:UNUSED_PAD src0_sel:WORD_1
	v_cvt_f32_f16_sdwa v11, v2 dst_sel:DWORD dst_unused:UNUSED_PAD src0_sel:WORD_1
	v_pk_fma_f32 v[4:5], v[84:85], v[4:5], v[8:9] op_sel_hi:[0,1,1]
	v_pk_fma_f32 v[2:3], v[84:85], v[10:11], v[6:7] op_sel_hi:[0,1,1]
	s_cbranch_execnz .LBB30_92
.LBB30_91:                              ;   in Loop: Header=BB30_14 Depth=1
	v_pk_mov_b32 v[2:3], v[6:7], v[6:7] op_sel:[0,1]
	v_pk_mov_b32 v[4:5], v[8:9], v[8:9] op_sel:[0,1]
.LBB30_92:                              ;   in Loop: Header=BB30_14 Depth=1
	v_add_f32_e32 v6, 0x40051340, v2
	v_max_f32_e32 v7, v38, v38
	v_cmp_gt_u32_e32 vcc, s60, v155
	v_max_f32_e32 v6, v7, v6
	v_cndmask_b32_e32 v6, v38, v6, vcc
	v_add_f32_e32 v7, 0x40051340, v3
	v_max_f32_e32 v8, v6, v6
	v_cmp_gt_u32_e64 s[56:57], s60, v184
	v_max_f32_e32 v7, v8, v7
	v_cndmask_b32_e64 v6, v6, v7, s[56:57]
	v_add_f32_e32 v7, 0x40051340, v4
	v_max_f32_e32 v8, v6, v6
	v_cmp_gt_u32_e64 s[58:59], s60, v188
	v_max_f32_e32 v7, v8, v7
	v_cndmask_b32_e64 v6, v6, v7, s[58:59]
	;; [unrolled: 5-line block ×3, first 2 shown]
	v_and_b32_e32 v7, 64, v242
	v_add_u32_e32 v7, 64, v7
	v_xor_b32_e32 v8, 32, v242
	v_cmp_lt_i32_e64 s[62:63], v8, v7
	v_cndmask_b32_e64 v8, v242, v8, s[62:63]
	v_lshlrev_b32_e32 v39, 2, v8
	ds_bpermute_b32 v8, v39, v6
	v_max_f32_e32 v6, v6, v6
	v_cndmask_b32_e64 v4, v4, v4, s[56:57]
	v_cndmask_b32_e64 v5, v5, v5, s[56:57]
	buffer_store_dword v243, off, s[0:3], 0
	buffer_store_dword v243, off, s[0:3], 0 offset:4
	buffer_store_dword v243, off, s[0:3], 0 offset:8
	;; [unrolled: 1-line block ×3, first 2 shown]
	s_waitcnt lgkmcnt(0)
	v_max_f32_e32 v8, v8, v8
	v_max_f32_e32 v6, v6, v8
	v_xor_b32_e32 v8, 16, v242
	v_cmp_lt_i32_e64 s[62:63], v8, v7
	v_cndmask_b32_e64 v7, v242, v8, s[62:63]
	v_lshlrev_b32_e32 v40, 2, v7
	ds_bpermute_b32 v7, v40, v6
	s_waitcnt lgkmcnt(0)
	v_max_f32_e32 v7, v7, v7
	v_max_f32_e32 v6, v6, v7
	v_sub_f32_e32 v2, v2, v6
	v_mul_f32_e32 v7, 0x3fb8aa3b, v2
	v_fma_f32 v8, v2, s65, -v7
	v_rndne_f32_e32 v9, v7
	v_fmac_f32_e32 v8, 0x32a5705f, v2
	v_sub_f32_e32 v7, v7, v9
	v_add_f32_e32 v7, v7, v8
	v_exp_f32_e32 v7, v7
	v_cvt_i32_f32_e32 v8, v9
	v_cmp_ngt_f32_e64 s[62:63], s36, v2
	v_ldexp_f32 v7, v7, v8
	v_cndmask_b32_e64 v7, 0, v7, s[62:63]
	v_cmp_nlt_f32_e64 s[62:63], s97, v2
	v_cndmask_b32_e64 v2, v180, v7, s[62:63]
	v_cndmask_b32_e32 v34, 0, v2, vcc
	v_sub_f32_e32 v2, v3, v6
	v_mul_f32_e32 v3, 0x3fb8aa3b, v2
	v_fma_f32 v7, v2, s65, -v3
	v_rndne_f32_e32 v8, v3
	v_fmac_f32_e32 v7, 0x32a5705f, v2
	v_sub_f32_e32 v3, v3, v8
	v_add_f32_e32 v3, v3, v7
	v_exp_f32_e32 v3, v3
	v_cvt_i32_f32_e32 v7, v8
	v_cmp_ngt_f32_e32 vcc, s36, v2
	v_ldexp_f32 v3, v3, v7
	v_cndmask_b32_e32 v3, 0, v3, vcc
	v_cmp_nlt_f32_e32 vcc, s97, v2
	v_cndmask_b32_e32 v2, v180, v3, vcc
	v_mov_b32_e32 v3, s9
	v_add_f32_e32 v7, v2, v34
	v_cndmask_b32_e64 v35, v3, v2, s[56:57]
	v_sub_f32_e32 v2, v4, v6
	v_mul_f32_e32 v4, 0x3fb8aa3b, v2
	v_cndmask_b32_e64 v3, v34, v7, s[56:57]
	v_fma_f32 v7, v2, s65, -v4
	v_rndne_f32_e32 v8, v4
	v_fmac_f32_e32 v7, 0x32a5705f, v2
	v_sub_f32_e32 v4, v4, v8
	v_add_f32_e32 v4, v4, v7
	v_exp_f32_e32 v4, v4
	v_cvt_i32_f32_e32 v7, v8
	v_cmp_ngt_f32_e32 vcc, s36, v2
	v_cvt_f16_f32_e32 v34, v34
	v_cvt_f16_f32_e32 v35, v35
	v_ldexp_f32 v4, v4, v7
	v_cndmask_b32_e32 v4, 0, v4, vcc
	v_cmp_nlt_f32_e32 vcc, s97, v2
	v_cndmask_b32_e32 v4, v180, v4, vcc
	v_add_f32_e32 v7, v3, v4
	v_mov_b32_e32 v2, s9
	v_cndmask_b32_e64 v37, v2, v4, s[58:59]
	v_cndmask_b32_e64 v2, v3, v7, s[58:59]
	v_sub_f32_e32 v3, v5, v6
	v_mul_f32_e32 v4, 0x3fb8aa3b, v3
	v_fma_f32 v5, v3, s65, -v4
	v_rndne_f32_e32 v7, v4
	v_fmac_f32_e32 v5, 0x32a5705f, v3
	v_sub_f32_e32 v4, v4, v7
	v_add_f32_e32 v4, v4, v5
	v_exp_f32_e32 v4, v4
	v_cvt_i32_f32_e32 v5, v7
	v_cmp_ngt_f32_e32 vcc, s36, v3
	v_pack_b32_f16 v34, v34, v35
	v_cvt_f16_f32_e32 v35, v37
	v_ldexp_f32 v4, v4, v5
	v_cndmask_b32_e32 v4, 0, v4, vcc
	v_cmp_nlt_f32_e32 vcc, s97, v3
	v_cndmask_b32_e32 v4, v180, v4, vcc
	v_add_f32_e32 v5, v2, v4
	v_mov_b32_e32 v3, s9
	v_cndmask_b32_e64 v7, v2, v5, s[60:61]
	v_sub_f32_e32 v2, v38, v6
	v_cndmask_b32_e64 v41, v3, v4, s[60:61]
	v_mul_f32_e32 v3, 0x3fb8aa3b, v2
	v_fma_f32 v4, v2, s65, -v3
	v_rndne_f32_e32 v5, v3
	v_fmac_f32_e32 v4, 0x32a5705f, v2
	v_sub_f32_e32 v3, v3, v5
	v_add_f32_e32 v3, v3, v4
	v_exp_f32_e32 v3, v3
	v_cvt_i32_f32_e32 v4, v5
	v_cmp_ngt_f32_e32 vcc, s36, v2
	v_cvt_f16_f32_e32 v37, v41
	s_mul_hi_i32 s57, s86, s84
	v_ldexp_f32 v3, v3, v4
	v_cndmask_b32_e32 v3, 0, v3, vcc
	v_cmp_nlt_f32_e32 vcc, s97, v2
	v_cndmask_b32_e32 v3, v180, v3, vcc
	v_cmp_le_f32_e32 vcc, s94, v2
	v_cndmask_b32_e32 v2, 0, v3, vcc
	v_cvt_f16_f32_e32 v38, v2
	s_mul_i32 s56, s86, s84
	s_lshl_b64 s[56:57], s[56:57], 2
	s_add_u32 s56, s73, s56
	s_addc_u32 s57, s78, s57
	v_fmac_f32_e32 v7, v36, v2
	v_pk_mul_f16 v36, v38, v96 op_sel_hi:[0,1]
	v_pk_mul_f16 v2, v38, v83 op_sel_hi:[0,1]
	;; [unrolled: 1-line block ×32, first 2 shown]
	v_pack_b32_f16 v35, v35, v37
	v_add_co_u32_e32 v37, vcc, s56, v50
	v_mov_b32_e32 v38, s57
	v_addc_co_u32_e32 v38, vcc, v38, v51, vcc
	v_add_co_u32_e32 v37, vcc, v37, v1
	v_addc_co_u32_e32 v38, vcc, 0, v38, vcc
	v_mov_b32_e32 v41, s37
	v_cndmask_b32_e64 v45, v41, v38, s[40:41]
	v_mov_b32_e32 v38, s88
	v_cndmask_b32_e64 v44, v38, v37, s[40:41]
	flat_load_dwordx4 v[86:89], v[44:45]
	v_add_co_u32_e32 v37, vcc, s56, v52
	v_mov_b32_e32 v43, s57
	v_addc_co_u32_e32 v43, vcc, v43, v53, vcc
	v_add_co_u32_e32 v37, vcc, v37, v1
	v_addc_co_u32_e32 v43, vcc, 0, v43, vcc
	v_cndmask_b32_e64 v45, v41, v43, s[38:39]
	v_cndmask_b32_e64 v44, v38, v37, s[38:39]
	v_add_co_u32_e32 v37, vcc, s56, v54
	v_mov_b32_e32 v43, s57
	v_addc_co_u32_e32 v43, vcc, v43, v55, vcc
	v_add_co_u32_e32 v37, vcc, v37, v1
	v_addc_co_u32_e32 v43, vcc, 0, v43, vcc
	s_cmp_eq_u64 s[30:31], 0
	s_cselect_b64 s[38:39], -1, 0
	s_waitcnt vmcnt(0) lgkmcnt(0)
	ds_write_b128 v134, v[86:89]
	flat_load_dwordx4 v[86:89], v[44:45]
	v_cndmask_b32_e64 v45, v41, v43, s[42:43]
	v_cndmask_b32_e64 v44, v38, v37, s[42:43]
	v_add_co_u32_e32 v37, vcc, s56, v56
	v_mov_b32_e32 v43, s57
	v_addc_co_u32_e32 v43, vcc, v43, v57, vcc
	v_add_co_u32_e32 v37, vcc, v37, v1
	v_addc_co_u32_e32 v43, vcc, 0, v43, vcc
	s_waitcnt vmcnt(0) lgkmcnt(0)
	ds_write_b128 v248, v[86:89]
	flat_load_dwordx4 v[86:89], v[44:45]
	v_cndmask_b32_e64 v45, v41, v43, s[44:45]
	v_cndmask_b32_e64 v44, v38, v37, s[44:45]
	v_add_co_u32_e32 v37, vcc, s56, v58
	v_mov_b32_e32 v43, s57
	v_addc_co_u32_e32 v43, vcc, v43, v59, vcc
	v_add_co_u32_e32 v37, vcc, v37, v1
	v_addc_co_u32_e32 v43, vcc, 0, v43, vcc
	v_readlane_b32 s44, v255, 11
	v_readlane_b32 s45, v255, 12
	s_xor_b64 s[40:41], s[44:45], -1
	s_or_b64 s[38:39], s[40:41], s[38:39]
	s_waitcnt vmcnt(0) lgkmcnt(0)
	ds_write_b128 v250, v[86:89]
	flat_load_dwordx4 v[86:89], v[44:45]
	v_cndmask_b32_e64 v45, v41, v43, s[46:47]
	v_cndmask_b32_e64 v44, v38, v37, s[46:47]
	v_add_co_u32_e32 v37, vcc, s56, v60
	v_mov_b32_e32 v43, s57
	v_addc_co_u32_e32 v43, vcc, v43, v61, vcc
	v_add_co_u32_e32 v37, vcc, v37, v1
	v_addc_co_u32_e32 v43, vcc, 0, v43, vcc
	s_waitcnt vmcnt(0) lgkmcnt(0)
	ds_write_b128 v252, v[86:89]
	flat_load_dwordx4 v[86:89], v[44:45]
	v_cndmask_b32_e64 v45, v41, v43, s[48:49]
	v_cndmask_b32_e64 v44, v38, v37, s[48:49]
	v_add_co_u32_e32 v37, vcc, s56, v62
	v_mov_b32_e32 v43, s57
	v_addc_co_u32_e32 v43, vcc, v43, v63, vcc
	v_add_co_u32_e32 v37, vcc, v37, v1
	v_addc_co_u32_e32 v43, vcc, 0, v43, vcc
	;; [unrolled: 10-line block ×3, first 2 shown]
	s_waitcnt vmcnt(0) lgkmcnt(0)
	ds_write_b128 v209, v[86:89]
	flat_load_dwordx4 v[86:89], v[44:45]
	v_cndmask_b32_e64 v45, v41, v37, s[52:53]
	v_cndmask_b32_e64 v44, v38, v1, s[52:53]
	v_add_u32_e32 v41, v137, v157
	v_add_u32_e32 v38, v137, v156
	s_waitcnt vmcnt(0) lgkmcnt(0)
	ds_write_b128 v208, v[86:89]
	flat_load_dwordx4 v[86:89], v[44:45]
	s_waitcnt vmcnt(0) lgkmcnt(0)
	ds_write_b128 v204, v[86:89]
	s_waitcnt lgkmcnt(0)
	s_barrier
	ds_read_u16 v1, v158 offset:1056
	v_cvt_f32_f16_e32 v88, v2
	v_cvt_f32_f16_sdwa v89, v2 dst_sel:DWORD dst_unused:UNUSED_PAD src0_sel:WORD_1
	ds_read_u16 v2, v41
	ds_read_u16 v43, v41 offset:32
	v_cvt_f32_f16_e32 v86, v36
	v_cvt_f32_f16_sdwa v87, v36 dst_sel:DWORD dst_unused:UNUSED_PAD src0_sel:WORD_1
	s_waitcnt lgkmcnt(1)
	v_perm_b32 v37, v2, v1, s64
	ds_read_u16 v1, v138
	ds_read_u16 v44, v138 offset:32
	ds_read_u16 v2, v38 offset:528
	;; [unrolled: 1-line block ×3, first 2 shown]
	v_accvgpr_write_b32 a0, v86
	v_accvgpr_write_b32 a1, v87
	;; [unrolled: 1-line block ×3, first 2 shown]
	s_waitcnt lgkmcnt(1)
	v_perm_b32 v36, v2, v1, s64
	v_accvgpr_write_b32 a3, v89
	v_cvt_f32_f16_e32 v86, v4
	v_cvt_f32_f16_sdwa v87, v4 dst_sel:DWORD dst_unused:UNUSED_PAD src0_sel:WORD_1
	v_mfma_f32_16x16x16f16 a[0:3], v[36:37], v[34:35], a[0:3]
	v_cvt_f32_f16_e32 v88, v3
	v_cvt_f32_f16_sdwa v89, v3 dst_sel:DWORD dst_unused:UNUSED_PAD src0_sel:WORD_1
	s_nop 7
	s_nop 0
	v_accvgpr_read_b32 v1, a0
	v_accvgpr_read_b32 v2, a1
	;; [unrolled: 1-line block ×4, first 2 shown]
	v_cvt_f16_f32_e32 v1, v1
	v_cvt_f16_f32_e32 v2, v2
	v_cvt_f16_f32_e32 v36, v36
	v_cvt_f16_f32_e32 v37, v37
	v_accvgpr_write_b32 a0, v86
	v_pack_b32_f16 v2, v1, v2
	v_accvgpr_write_b32 a1, v87
	v_pack_b32_f16 v1, v36, v37
	ds_read_u16 v36, v199 offset:1056
	v_accvgpr_write_b32 a2, v88
	v_accvgpr_write_b32 a3, v89
	v_cvt_f32_f16_e32 v86, v8
	v_cvt_f32_f16_sdwa v87, v8 dst_sel:DWORD dst_unused:UNUSED_PAD src0_sel:WORD_1
	s_waitcnt lgkmcnt(0)
	v_perm_b32 v37, v43, v36, s64
	v_perm_b32 v36, v45, v44, s64
	v_cvt_f32_f16_e32 v88, v5
	v_cvt_f32_f16_sdwa v89, v5 dst_sel:DWORD dst_unused:UNUSED_PAD src0_sel:WORD_1
	v_mfma_f32_16x16x16f16 a[0:3], v[36:37], v[34:35], a[0:3]
	s_nop 7
	s_nop 2
	v_accvgpr_read_b32 v3, a0
	v_accvgpr_read_b32 v4, a1
	v_accvgpr_read_b32 v36, a2
	v_accvgpr_read_b32 v37, a3
	v_cvt_f16_f32_e32 v3, v3
	v_cvt_f16_f32_e32 v4, v4
	v_cvt_f16_f32_e32 v36, v36
	v_cvt_f16_f32_e32 v37, v37
	v_accvgpr_write_b32 a0, v86
	v_pack_b32_f16 v4, v3, v4
	v_accvgpr_write_b32 a1, v87
	v_pack_b32_f16 v3, v36, v37
	ds_read_u16 v36, v138 offset:64
	ds_read_u16 v43, v38 offset:592
	ds_read_u16 v37, v203 offset:1056
	ds_read_u16 v44, v41 offset:64
	v_accvgpr_write_b32 a2, v88
	v_accvgpr_write_b32 a3, v89
	s_waitcnt lgkmcnt(2)
	v_perm_b32 v36, v43, v36, s64
	v_cvt_f32_f16_e32 v86, v10
	s_waitcnt lgkmcnt(0)
	v_perm_b32 v37, v44, v37, s64
	v_cvt_f32_f16_sdwa v87, v10 dst_sel:DWORD dst_unused:UNUSED_PAD src0_sel:WORD_1
	v_cvt_f32_f16_e32 v88, v9
	v_mfma_f32_16x16x16f16 a[0:3], v[36:37], v[34:35], a[0:3]
	v_cvt_f32_f16_sdwa v89, v9 dst_sel:DWORD dst_unused:UNUSED_PAD src0_sel:WORD_1
	s_nop 7
	s_nop 1
	v_accvgpr_read_b32 v5, a0
	v_accvgpr_read_b32 v8, a1
	v_accvgpr_read_b32 v36, a2
	v_accvgpr_read_b32 v37, a3
	v_cvt_f16_f32_e32 v5, v5
	v_cvt_f16_f32_e32 v8, v8
	v_cvt_f16_f32_e32 v36, v36
	v_cvt_f16_f32_e32 v37, v37
	v_accvgpr_write_b32 a0, v86
	v_pack_b32_f16 v8, v5, v8
	v_accvgpr_write_b32 a1, v87
	v_pack_b32_f16 v5, v36, v37
	ds_read_u16 v36, v138 offset:96
	ds_read_u16 v43, v38 offset:624
	ds_read_u16 v37, v201 offset:1056
	ds_read_u16 v44, v41 offset:96
	v_accvgpr_write_b32 a2, v88
	v_accvgpr_write_b32 a3, v89
	s_waitcnt lgkmcnt(2)
	v_perm_b32 v36, v43, v36, s64
	v_cvt_f32_f16_e32 v86, v12
	s_waitcnt lgkmcnt(0)
	v_perm_b32 v37, v44, v37, s64
	v_cvt_f32_f16_sdwa v87, v12 dst_sel:DWORD dst_unused:UNUSED_PAD src0_sel:WORD_1
	v_cvt_f32_f16_e32 v88, v11
	v_mfma_f32_16x16x16f16 a[0:3], v[36:37], v[34:35], a[0:3]
	v_cvt_f32_f16_sdwa v89, v11 dst_sel:DWORD dst_unused:UNUSED_PAD src0_sel:WORD_1
	s_nop 7
	s_nop 1
	v_accvgpr_read_b32 v9, a0
	v_accvgpr_read_b32 v10, a1
	v_accvgpr_read_b32 v36, a2
	v_accvgpr_read_b32 v37, a3
	v_cvt_f16_f32_e32 v9, v9
	v_cvt_f16_f32_e32 v10, v10
	v_cvt_f16_f32_e32 v36, v36
	v_cvt_f16_f32_e32 v37, v37
	v_accvgpr_write_b32 a0, v86
	v_pack_b32_f16 v10, v9, v10
	v_accvgpr_write_b32 a1, v87
	v_pack_b32_f16 v9, v36, v37
	ds_read_u16 v36, v138 offset:128
	ds_read_u16 v43, v38 offset:656
	ds_read_u16 v37, v196 offset:1056
	ds_read_u16 v44, v41 offset:128
	v_accvgpr_write_b32 a2, v88
	v_accvgpr_write_b32 a3, v89
	s_waitcnt lgkmcnt(2)
	v_perm_b32 v36, v43, v36, s64
	v_cvt_f32_f16_e32 v86, v14
	s_waitcnt lgkmcnt(0)
	v_perm_b32 v37, v44, v37, s64
	v_cvt_f32_f16_sdwa v87, v14 dst_sel:DWORD dst_unused:UNUSED_PAD src0_sel:WORD_1
	v_cvt_f32_f16_e32 v88, v13
	v_mfma_f32_16x16x16f16 a[0:3], v[36:37], v[34:35], a[0:3]
	v_cvt_f32_f16_sdwa v89, v13 dst_sel:DWORD dst_unused:UNUSED_PAD src0_sel:WORD_1
	s_nop 7
	s_nop 1
	v_accvgpr_read_b32 v11, a0
	v_accvgpr_read_b32 v12, a1
	v_accvgpr_read_b32 v36, a2
	v_accvgpr_read_b32 v37, a3
	v_cvt_f16_f32_e32 v11, v11
	v_cvt_f16_f32_e32 v12, v12
	v_cvt_f16_f32_e32 v36, v36
	v_cvt_f16_f32_e32 v37, v37
	v_accvgpr_write_b32 a0, v86
	v_pack_b32_f16 v12, v11, v12
	v_accvgpr_write_b32 a1, v87
	v_pack_b32_f16 v11, v36, v37
	ds_read_u16 v36, v138 offset:160
	ds_read_u16 v43, v38 offset:688
	ds_read_u16 v37, v200 offset:1056
	ds_read_u16 v44, v41 offset:160
	v_accvgpr_write_b32 a2, v88
	v_accvgpr_write_b32 a3, v89
	s_waitcnt lgkmcnt(2)
	v_perm_b32 v36, v43, v36, s64
	v_cvt_f32_f16_e32 v86, v16
	s_waitcnt lgkmcnt(0)
	v_perm_b32 v37, v44, v37, s64
	v_cvt_f32_f16_sdwa v87, v16 dst_sel:DWORD dst_unused:UNUSED_PAD src0_sel:WORD_1
	v_cvt_f32_f16_e32 v88, v15
	v_mfma_f32_16x16x16f16 a[0:3], v[36:37], v[34:35], a[0:3]
	v_cvt_f32_f16_sdwa v89, v15 dst_sel:DWORD dst_unused:UNUSED_PAD src0_sel:WORD_1
	s_nop 7
	s_nop 1
	v_accvgpr_read_b32 v13, a0
	v_accvgpr_read_b32 v14, a1
	v_accvgpr_read_b32 v36, a2
	v_accvgpr_read_b32 v37, a3
	v_cvt_f16_f32_e32 v13, v13
	v_cvt_f16_f32_e32 v14, v14
	v_cvt_f16_f32_e32 v36, v36
	v_cvt_f16_f32_e32 v37, v37
	v_accvgpr_write_b32 a0, v86
	v_pack_b32_f16 v14, v13, v14
	v_accvgpr_write_b32 a1, v87
	v_pack_b32_f16 v13, v36, v37
	ds_read_u16 v36, v138 offset:192
	ds_read_u16 v43, v38 offset:720
	ds_read_u16 v37, v198 offset:1056
	ds_read_u16 v44, v41 offset:192
	v_accvgpr_write_b32 a2, v88
	v_accvgpr_write_b32 a3, v89
	s_waitcnt lgkmcnt(2)
	v_perm_b32 v36, v43, v36, s64
	v_cvt_f32_f16_e32 v86, v18
	s_waitcnt lgkmcnt(0)
	v_perm_b32 v37, v44, v37, s64
	v_cvt_f32_f16_sdwa v87, v18 dst_sel:DWORD dst_unused:UNUSED_PAD src0_sel:WORD_1
	v_cvt_f32_f16_e32 v88, v17
	v_mfma_f32_16x16x16f16 a[0:3], v[36:37], v[34:35], a[0:3]
	v_cvt_f32_f16_sdwa v89, v17 dst_sel:DWORD dst_unused:UNUSED_PAD src0_sel:WORD_1
	s_nop 7
	s_nop 1
	v_accvgpr_read_b32 v15, a0
	v_accvgpr_read_b32 v16, a1
	v_accvgpr_read_b32 v36, a2
	v_accvgpr_read_b32 v37, a3
	v_cvt_f16_f32_e32 v15, v15
	v_cvt_f16_f32_e32 v16, v16
	v_cvt_f16_f32_e32 v36, v36
	v_cvt_f16_f32_e32 v37, v37
	v_accvgpr_write_b32 a0, v86
	v_pack_b32_f16 v16, v15, v16
	v_accvgpr_write_b32 a1, v87
	v_pack_b32_f16 v15, v36, v37
	ds_read_u16 v36, v138 offset:224
	ds_read_u16 v43, v38 offset:752
	ds_read_u16 v37, v193 offset:1056
	ds_read_u16 v44, v41 offset:224
	v_accvgpr_write_b32 a2, v88
	v_accvgpr_write_b32 a3, v89
	s_waitcnt lgkmcnt(2)
	v_perm_b32 v36, v43, v36, s64
	v_cvt_f32_f16_e32 v86, v20
	s_waitcnt lgkmcnt(0)
	v_perm_b32 v37, v44, v37, s64
	v_cvt_f32_f16_sdwa v87, v20 dst_sel:DWORD dst_unused:UNUSED_PAD src0_sel:WORD_1
	v_cvt_f32_f16_e32 v88, v19
	v_mfma_f32_16x16x16f16 a[0:3], v[36:37], v[34:35], a[0:3]
	v_cvt_f32_f16_sdwa v89, v19 dst_sel:DWORD dst_unused:UNUSED_PAD src0_sel:WORD_1
	s_nop 7
	s_nop 1
	v_accvgpr_read_b32 v17, a0
	v_accvgpr_read_b32 v18, a1
	v_accvgpr_read_b32 v36, a2
	v_accvgpr_read_b32 v37, a3
	v_cvt_f16_f32_e32 v17, v17
	v_cvt_f16_f32_e32 v18, v18
	v_cvt_f16_f32_e32 v36, v36
	v_cvt_f16_f32_e32 v37, v37
	v_accvgpr_write_b32 a0, v86
	v_pack_b32_f16 v18, v17, v18
	v_accvgpr_write_b32 a1, v87
	v_pack_b32_f16 v17, v36, v37
	ds_read_u16 v36, v138 offset:256
	ds_read_u16 v43, v38 offset:784
	ds_read_u16 v37, v197 offset:1056
	ds_read_u16 v44, v41 offset:256
	v_accvgpr_write_b32 a2, v88
	v_accvgpr_write_b32 a3, v89
	s_waitcnt lgkmcnt(2)
	v_perm_b32 v36, v43, v36, s64
	v_cvt_f32_f16_e32 v86, v22
	s_waitcnt lgkmcnt(0)
	v_perm_b32 v37, v44, v37, s64
	v_cvt_f32_f16_sdwa v87, v22 dst_sel:DWORD dst_unused:UNUSED_PAD src0_sel:WORD_1
	v_cvt_f32_f16_e32 v88, v21
	v_mfma_f32_16x16x16f16 a[0:3], v[36:37], v[34:35], a[0:3]
	v_cvt_f32_f16_sdwa v89, v21 dst_sel:DWORD dst_unused:UNUSED_PAD src0_sel:WORD_1
	s_nop 7
	s_nop 1
	v_accvgpr_read_b32 v19, a0
	v_accvgpr_read_b32 v20, a1
	v_accvgpr_read_b32 v36, a2
	v_accvgpr_read_b32 v37, a3
	v_cvt_f16_f32_e32 v19, v19
	v_cvt_f16_f32_e32 v20, v20
	v_cvt_f16_f32_e32 v36, v36
	v_cvt_f16_f32_e32 v37, v37
	v_accvgpr_write_b32 a0, v86
	v_pack_b32_f16 v20, v19, v20
	v_accvgpr_write_b32 a1, v87
	v_pack_b32_f16 v19, v36, v37
	ds_read_u16 v36, v138 offset:288
	ds_read_u16 v43, v38 offset:816
	ds_read_u16 v37, v195 offset:1056
	ds_read_u16 v44, v41 offset:288
	v_accvgpr_write_b32 a2, v88
	v_accvgpr_write_b32 a3, v89
	s_waitcnt lgkmcnt(2)
	v_perm_b32 v36, v43, v36, s64
	v_cvt_f32_f16_e32 v86, v24
	s_waitcnt lgkmcnt(0)
	v_perm_b32 v37, v44, v37, s64
	v_cvt_f32_f16_sdwa v87, v24 dst_sel:DWORD dst_unused:UNUSED_PAD src0_sel:WORD_1
	v_cvt_f32_f16_e32 v88, v23
	v_mfma_f32_16x16x16f16 a[0:3], v[36:37], v[34:35], a[0:3]
	v_cvt_f32_f16_sdwa v89, v23 dst_sel:DWORD dst_unused:UNUSED_PAD src0_sel:WORD_1
	s_nop 7
	s_nop 1
	v_accvgpr_read_b32 v21, a0
	v_accvgpr_read_b32 v22, a1
	v_accvgpr_read_b32 v36, a2
	v_accvgpr_read_b32 v37, a3
	v_cvt_f16_f32_e32 v21, v21
	v_cvt_f16_f32_e32 v22, v22
	v_cvt_f16_f32_e32 v36, v36
	v_cvt_f16_f32_e32 v37, v37
	v_accvgpr_write_b32 a0, v86
	v_pack_b32_f16 v22, v21, v22
	v_accvgpr_write_b32 a1, v87
	v_pack_b32_f16 v21, v36, v37
	ds_read_u16 v36, v138 offset:320
	ds_read_u16 v43, v38 offset:848
	ds_read_u16 v37, v190 offset:1056
	ds_read_u16 v44, v41 offset:320
	v_accvgpr_write_b32 a2, v88
	v_accvgpr_write_b32 a3, v89
	s_waitcnt lgkmcnt(2)
	v_perm_b32 v36, v43, v36, s64
	v_cvt_f32_f16_e32 v86, v26
	s_waitcnt lgkmcnt(0)
	v_perm_b32 v37, v44, v37, s64
	v_cvt_f32_f16_sdwa v87, v26 dst_sel:DWORD dst_unused:UNUSED_PAD src0_sel:WORD_1
	v_cvt_f32_f16_e32 v88, v25
	v_mfma_f32_16x16x16f16 a[0:3], v[36:37], v[34:35], a[0:3]
	v_cvt_f32_f16_sdwa v89, v25 dst_sel:DWORD dst_unused:UNUSED_PAD src0_sel:WORD_1
	s_nop 7
	s_nop 1
	v_accvgpr_read_b32 v23, a0
	v_accvgpr_read_b32 v24, a1
	v_accvgpr_read_b32 v36, a2
	v_accvgpr_read_b32 v37, a3
	v_cvt_f16_f32_e32 v23, v23
	v_cvt_f16_f32_e32 v24, v24
	v_cvt_f16_f32_e32 v36, v36
	v_cvt_f16_f32_e32 v37, v37
	v_accvgpr_write_b32 a0, v86
	v_pack_b32_f16 v24, v23, v24
	v_accvgpr_write_b32 a1, v87
	v_pack_b32_f16 v23, v36, v37
	ds_read_u16 v36, v138 offset:352
	ds_read_u16 v43, v38 offset:880
	ds_read_u16 v37, v194 offset:1056
	ds_read_u16 v44, v41 offset:352
	v_accvgpr_write_b32 a2, v88
	v_accvgpr_write_b32 a3, v89
	s_waitcnt lgkmcnt(2)
	v_perm_b32 v36, v43, v36, s64
	v_cvt_f32_f16_e32 v86, v28
	s_waitcnt lgkmcnt(0)
	v_perm_b32 v37, v44, v37, s64
	v_cvt_f32_f16_sdwa v87, v28 dst_sel:DWORD dst_unused:UNUSED_PAD src0_sel:WORD_1
	v_cvt_f32_f16_e32 v88, v27
	v_mfma_f32_16x16x16f16 a[0:3], v[36:37], v[34:35], a[0:3]
	v_cvt_f32_f16_sdwa v89, v27 dst_sel:DWORD dst_unused:UNUSED_PAD src0_sel:WORD_1
	s_nop 7
	s_nop 1
	v_accvgpr_read_b32 v25, a0
	v_accvgpr_read_b32 v26, a1
	v_accvgpr_read_b32 v36, a2
	v_accvgpr_read_b32 v37, a3
	v_cvt_f16_f32_e32 v25, v25
	v_cvt_f16_f32_e32 v26, v26
	v_cvt_f16_f32_e32 v36, v36
	v_cvt_f16_f32_e32 v37, v37
	v_accvgpr_write_b32 a0, v86
	v_pack_b32_f16 v26, v25, v26
	v_accvgpr_write_b32 a1, v87
	v_pack_b32_f16 v25, v36, v37
	ds_read_u16 v36, v138 offset:384
	ds_read_u16 v43, v38 offset:912
	ds_read_u16 v37, v192 offset:1056
	ds_read_u16 v44, v41 offset:384
	v_accvgpr_write_b32 a2, v88
	v_accvgpr_write_b32 a3, v89
	s_waitcnt lgkmcnt(2)
	v_perm_b32 v36, v43, v36, s64
	v_cvt_f32_f16_e32 v86, v30
	s_waitcnt lgkmcnt(0)
	v_perm_b32 v37, v44, v37, s64
	v_cvt_f32_f16_sdwa v87, v30 dst_sel:DWORD dst_unused:UNUSED_PAD src0_sel:WORD_1
	v_cvt_f32_f16_e32 v88, v29
	v_mfma_f32_16x16x16f16 a[0:3], v[36:37], v[34:35], a[0:3]
	v_cvt_f32_f16_sdwa v89, v29 dst_sel:DWORD dst_unused:UNUSED_PAD src0_sel:WORD_1
	s_nop 7
	s_nop 1
	v_accvgpr_read_b32 v27, a0
	v_accvgpr_read_b32 v28, a1
	v_accvgpr_read_b32 v36, a2
	v_accvgpr_read_b32 v37, a3
	v_cvt_f16_f32_e32 v27, v27
	v_cvt_f16_f32_e32 v28, v28
	v_cvt_f16_f32_e32 v36, v36
	v_cvt_f16_f32_e32 v37, v37
	v_accvgpr_write_b32 a0, v86
	v_pack_b32_f16 v28, v27, v28
	v_accvgpr_write_b32 a1, v87
	v_pack_b32_f16 v27, v36, v37
	ds_read_u16 v36, v138 offset:416
	ds_read_u16 v43, v38 offset:944
	ds_read_u16 v37, v187 offset:1056
	ds_read_u16 v44, v41 offset:416
	v_accvgpr_write_b32 a2, v88
	v_accvgpr_write_b32 a3, v89
	s_waitcnt lgkmcnt(2)
	v_perm_b32 v36, v43, v36, s64
	v_cvt_f32_f16_e32 v86, v32
	s_waitcnt lgkmcnt(0)
	v_perm_b32 v37, v44, v37, s64
	v_cvt_f32_f16_sdwa v87, v32 dst_sel:DWORD dst_unused:UNUSED_PAD src0_sel:WORD_1
	v_cvt_f32_f16_e32 v88, v31
	v_mfma_f32_16x16x16f16 a[0:3], v[36:37], v[34:35], a[0:3]
	v_cvt_f32_f16_sdwa v89, v31 dst_sel:DWORD dst_unused:UNUSED_PAD src0_sel:WORD_1
	s_nop 7
	s_nop 1
	v_accvgpr_read_b32 v29, a0
	v_accvgpr_read_b32 v30, a1
	v_accvgpr_read_b32 v36, a2
	v_accvgpr_read_b32 v37, a3
	v_cvt_f16_f32_e32 v29, v29
	v_cvt_f16_f32_e32 v30, v30
	v_cvt_f16_f32_e32 v36, v36
	v_cvt_f16_f32_e32 v37, v37
	v_accvgpr_write_b32 a0, v86
	v_pack_b32_f16 v30, v29, v30
	v_accvgpr_write_b32 a1, v87
	v_pack_b32_f16 v29, v36, v37
	ds_read_u16 v36, v138 offset:448
	ds_read_u16 v43, v38 offset:976
	ds_read_u16 v37, v191 offset:1056
	ds_read_u16 v44, v41 offset:448
	v_accvgpr_write_b32 a2, v88
	v_accvgpr_write_b32 a3, v89
	s_waitcnt lgkmcnt(2)
	v_perm_b32 v36, v43, v36, s64
	v_cvt_f32_f16_e32 v86, v33
	s_waitcnt lgkmcnt(0)
	v_perm_b32 v37, v44, v37, s64
	v_cvt_f32_f16_sdwa v87, v33 dst_sel:DWORD dst_unused:UNUSED_PAD src0_sel:WORD_1
	v_cvt_f32_f16_e32 v88, v0
	v_mfma_f32_16x16x16f16 a[0:3], v[36:37], v[34:35], a[0:3]
	v_cvt_f32_f16_sdwa v89, v0 dst_sel:DWORD dst_unused:UNUSED_PAD src0_sel:WORD_1
	s_nop 7
	s_nop 1
	v_accvgpr_read_b32 v31, a0
	v_accvgpr_read_b32 v32, a1
	;; [unrolled: 1-line block ×4, first 2 shown]
	v_cvt_f16_f32_e32 v31, v31
	v_cvt_f16_f32_e32 v32, v32
	;; [unrolled: 1-line block ×4, first 2 shown]
	v_accvgpr_write_b32 a0, v86
	v_pack_b32_f16 v32, v31, v32
	v_accvgpr_write_b32 a1, v87
	v_pack_b32_f16 v31, v36, v37
	ds_read_u16 v36, v138 offset:480
	ds_read_u16 v38, v38 offset:1008
	ds_read_u16 v37, v189 offset:1056
	ds_read_u16 v41, v41 offset:480
	v_accvgpr_write_b32 a2, v88
	v_accvgpr_write_b32 a3, v89
	s_waitcnt lgkmcnt(2)
	v_perm_b32 v36, v38, v36, s64
	s_waitcnt lgkmcnt(0)
	v_perm_b32 v37, v41, v37, s64
	s_barrier
	s_nop 0
	v_mfma_f32_16x16x16f16 a[0:3], v[36:37], v[34:35], a[0:3]
	s_nop 7
	s_nop 2
	v_accvgpr_read_b32 v0, a0
	v_accvgpr_read_b32 v33, a1
	v_cvt_f16_f32_e32 v0, v0
	v_cvt_f16_f32_e32 v33, v33
	v_accvgpr_read_b32 v34, a2
	v_cvt_f16_f32_e32 v35, v34
	v_accvgpr_read_b32 v34, a3
	v_cvt_f16_f32_e32 v36, v34
	v_pack_b32_f16 v34, v0, v33
	ds_bpermute_b32 v0, v39, v7
	v_pack_b32_f16 v33, v35, v36
	s_waitcnt lgkmcnt(0)
	v_add_f32_e32 v0, v7, v0
	ds_bpermute_b32 v7, v40, v0
	s_waitcnt lgkmcnt(0)
	v_add_f32_e32 v7, v0, v7
	s_and_saveexec_b64 s[40:41], s[38:39]
	s_xor_b64 s[38:39], exec, s[40:41]
	s_or_saveexec_b64 s[38:39], s[38:39]
	v_readlane_b32 s40, v254, 10
	s_mov_b32 s52, s40
	s_mov_b32 s86, s72
	v_readlane_b32 s48, v255, 21
	s_mov_b32 s53, s83
	v_readlane_b32 s41, v254, 11
	v_readlane_b32 s42, v254, 12
	;; [unrolled: 1-line block ×4, first 2 shown]
	s_xor_b64 exec, exec, s[38:39]
	s_cbranch_execz .LBB30_94
; %bb.93:                               ;   in Loop: Header=BB30_14 Depth=1
	global_load_dword v0, v243, s[30:31]
	v_max_f32_e32 v36, v6, v6
	s_waitcnt vmcnt(0)
	v_max_f32_e32 v35, v0, v0
	v_max_f32_e32 v36, v36, v35
	v_sub_f32_e32 v6, v6, v36
	v_mul_f32_e32 v35, 0x3fb8aa3b, v6
	v_fma_f32 v37, v6, s65, -v35
	v_rndne_f32_e32 v38, v35
	v_fmac_f32_e32 v37, 0x32a5705f, v6
	v_sub_f32_e32 v35, v35, v38
	v_add_f32_e32 v35, v35, v37
	v_exp_f32_e32 v35, v35
	v_cvt_i32_f32_e32 v37, v38
	v_cmp_ngt_f32_e32 vcc, s36, v6
	v_sub_f32_e32 v0, v0, v36
	v_ldexp_f32 v35, v35, v37
	v_cndmask_b32_e32 v35, 0, v35, vcc
	v_cmp_nlt_f32_e32 vcc, s97, v6
	v_cndmask_b32_e32 v35, v180, v35, vcc
	v_cmp_le_f32_e32 vcc, s94, v6
	v_cndmask_b32_e32 v6, 0, v35, vcc
	v_cvt_f16_f32_e32 v35, v6
	v_cmp_ngt_f32_e32 vcc, s36, v0
	v_pk_mul_f16 v2, v35, v2 op_sel_hi:[0,1]
	v_pk_mul_f16 v1, v35, v1 op_sel_hi:[0,1]
	;; [unrolled: 1-line block ×32, first 2 shown]
	v_mul_f32_e32 v35, 0x3fb8aa3b, v0
	v_fma_f32 v37, v0, s65, -v35
	v_rndne_f32_e32 v38, v35
	v_fmac_f32_e32 v37, 0x32a5705f, v0
	v_sub_f32_e32 v35, v35, v38
	v_add_f32_e32 v35, v35, v37
	v_exp_f32_e32 v35, v35
	v_cvt_i32_f32_e32 v37, v38
	v_ldexp_f32 v35, v35, v37
	v_cndmask_b32_e32 v35, 0, v35, vcc
	v_cmp_nlt_f32_e32 vcc, s97, v0
	v_cndmask_b32_e32 v37, v180, v35, vcc
	v_fmac_f32_e32 v37, v7, v6
	v_pk_mov_b32 v[6:7], v[36:37], v[36:37] op_sel:[0,1]
.LBB30_94:                              ;   in Loop: Header=BB30_14 Depth=1
	s_or_b64 exec, exec, s[38:39]
	s_mov_b64 s[38:39], exec
	v_readlane_b32 s40, v255, 15
	v_readlane_b32 s41, v255, 16
	s_and_b64 s[40:41], s[38:39], s[40:41]
	s_mov_b64 exec, s[40:41]
	s_cbranch_execz .LBB30_96
; %bb.95:                               ;   in Loop: Header=BB30_14 Depth=1
	v_add_u32_e32 v0, 0, v159
	ds_write2_b32 v0, v6, v7 offset0:128 offset1:129
.LBB30_96:                              ;   in Loop: Header=BB30_14 Depth=1
	s_or_b64 exec, exec, s[38:39]
	s_waitcnt lgkmcnt(0)
	s_barrier
	s_mov_b64 s[38:39], exec
	v_readlane_b32 s40, v255, 13
	v_readlane_b32 s41, v255, 14
	s_and_b64 s[40:41], s[38:39], s[40:41]
	s_xor_b64 s[38:39], s[40:41], s[38:39]
	s_mov_b64 exec, s[40:41]
	s_cbranch_execz .LBB30_98
; %bb.97:                               ;   in Loop: Header=BB30_14 Depth=1
	s_barrier
	s_waitcnt lgkmcnt(0)
                                        ; implicit-def: $vgpr39
                                        ; implicit-def: $vgpr40
.LBB30_98:                              ;   in Loop: Header=BB30_14 Depth=1
	s_andn2_saveexec_b64 s[38:39], s[38:39]
	s_cbranch_execz .LBB30_102
; %bb.99:                               ;   in Loop: Header=BB30_14 Depth=1
	v_add_u32_e32 v0, 0, v159
	ds_read_b64 v[36:37], v0 offset:512
	s_waitcnt lgkmcnt(0)
	s_barrier
	ds_bpermute_b32 v6, v39, v36
	v_max_f32_e32 v7, v36, v36
	s_waitcnt lgkmcnt(0)
	v_max_f32_e32 v6, v6, v6
	v_max_f32_e32 v6, v7, v6
	ds_bpermute_b32 v7, v40, v6
	s_waitcnt lgkmcnt(0)
	v_max_f32_e32 v7, v7, v7
	v_max_f32_e32 v6, v6, v7
	v_sub_f32_e32 v7, v36, v6
	v_mul_f32_e32 v35, 0x3fb8aa3b, v7
	v_fma_f32 v36, v7, s65, -v35
	v_rndne_f32_e32 v38, v35
	v_fmac_f32_e32 v36, 0x32a5705f, v7
	v_sub_f32_e32 v35, v35, v38
	v_add_f32_e32 v35, v35, v36
	v_cvt_i32_f32_e32 v38, v38
	v_exp_f32_e32 v35, v35
	v_cmp_ngt_f32_e32 vcc, s36, v7
	v_ldexp_f32 v35, v35, v38
	v_cndmask_b32_e32 v35, 0, v35, vcc
	v_cmp_nlt_f32_e32 vcc, s97, v7
	v_cndmask_b32_e32 v36, v180, v35, vcc
	v_mul_f32_e32 v7, v37, v36
	ds_bpermute_b32 v7, v39, v7
	s_waitcnt lgkmcnt(0)
	v_fmac_f32_e32 v7, v37, v36
	ds_bpermute_b32 v35, v40, v7
	s_waitcnt lgkmcnt(0)
	v_add_f32_e32 v37, v7, v35
	ds_write_b64 v0, v[36:37] offset:512
	s_mov_b64 s[40:41], exec
	v_readlane_b32 s42, v255, 15
	v_readlane_b32 s43, v255, 16
	s_and_b64 s[42:43], s[40:41], s[42:43]
	s_mov_b64 exec, s[42:43]
	s_cbranch_execz .LBB30_101
; %bb.100:                              ;   in Loop: Header=BB30_14 Depth=1
	v_mov_b32_e32 v7, v37
	v_accvgpr_read_b32 v37, a11
	v_accvgpr_read_b32 v36, a10
	global_store_dwordx2 v[36:37], v[6:7], off
.LBB30_101:                             ;   in Loop: Header=BB30_14 Depth=1
	s_or_b64 exec, exec, s[40:41]
.LBB30_102:                             ;   in Loop: Header=BB30_14 Depth=1
	s_or_b64 exec, exec, s[38:39]
	ds_write2_b32 v160, v2, v1 offset1:1
	ds_write2_b32 v160, v4, v3 offset0:8 offset1:9
	ds_write2_b32 v160, v8, v5 offset0:16 offset1:17
	;; [unrolled: 1-line block ×15, first 2 shown]
	s_waitcnt lgkmcnt(0)
	s_barrier
	s_and_saveexec_b64 s[38:39], s[44:45]
	s_cbranch_execz .LBB30_180
; %bb.103:                              ;   in Loop: Header=BB30_14 Depth=1
	v_add_u32_e32 v1, s74, v139
	v_cmp_gt_i32_e32 vcc, s52, v1
	v_mov_b32_e32 v0, 0x47
	s_and_saveexec_b64 s[40:41], vcc
	s_cbranch_execz .LBB30_105
; %bb.104:                              ;   in Loop: Header=BB30_14 Depth=1
	v_readlane_b32 s42, v254, 63
	v_mul_lo_u32 v14, s42, v1
	v_accvgpr_read_b32 v0, a26
	v_add_u32_e32 v2, 0, v0
	v_add_u32_e32 v8, v42, v14
	ds_read2st64_b32 v[0:1], v2 offset0:2 offset1:35
	ds_read2st64_b32 v[2:3], v2 offset0:68 offset1:101
	ds_read2st64_b32 v[4:5], v162 offset1:1
	ds_read2st64_b32 v[6:7], v162 offset0:33 offset1:66
	ds_read_b32 v15, v162 offset:25344
	v_ashrrev_i32_e32 v9, 31, v8
	v_lshlrev_b64 v[8:9], 3, v[8:9]
	v_readlane_b32 s42, v255, 23
	v_readlane_b32 s43, v255, 24
	v_add_co_u32_e32 v8, vcc, s42, v8
	v_mov_b32_e32 v10, s43
	v_addc_co_u32_e32 v9, vcc, v10, v9, vcc
	s_waitcnt lgkmcnt(2)
	v_cvt_f32_f16_sdwa v11, v4 dst_sel:DWORD dst_unused:UNUSED_PAD src0_sel:WORD_1
	v_cvt_f32_f16_e32 v10, v4
	s_waitcnt lgkmcnt(1)
	v_cvt_f32_f16_sdwa v13, v6 dst_sel:DWORD dst_unused:UNUSED_PAD src0_sel:WORD_1
	v_cvt_f32_f16_e32 v12, v6
	v_mov_b32_e32 v4, v1
	v_pk_fma_f32 v[10:11], v[0:1], v[10:11], 0 op_sel_hi:[0,1,0]
	v_ashrrev_i32_e32 v1, 31, v14
	v_pk_fma_f32 v[10:11], v[4:5], v[12:13], v[10:11] op_sel_hi:[0,1,1]
	v_cvt_f32_f16_sdwa v13, v7 dst_sel:DWORD dst_unused:UNUSED_PAD src0_sel:WORD_1
	v_cvt_f32_f16_e32 v12, v7
	v_pk_fma_f32 v[6:7], v[2:3], v[12:13], v[10:11] op_sel_hi:[0,1,1]
	s_waitcnt lgkmcnt(0)
	v_cvt_f32_f16_sdwa v11, v15 dst_sel:DWORD dst_unused:UNUSED_PAD src0_sel:WORD_1
	v_cvt_f32_f16_e32 v10, v15
	v_mov_b32_e32 v12, v3
	v_pk_fma_f32 v[6:7], v[12:13], v[10:11], v[6:7] op_sel_hi:[0,1,1]
	global_store_dwordx2 v[8:9], v[6:7], off
	ds_read2st64_b32 v[6:7], v164 offset0:33 offset1:66
	ds_read_b32 v13, v164 offset:25344
	v_add_co_u32_e32 v8, vcc, v42, v14
	v_cvt_f32_f16_sdwa v11, v5 dst_sel:DWORD dst_unused:UNUSED_PAD src0_sel:WORD_1
	v_cvt_f32_f16_e32 v10, v5
	v_addc_co_u32_e32 v9, vcc, 0, v1, vcc
	v_lshlrev_b64 v[8:9], 3, v[8:9]
	v_add_co_u32_e32 v8, vcc, s42, v8
	v_mov_b32_e32 v1, s43
	v_addc_co_u32_e32 v9, vcc, v1, v9, vcc
	v_pk_fma_f32 v[0:1], v[0:1], v[10:11], 0 op_sel_hi:[0,1,0]
	s_waitcnt lgkmcnt(1)
	v_cvt_f32_f16_sdwa v11, v6 dst_sel:DWORD dst_unused:UNUSED_PAD src0_sel:WORD_1
	v_cvt_f32_f16_e32 v10, v6
	v_pk_fma_f32 v[0:1], v[4:5], v[10:11], v[0:1] op_sel_hi:[0,1,1]
	v_cvt_f32_f16_sdwa v5, v7 dst_sel:DWORD dst_unused:UNUSED_PAD src0_sel:WORD_1
	v_cvt_f32_f16_e32 v4, v7
	v_pk_fma_f32 v[0:1], v[2:3], v[4:5], v[0:1] op_sel_hi:[0,1,1]
	s_waitcnt lgkmcnt(0)
	v_cvt_f32_f16_sdwa v3, v13 dst_sel:DWORD dst_unused:UNUSED_PAD src0_sel:WORD_1
	v_cvt_f32_f16_e32 v2, v13
	v_pk_fma_f32 v[0:1], v[12:13], v[2:3], v[0:1] op_sel_hi:[0,1,1]
	global_store_dwordx2 v[8:9], v[0:1], off offset:512
	v_mov_b32_e32 v0, 0
.LBB30_105:                             ;   in Loop: Header=BB30_14 Depth=1
	s_or_b64 exec, exec, s[40:41]
	s_movk_i32 s40, 0x47
	v_cmp_gt_i32_e32 vcc, s40, v0
	s_mov_b64 s[40:41], -1
	s_and_saveexec_b64 s[42:43], vcc
; %bb.106:                              ;   in Loop: Header=BB30_14 Depth=1
	v_cmp_eq_u32_e32 vcc, 0, v0
	s_orn2_b64 s[40:41], vcc, exec
; %bb.107:                              ;   in Loop: Header=BB30_14 Depth=1
	s_or_b64 exec, exec, s[42:43]
	s_and_b64 exec, exec, s[40:41]
	s_cbranch_execz .LBB30_180
; %bb.108:                              ;   in Loop: Header=BB30_14 Depth=1
	v_accvgpr_read_b32 v0, a9
	v_add_u32_e32 v1, s74, v0
	v_cmp_gt_i32_e32 vcc, s52, v1
	v_mov_b32_e32 v0, 0x47
	s_and_saveexec_b64 s[40:41], vcc
	s_cbranch_execz .LBB30_110
; %bb.109:                              ;   in Loop: Header=BB30_14 Depth=1
	v_readlane_b32 s42, v254, 63
	v_accvgpr_read_b32 v0, a28
	v_mul_lo_u32 v14, s42, v1
	v_add_u32_e32 v2, 0, v0
	v_accvgpr_read_b32 v8, a27
	ds_read2st64_b32 v[0:1], v2 offset0:2 offset1:35
	ds_read2st64_b32 v[2:3], v2 offset0:68 offset1:101
	ds_read2st64_b32 v[4:5], v8 offset1:1
	ds_read2st64_b32 v[6:7], v8 offset0:33 offset1:66
	ds_read_b32 v15, v8 offset:25344
	v_add_u32_e32 v8, v42, v14
	v_ashrrev_i32_e32 v9, 31, v8
	v_lshlrev_b64 v[8:9], 3, v[8:9]
	v_readlane_b32 s42, v255, 23
	v_readlane_b32 s43, v255, 24
	v_add_co_u32_e32 v8, vcc, s42, v8
	v_mov_b32_e32 v10, s43
	v_addc_co_u32_e32 v9, vcc, v10, v9, vcc
	s_waitcnt lgkmcnt(2)
	v_cvt_f32_f16_sdwa v11, v4 dst_sel:DWORD dst_unused:UNUSED_PAD src0_sel:WORD_1
	v_cvt_f32_f16_e32 v10, v4
	s_waitcnt lgkmcnt(1)
	v_cvt_f32_f16_sdwa v13, v6 dst_sel:DWORD dst_unused:UNUSED_PAD src0_sel:WORD_1
	v_cvt_f32_f16_e32 v12, v6
	v_mov_b32_e32 v4, v1
	v_pk_fma_f32 v[10:11], v[0:1], v[10:11], 0 op_sel_hi:[0,1,0]
	v_accvgpr_read_b32 v1, a29
	v_pk_fma_f32 v[10:11], v[4:5], v[12:13], v[10:11] op_sel_hi:[0,1,1]
	v_cvt_f32_f16_sdwa v13, v7 dst_sel:DWORD dst_unused:UNUSED_PAD src0_sel:WORD_1
	v_cvt_f32_f16_e32 v12, v7
	v_pk_fma_f32 v[6:7], v[2:3], v[12:13], v[10:11] op_sel_hi:[0,1,1]
	s_waitcnt lgkmcnt(0)
	v_cvt_f32_f16_sdwa v11, v15 dst_sel:DWORD dst_unused:UNUSED_PAD src0_sel:WORD_1
	v_cvt_f32_f16_e32 v10, v15
	v_mov_b32_e32 v12, v3
	v_pk_fma_f32 v[6:7], v[12:13], v[10:11], v[6:7] op_sel_hi:[0,1,1]
	global_store_dwordx2 v[8:9], v[6:7], off
	ds_read2st64_b32 v[6:7], v1 offset0:33 offset1:66
	ds_read_b32 v13, v1 offset:25344
	v_ashrrev_i32_e32 v1, 31, v14
	v_add_co_u32_e32 v8, vcc, v42, v14
	v_cvt_f32_f16_sdwa v11, v5 dst_sel:DWORD dst_unused:UNUSED_PAD src0_sel:WORD_1
	v_cvt_f32_f16_e32 v10, v5
	v_addc_co_u32_e32 v9, vcc, 0, v1, vcc
	v_lshlrev_b64 v[8:9], 3, v[8:9]
	v_add_co_u32_e32 v8, vcc, s42, v8
	v_mov_b32_e32 v1, s43
	v_addc_co_u32_e32 v9, vcc, v1, v9, vcc
	v_pk_fma_f32 v[0:1], v[0:1], v[10:11], 0 op_sel_hi:[0,1,0]
	s_waitcnt lgkmcnt(1)
	v_cvt_f32_f16_sdwa v11, v6 dst_sel:DWORD dst_unused:UNUSED_PAD src0_sel:WORD_1
	v_cvt_f32_f16_e32 v10, v6
	v_pk_fma_f32 v[0:1], v[4:5], v[10:11], v[0:1] op_sel_hi:[0,1,1]
	v_cvt_f32_f16_sdwa v5, v7 dst_sel:DWORD dst_unused:UNUSED_PAD src0_sel:WORD_1
	v_cvt_f32_f16_e32 v4, v7
	v_pk_fma_f32 v[0:1], v[2:3], v[4:5], v[0:1] op_sel_hi:[0,1,1]
	s_waitcnt lgkmcnt(0)
	v_cvt_f32_f16_sdwa v3, v13 dst_sel:DWORD dst_unused:UNUSED_PAD src0_sel:WORD_1
	v_cvt_f32_f16_e32 v2, v13
	v_pk_fma_f32 v[0:1], v[12:13], v[2:3], v[0:1] op_sel_hi:[0,1,1]
	global_store_dwordx2 v[8:9], v[0:1], off offset:512
	v_mov_b32_e32 v0, 0
.LBB30_110:                             ;   in Loop: Header=BB30_14 Depth=1
	s_or_b64 exec, exec, s[40:41]
	s_movk_i32 s40, 0x47
	v_cmp_gt_i32_e32 vcc, s40, v0
	s_mov_b64 s[40:41], -1
	s_and_saveexec_b64 s[42:43], vcc
; %bb.111:                              ;   in Loop: Header=BB30_14 Depth=1
	v_cmp_eq_u32_e32 vcc, 0, v0
	s_orn2_b64 s[40:41], vcc, exec
; %bb.112:                              ;   in Loop: Header=BB30_14 Depth=1
	s_or_b64 exec, exec, s[42:43]
	s_and_b64 exec, exec, s[40:41]
	s_cbranch_execz .LBB30_180
; %bb.113:                              ;   in Loop: Header=BB30_14 Depth=1
	v_accvgpr_read_b32 v0, a12
	v_add_u32_e32 v1, s74, v0
	v_cmp_gt_i32_e32 vcc, s52, v1
	v_mov_b32_e32 v0, 0x47
	s_and_saveexec_b64 s[40:41], vcc
	s_cbranch_execz .LBB30_115
; %bb.114:                              ;   in Loop: Header=BB30_14 Depth=1
	v_readlane_b32 s42, v254, 63
	v_accvgpr_read_b32 v0, a31
	v_mul_lo_u32 v14, s42, v1
	v_add_u32_e32 v2, 0, v0
	v_accvgpr_read_b32 v8, a30
	ds_read2st64_b32 v[0:1], v2 offset0:2 offset1:35
	ds_read2st64_b32 v[2:3], v2 offset0:68 offset1:101
	ds_read2st64_b32 v[4:5], v8 offset1:1
	ds_read2st64_b32 v[6:7], v8 offset0:33 offset1:66
	ds_read_b32 v15, v8 offset:25344
	v_add_u32_e32 v8, v42, v14
	v_ashrrev_i32_e32 v9, 31, v8
	v_lshlrev_b64 v[8:9], 3, v[8:9]
	v_readlane_b32 s42, v255, 23
	v_readlane_b32 s43, v255, 24
	v_add_co_u32_e32 v8, vcc, s42, v8
	v_mov_b32_e32 v10, s43
	v_addc_co_u32_e32 v9, vcc, v10, v9, vcc
	s_waitcnt lgkmcnt(2)
	v_cvt_f32_f16_sdwa v11, v4 dst_sel:DWORD dst_unused:UNUSED_PAD src0_sel:WORD_1
	v_cvt_f32_f16_e32 v10, v4
	s_waitcnt lgkmcnt(1)
	v_cvt_f32_f16_sdwa v13, v6 dst_sel:DWORD dst_unused:UNUSED_PAD src0_sel:WORD_1
	v_cvt_f32_f16_e32 v12, v6
	v_mov_b32_e32 v4, v1
	v_pk_fma_f32 v[10:11], v[0:1], v[10:11], 0 op_sel_hi:[0,1,0]
	v_accvgpr_read_b32 v1, a32
	v_pk_fma_f32 v[10:11], v[4:5], v[12:13], v[10:11] op_sel_hi:[0,1,1]
	v_cvt_f32_f16_sdwa v13, v7 dst_sel:DWORD dst_unused:UNUSED_PAD src0_sel:WORD_1
	v_cvt_f32_f16_e32 v12, v7
	v_pk_fma_f32 v[6:7], v[2:3], v[12:13], v[10:11] op_sel_hi:[0,1,1]
	s_waitcnt lgkmcnt(0)
	v_cvt_f32_f16_sdwa v11, v15 dst_sel:DWORD dst_unused:UNUSED_PAD src0_sel:WORD_1
	v_cvt_f32_f16_e32 v10, v15
	v_mov_b32_e32 v12, v3
	v_pk_fma_f32 v[6:7], v[12:13], v[10:11], v[6:7] op_sel_hi:[0,1,1]
	global_store_dwordx2 v[8:9], v[6:7], off
	ds_read2st64_b32 v[6:7], v1 offset0:33 offset1:66
	ds_read_b32 v13, v1 offset:25344
	v_ashrrev_i32_e32 v1, 31, v14
	v_add_co_u32_e32 v8, vcc, v42, v14
	v_cvt_f32_f16_sdwa v11, v5 dst_sel:DWORD dst_unused:UNUSED_PAD src0_sel:WORD_1
	v_cvt_f32_f16_e32 v10, v5
	v_addc_co_u32_e32 v9, vcc, 0, v1, vcc
	v_lshlrev_b64 v[8:9], 3, v[8:9]
	v_add_co_u32_e32 v8, vcc, s42, v8
	v_mov_b32_e32 v1, s43
	v_addc_co_u32_e32 v9, vcc, v1, v9, vcc
	v_pk_fma_f32 v[0:1], v[0:1], v[10:11], 0 op_sel_hi:[0,1,0]
	s_waitcnt lgkmcnt(1)
	v_cvt_f32_f16_sdwa v11, v6 dst_sel:DWORD dst_unused:UNUSED_PAD src0_sel:WORD_1
	v_cvt_f32_f16_e32 v10, v6
	v_pk_fma_f32 v[0:1], v[4:5], v[10:11], v[0:1] op_sel_hi:[0,1,1]
	v_cvt_f32_f16_sdwa v5, v7 dst_sel:DWORD dst_unused:UNUSED_PAD src0_sel:WORD_1
	v_cvt_f32_f16_e32 v4, v7
	v_pk_fma_f32 v[0:1], v[2:3], v[4:5], v[0:1] op_sel_hi:[0,1,1]
	s_waitcnt lgkmcnt(0)
	v_cvt_f32_f16_sdwa v3, v13 dst_sel:DWORD dst_unused:UNUSED_PAD src0_sel:WORD_1
	v_cvt_f32_f16_e32 v2, v13
	v_pk_fma_f32 v[0:1], v[12:13], v[2:3], v[0:1] op_sel_hi:[0,1,1]
	global_store_dwordx2 v[8:9], v[0:1], off offset:512
	v_mov_b32_e32 v0, 0
.LBB30_115:                             ;   in Loop: Header=BB30_14 Depth=1
	s_or_b64 exec, exec, s[40:41]
	s_movk_i32 s40, 0x47
	v_cmp_gt_i32_e32 vcc, s40, v0
	s_mov_b64 s[40:41], -1
	s_and_saveexec_b64 s[42:43], vcc
; %bb.116:                              ;   in Loop: Header=BB30_14 Depth=1
	v_cmp_eq_u32_e32 vcc, 0, v0
	s_orn2_b64 s[40:41], vcc, exec
; %bb.117:                              ;   in Loop: Header=BB30_14 Depth=1
	s_or_b64 exec, exec, s[42:43]
	s_and_b64 exec, exec, s[40:41]
	s_cbranch_execz .LBB30_180
; %bb.118:                              ;   in Loop: Header=BB30_14 Depth=1
	v_accvgpr_read_b32 v0, a13
	v_add_u32_e32 v1, s74, v0
	v_cmp_gt_i32_e32 vcc, s52, v1
	v_mov_b32_e32 v0, 0x47
	s_and_saveexec_b64 s[40:41], vcc
	s_cbranch_execz .LBB30_120
; %bb.119:                              ;   in Loop: Header=BB30_14 Depth=1
	v_readlane_b32 s42, v254, 63
	v_accvgpr_read_b32 v0, a34
	v_mul_lo_u32 v14, s42, v1
	v_add_u32_e32 v2, 0, v0
	v_accvgpr_read_b32 v8, a33
	ds_read2st64_b32 v[0:1], v2 offset0:2 offset1:35
	ds_read2st64_b32 v[2:3], v2 offset0:68 offset1:101
	ds_read2st64_b32 v[4:5], v8 offset1:1
	ds_read2st64_b32 v[6:7], v8 offset0:33 offset1:66
	ds_read_b32 v15, v8 offset:25344
	v_add_u32_e32 v8, v42, v14
	v_ashrrev_i32_e32 v9, 31, v8
	v_lshlrev_b64 v[8:9], 3, v[8:9]
	v_readlane_b32 s42, v255, 23
	v_readlane_b32 s43, v255, 24
	v_add_co_u32_e32 v8, vcc, s42, v8
	v_mov_b32_e32 v10, s43
	v_addc_co_u32_e32 v9, vcc, v10, v9, vcc
	s_waitcnt lgkmcnt(2)
	v_cvt_f32_f16_sdwa v11, v4 dst_sel:DWORD dst_unused:UNUSED_PAD src0_sel:WORD_1
	v_cvt_f32_f16_e32 v10, v4
	s_waitcnt lgkmcnt(1)
	v_cvt_f32_f16_sdwa v13, v6 dst_sel:DWORD dst_unused:UNUSED_PAD src0_sel:WORD_1
	v_cvt_f32_f16_e32 v12, v6
	v_mov_b32_e32 v4, v1
	v_pk_fma_f32 v[10:11], v[0:1], v[10:11], 0 op_sel_hi:[0,1,0]
	v_accvgpr_read_b32 v1, a35
	v_pk_fma_f32 v[10:11], v[4:5], v[12:13], v[10:11] op_sel_hi:[0,1,1]
	v_cvt_f32_f16_sdwa v13, v7 dst_sel:DWORD dst_unused:UNUSED_PAD src0_sel:WORD_1
	v_cvt_f32_f16_e32 v12, v7
	v_pk_fma_f32 v[6:7], v[2:3], v[12:13], v[10:11] op_sel_hi:[0,1,1]
	s_waitcnt lgkmcnt(0)
	v_cvt_f32_f16_sdwa v11, v15 dst_sel:DWORD dst_unused:UNUSED_PAD src0_sel:WORD_1
	v_cvt_f32_f16_e32 v10, v15
	v_mov_b32_e32 v12, v3
	v_pk_fma_f32 v[6:7], v[12:13], v[10:11], v[6:7] op_sel_hi:[0,1,1]
	global_store_dwordx2 v[8:9], v[6:7], off
	ds_read2st64_b32 v[6:7], v1 offset0:33 offset1:66
	ds_read_b32 v13, v1 offset:25344
	v_ashrrev_i32_e32 v1, 31, v14
	v_add_co_u32_e32 v8, vcc, v42, v14
	v_cvt_f32_f16_sdwa v11, v5 dst_sel:DWORD dst_unused:UNUSED_PAD src0_sel:WORD_1
	v_cvt_f32_f16_e32 v10, v5
	v_addc_co_u32_e32 v9, vcc, 0, v1, vcc
	v_lshlrev_b64 v[8:9], 3, v[8:9]
	v_add_co_u32_e32 v8, vcc, s42, v8
	v_mov_b32_e32 v1, s43
	v_addc_co_u32_e32 v9, vcc, v1, v9, vcc
	v_pk_fma_f32 v[0:1], v[0:1], v[10:11], 0 op_sel_hi:[0,1,0]
	s_waitcnt lgkmcnt(1)
	v_cvt_f32_f16_sdwa v11, v6 dst_sel:DWORD dst_unused:UNUSED_PAD src0_sel:WORD_1
	v_cvt_f32_f16_e32 v10, v6
	v_pk_fma_f32 v[0:1], v[4:5], v[10:11], v[0:1] op_sel_hi:[0,1,1]
	v_cvt_f32_f16_sdwa v5, v7 dst_sel:DWORD dst_unused:UNUSED_PAD src0_sel:WORD_1
	v_cvt_f32_f16_e32 v4, v7
	v_pk_fma_f32 v[0:1], v[2:3], v[4:5], v[0:1] op_sel_hi:[0,1,1]
	s_waitcnt lgkmcnt(0)
	v_cvt_f32_f16_sdwa v3, v13 dst_sel:DWORD dst_unused:UNUSED_PAD src0_sel:WORD_1
	v_cvt_f32_f16_e32 v2, v13
	v_pk_fma_f32 v[0:1], v[12:13], v[2:3], v[0:1] op_sel_hi:[0,1,1]
	global_store_dwordx2 v[8:9], v[0:1], off offset:512
	v_mov_b32_e32 v0, 0
.LBB30_120:                             ;   in Loop: Header=BB30_14 Depth=1
	s_or_b64 exec, exec, s[40:41]
	s_movk_i32 s40, 0x47
	v_cmp_gt_i32_e32 vcc, s40, v0
	s_mov_b64 s[40:41], -1
	s_and_saveexec_b64 s[42:43], vcc
; %bb.121:                              ;   in Loop: Header=BB30_14 Depth=1
	v_cmp_eq_u32_e32 vcc, 0, v0
	s_orn2_b64 s[40:41], vcc, exec
; %bb.122:                              ;   in Loop: Header=BB30_14 Depth=1
	s_or_b64 exec, exec, s[42:43]
	s_and_b64 exec, exec, s[40:41]
	s_cbranch_execz .LBB30_180
; %bb.123:                              ;   in Loop: Header=BB30_14 Depth=1
	v_accvgpr_read_b32 v0, a14
	v_add_u32_e32 v1, s74, v0
	v_cmp_gt_i32_e32 vcc, s52, v1
	v_mov_b32_e32 v0, 0x47
	s_and_saveexec_b64 s[40:41], vcc
	s_cbranch_execz .LBB30_125
; %bb.124:                              ;   in Loop: Header=BB30_14 Depth=1
	v_readlane_b32 s42, v254, 63
	v_accvgpr_read_b32 v0, a37
	v_mul_lo_u32 v14, s42, v1
	v_add_u32_e32 v2, 0, v0
	v_accvgpr_read_b32 v8, a36
	ds_read2st64_b32 v[0:1], v2 offset0:2 offset1:35
	ds_read2st64_b32 v[2:3], v2 offset0:68 offset1:101
	ds_read2st64_b32 v[4:5], v8 offset1:1
	ds_read2st64_b32 v[6:7], v8 offset0:33 offset1:66
	ds_read_b32 v15, v8 offset:25344
	v_add_u32_e32 v8, v42, v14
	v_ashrrev_i32_e32 v9, 31, v8
	v_lshlrev_b64 v[8:9], 3, v[8:9]
	v_readlane_b32 s42, v255, 23
	v_readlane_b32 s43, v255, 24
	v_add_co_u32_e32 v8, vcc, s42, v8
	v_mov_b32_e32 v10, s43
	v_addc_co_u32_e32 v9, vcc, v10, v9, vcc
	s_waitcnt lgkmcnt(2)
	v_cvt_f32_f16_sdwa v11, v4 dst_sel:DWORD dst_unused:UNUSED_PAD src0_sel:WORD_1
	v_cvt_f32_f16_e32 v10, v4
	s_waitcnt lgkmcnt(1)
	v_cvt_f32_f16_sdwa v13, v6 dst_sel:DWORD dst_unused:UNUSED_PAD src0_sel:WORD_1
	v_cvt_f32_f16_e32 v12, v6
	v_mov_b32_e32 v4, v1
	v_pk_fma_f32 v[10:11], v[0:1], v[10:11], 0 op_sel_hi:[0,1,0]
	v_accvgpr_read_b32 v1, a38
	v_pk_fma_f32 v[10:11], v[4:5], v[12:13], v[10:11] op_sel_hi:[0,1,1]
	v_cvt_f32_f16_sdwa v13, v7 dst_sel:DWORD dst_unused:UNUSED_PAD src0_sel:WORD_1
	v_cvt_f32_f16_e32 v12, v7
	v_pk_fma_f32 v[6:7], v[2:3], v[12:13], v[10:11] op_sel_hi:[0,1,1]
	s_waitcnt lgkmcnt(0)
	v_cvt_f32_f16_sdwa v11, v15 dst_sel:DWORD dst_unused:UNUSED_PAD src0_sel:WORD_1
	v_cvt_f32_f16_e32 v10, v15
	v_mov_b32_e32 v12, v3
	v_pk_fma_f32 v[6:7], v[12:13], v[10:11], v[6:7] op_sel_hi:[0,1,1]
	global_store_dwordx2 v[8:9], v[6:7], off
	ds_read2st64_b32 v[6:7], v1 offset0:33 offset1:66
	ds_read_b32 v13, v1 offset:25344
	v_ashrrev_i32_e32 v1, 31, v14
	v_add_co_u32_e32 v8, vcc, v42, v14
	v_cvt_f32_f16_sdwa v11, v5 dst_sel:DWORD dst_unused:UNUSED_PAD src0_sel:WORD_1
	v_cvt_f32_f16_e32 v10, v5
	v_addc_co_u32_e32 v9, vcc, 0, v1, vcc
	v_lshlrev_b64 v[8:9], 3, v[8:9]
	v_add_co_u32_e32 v8, vcc, s42, v8
	v_mov_b32_e32 v1, s43
	v_addc_co_u32_e32 v9, vcc, v1, v9, vcc
	v_pk_fma_f32 v[0:1], v[0:1], v[10:11], 0 op_sel_hi:[0,1,0]
	s_waitcnt lgkmcnt(1)
	v_cvt_f32_f16_sdwa v11, v6 dst_sel:DWORD dst_unused:UNUSED_PAD src0_sel:WORD_1
	v_cvt_f32_f16_e32 v10, v6
	v_pk_fma_f32 v[0:1], v[4:5], v[10:11], v[0:1] op_sel_hi:[0,1,1]
	v_cvt_f32_f16_sdwa v5, v7 dst_sel:DWORD dst_unused:UNUSED_PAD src0_sel:WORD_1
	v_cvt_f32_f16_e32 v4, v7
	v_pk_fma_f32 v[0:1], v[2:3], v[4:5], v[0:1] op_sel_hi:[0,1,1]
	s_waitcnt lgkmcnt(0)
	v_cvt_f32_f16_sdwa v3, v13 dst_sel:DWORD dst_unused:UNUSED_PAD src0_sel:WORD_1
	v_cvt_f32_f16_e32 v2, v13
	v_pk_fma_f32 v[0:1], v[12:13], v[2:3], v[0:1] op_sel_hi:[0,1,1]
	global_store_dwordx2 v[8:9], v[0:1], off offset:512
	v_mov_b32_e32 v0, 0
.LBB30_125:                             ;   in Loop: Header=BB30_14 Depth=1
	s_or_b64 exec, exec, s[40:41]
	s_movk_i32 s40, 0x47
	v_cmp_gt_i32_e32 vcc, s40, v0
	s_mov_b64 s[40:41], -1
	s_and_saveexec_b64 s[42:43], vcc
; %bb.126:                              ;   in Loop: Header=BB30_14 Depth=1
	v_cmp_eq_u32_e32 vcc, 0, v0
	s_orn2_b64 s[40:41], vcc, exec
; %bb.127:                              ;   in Loop: Header=BB30_14 Depth=1
	s_or_b64 exec, exec, s[42:43]
	s_and_b64 exec, exec, s[40:41]
	s_cbranch_execz .LBB30_180
; %bb.128:                              ;   in Loop: Header=BB30_14 Depth=1
	v_accvgpr_read_b32 v0, a15
	v_add_u32_e32 v1, s74, v0
	v_cmp_gt_i32_e32 vcc, s52, v1
	v_mov_b32_e32 v0, 0x47
	s_and_saveexec_b64 s[40:41], vcc
	s_cbranch_execz .LBB30_130
; %bb.129:                              ;   in Loop: Header=BB30_14 Depth=1
	v_readlane_b32 s42, v254, 63
	v_accvgpr_read_b32 v0, a40
	v_mul_lo_u32 v14, s42, v1
	v_add_u32_e32 v2, 0, v0
	v_accvgpr_read_b32 v8, a39
	ds_read2st64_b32 v[0:1], v2 offset0:2 offset1:35
	ds_read2st64_b32 v[2:3], v2 offset0:68 offset1:101
	ds_read2st64_b32 v[4:5], v8 offset1:1
	ds_read2st64_b32 v[6:7], v8 offset0:33 offset1:66
	ds_read_b32 v15, v8 offset:25344
	v_add_u32_e32 v8, v42, v14
	v_ashrrev_i32_e32 v9, 31, v8
	v_lshlrev_b64 v[8:9], 3, v[8:9]
	v_readlane_b32 s42, v255, 23
	v_readlane_b32 s43, v255, 24
	v_add_co_u32_e32 v8, vcc, s42, v8
	v_mov_b32_e32 v10, s43
	v_addc_co_u32_e32 v9, vcc, v10, v9, vcc
	s_waitcnt lgkmcnt(2)
	v_cvt_f32_f16_sdwa v11, v4 dst_sel:DWORD dst_unused:UNUSED_PAD src0_sel:WORD_1
	v_cvt_f32_f16_e32 v10, v4
	s_waitcnt lgkmcnt(1)
	v_cvt_f32_f16_sdwa v13, v6 dst_sel:DWORD dst_unused:UNUSED_PAD src0_sel:WORD_1
	v_cvt_f32_f16_e32 v12, v6
	v_mov_b32_e32 v4, v1
	v_pk_fma_f32 v[10:11], v[0:1], v[10:11], 0 op_sel_hi:[0,1,0]
	v_accvgpr_read_b32 v1, a41
	v_pk_fma_f32 v[10:11], v[4:5], v[12:13], v[10:11] op_sel_hi:[0,1,1]
	v_cvt_f32_f16_sdwa v13, v7 dst_sel:DWORD dst_unused:UNUSED_PAD src0_sel:WORD_1
	v_cvt_f32_f16_e32 v12, v7
	v_pk_fma_f32 v[6:7], v[2:3], v[12:13], v[10:11] op_sel_hi:[0,1,1]
	s_waitcnt lgkmcnt(0)
	v_cvt_f32_f16_sdwa v11, v15 dst_sel:DWORD dst_unused:UNUSED_PAD src0_sel:WORD_1
	v_cvt_f32_f16_e32 v10, v15
	v_mov_b32_e32 v12, v3
	v_pk_fma_f32 v[6:7], v[12:13], v[10:11], v[6:7] op_sel_hi:[0,1,1]
	global_store_dwordx2 v[8:9], v[6:7], off
	ds_read2st64_b32 v[6:7], v1 offset0:33 offset1:66
	ds_read_b32 v13, v1 offset:25344
	v_ashrrev_i32_e32 v1, 31, v14
	v_add_co_u32_e32 v8, vcc, v42, v14
	v_cvt_f32_f16_sdwa v11, v5 dst_sel:DWORD dst_unused:UNUSED_PAD src0_sel:WORD_1
	v_cvt_f32_f16_e32 v10, v5
	v_addc_co_u32_e32 v9, vcc, 0, v1, vcc
	v_lshlrev_b64 v[8:9], 3, v[8:9]
	v_add_co_u32_e32 v8, vcc, s42, v8
	v_mov_b32_e32 v1, s43
	v_addc_co_u32_e32 v9, vcc, v1, v9, vcc
	v_pk_fma_f32 v[0:1], v[0:1], v[10:11], 0 op_sel_hi:[0,1,0]
	s_waitcnt lgkmcnt(1)
	v_cvt_f32_f16_sdwa v11, v6 dst_sel:DWORD dst_unused:UNUSED_PAD src0_sel:WORD_1
	v_cvt_f32_f16_e32 v10, v6
	v_pk_fma_f32 v[0:1], v[4:5], v[10:11], v[0:1] op_sel_hi:[0,1,1]
	v_cvt_f32_f16_sdwa v5, v7 dst_sel:DWORD dst_unused:UNUSED_PAD src0_sel:WORD_1
	v_cvt_f32_f16_e32 v4, v7
	v_pk_fma_f32 v[0:1], v[2:3], v[4:5], v[0:1] op_sel_hi:[0,1,1]
	s_waitcnt lgkmcnt(0)
	v_cvt_f32_f16_sdwa v3, v13 dst_sel:DWORD dst_unused:UNUSED_PAD src0_sel:WORD_1
	v_cvt_f32_f16_e32 v2, v13
	v_pk_fma_f32 v[0:1], v[12:13], v[2:3], v[0:1] op_sel_hi:[0,1,1]
	global_store_dwordx2 v[8:9], v[0:1], off offset:512
	v_mov_b32_e32 v0, 0
.LBB30_130:                             ;   in Loop: Header=BB30_14 Depth=1
	s_or_b64 exec, exec, s[40:41]
	s_movk_i32 s40, 0x47
	v_cmp_gt_i32_e32 vcc, s40, v0
	s_mov_b64 s[40:41], -1
	s_and_saveexec_b64 s[42:43], vcc
; %bb.131:                              ;   in Loop: Header=BB30_14 Depth=1
	v_cmp_eq_u32_e32 vcc, 0, v0
	s_orn2_b64 s[40:41], vcc, exec
; %bb.132:                              ;   in Loop: Header=BB30_14 Depth=1
	s_or_b64 exec, exec, s[42:43]
	s_and_b64 exec, exec, s[40:41]
	s_cbranch_execz .LBB30_180
; %bb.133:                              ;   in Loop: Header=BB30_14 Depth=1
	v_accvgpr_read_b32 v0, a16
	v_add_u32_e32 v1, s74, v0
	v_cmp_gt_i32_e32 vcc, s52, v1
	v_mov_b32_e32 v0, 0x47
	s_and_saveexec_b64 s[40:41], vcc
	s_cbranch_execz .LBB30_135
; %bb.134:                              ;   in Loop: Header=BB30_14 Depth=1
	v_readlane_b32 s42, v254, 63
	v_accvgpr_read_b32 v0, a43
	v_mul_lo_u32 v14, s42, v1
	v_add_u32_e32 v2, 0, v0
	v_accvgpr_read_b32 v8, a42
	ds_read2st64_b32 v[0:1], v2 offset0:2 offset1:35
	ds_read2st64_b32 v[2:3], v2 offset0:68 offset1:101
	ds_read2st64_b32 v[4:5], v8 offset1:1
	ds_read2st64_b32 v[6:7], v8 offset0:33 offset1:66
	ds_read_b32 v15, v8 offset:25344
	v_add_u32_e32 v8, v42, v14
	v_ashrrev_i32_e32 v9, 31, v8
	v_lshlrev_b64 v[8:9], 3, v[8:9]
	v_readlane_b32 s42, v255, 23
	v_readlane_b32 s43, v255, 24
	v_add_co_u32_e32 v8, vcc, s42, v8
	v_mov_b32_e32 v10, s43
	v_addc_co_u32_e32 v9, vcc, v10, v9, vcc
	s_waitcnt lgkmcnt(2)
	v_cvt_f32_f16_sdwa v11, v4 dst_sel:DWORD dst_unused:UNUSED_PAD src0_sel:WORD_1
	v_cvt_f32_f16_e32 v10, v4
	s_waitcnt lgkmcnt(1)
	v_cvt_f32_f16_sdwa v13, v6 dst_sel:DWORD dst_unused:UNUSED_PAD src0_sel:WORD_1
	v_cvt_f32_f16_e32 v12, v6
	v_mov_b32_e32 v4, v1
	v_pk_fma_f32 v[10:11], v[0:1], v[10:11], 0 op_sel_hi:[0,1,0]
	v_accvgpr_read_b32 v1, a44
	v_pk_fma_f32 v[10:11], v[4:5], v[12:13], v[10:11] op_sel_hi:[0,1,1]
	v_cvt_f32_f16_sdwa v13, v7 dst_sel:DWORD dst_unused:UNUSED_PAD src0_sel:WORD_1
	v_cvt_f32_f16_e32 v12, v7
	v_pk_fma_f32 v[6:7], v[2:3], v[12:13], v[10:11] op_sel_hi:[0,1,1]
	s_waitcnt lgkmcnt(0)
	v_cvt_f32_f16_sdwa v11, v15 dst_sel:DWORD dst_unused:UNUSED_PAD src0_sel:WORD_1
	v_cvt_f32_f16_e32 v10, v15
	v_mov_b32_e32 v12, v3
	v_pk_fma_f32 v[6:7], v[12:13], v[10:11], v[6:7] op_sel_hi:[0,1,1]
	global_store_dwordx2 v[8:9], v[6:7], off
	ds_read2st64_b32 v[6:7], v1 offset0:33 offset1:66
	ds_read_b32 v13, v1 offset:25344
	v_ashrrev_i32_e32 v1, 31, v14
	v_add_co_u32_e32 v8, vcc, v42, v14
	v_cvt_f32_f16_sdwa v11, v5 dst_sel:DWORD dst_unused:UNUSED_PAD src0_sel:WORD_1
	v_cvt_f32_f16_e32 v10, v5
	v_addc_co_u32_e32 v9, vcc, 0, v1, vcc
	v_lshlrev_b64 v[8:9], 3, v[8:9]
	v_add_co_u32_e32 v8, vcc, s42, v8
	v_mov_b32_e32 v1, s43
	v_addc_co_u32_e32 v9, vcc, v1, v9, vcc
	v_pk_fma_f32 v[0:1], v[0:1], v[10:11], 0 op_sel_hi:[0,1,0]
	s_waitcnt lgkmcnt(1)
	v_cvt_f32_f16_sdwa v11, v6 dst_sel:DWORD dst_unused:UNUSED_PAD src0_sel:WORD_1
	v_cvt_f32_f16_e32 v10, v6
	v_pk_fma_f32 v[0:1], v[4:5], v[10:11], v[0:1] op_sel_hi:[0,1,1]
	v_cvt_f32_f16_sdwa v5, v7 dst_sel:DWORD dst_unused:UNUSED_PAD src0_sel:WORD_1
	v_cvt_f32_f16_e32 v4, v7
	v_pk_fma_f32 v[0:1], v[2:3], v[4:5], v[0:1] op_sel_hi:[0,1,1]
	s_waitcnt lgkmcnt(0)
	v_cvt_f32_f16_sdwa v3, v13 dst_sel:DWORD dst_unused:UNUSED_PAD src0_sel:WORD_1
	v_cvt_f32_f16_e32 v2, v13
	v_pk_fma_f32 v[0:1], v[12:13], v[2:3], v[0:1] op_sel_hi:[0,1,1]
	global_store_dwordx2 v[8:9], v[0:1], off offset:512
	v_mov_b32_e32 v0, 0
.LBB30_135:                             ;   in Loop: Header=BB30_14 Depth=1
	s_or_b64 exec, exec, s[40:41]
	s_movk_i32 s40, 0x47
	v_cmp_gt_i32_e32 vcc, s40, v0
	s_mov_b64 s[40:41], -1
	s_and_saveexec_b64 s[42:43], vcc
; %bb.136:                              ;   in Loop: Header=BB30_14 Depth=1
	v_cmp_eq_u32_e32 vcc, 0, v0
	s_orn2_b64 s[40:41], vcc, exec
; %bb.137:                              ;   in Loop: Header=BB30_14 Depth=1
	s_or_b64 exec, exec, s[42:43]
	s_and_b64 exec, exec, s[40:41]
	s_cbranch_execz .LBB30_180
; %bb.138:                              ;   in Loop: Header=BB30_14 Depth=1
	v_accvgpr_read_b32 v0, a17
	v_add_u32_e32 v1, s74, v0
	v_cmp_gt_i32_e32 vcc, s52, v1
	v_mov_b32_e32 v0, 0x47
	s_and_saveexec_b64 s[40:41], vcc
	s_cbranch_execz .LBB30_140
; %bb.139:                              ;   in Loop: Header=BB30_14 Depth=1
	v_readlane_b32 s42, v254, 63
	v_accvgpr_read_b32 v0, a46
	v_mul_lo_u32 v14, s42, v1
	v_add_u32_e32 v2, 0, v0
	v_accvgpr_read_b32 v8, a45
	ds_read2st64_b32 v[0:1], v2 offset0:2 offset1:35
	ds_read2st64_b32 v[2:3], v2 offset0:68 offset1:101
	ds_read2st64_b32 v[4:5], v8 offset1:1
	ds_read2st64_b32 v[6:7], v8 offset0:33 offset1:66
	ds_read_b32 v15, v8 offset:25344
	v_add_u32_e32 v8, v42, v14
	v_ashrrev_i32_e32 v9, 31, v8
	v_lshlrev_b64 v[8:9], 3, v[8:9]
	v_readlane_b32 s42, v255, 23
	v_readlane_b32 s43, v255, 24
	v_add_co_u32_e32 v8, vcc, s42, v8
	v_mov_b32_e32 v10, s43
	v_addc_co_u32_e32 v9, vcc, v10, v9, vcc
	s_waitcnt lgkmcnt(2)
	v_cvt_f32_f16_sdwa v11, v4 dst_sel:DWORD dst_unused:UNUSED_PAD src0_sel:WORD_1
	v_cvt_f32_f16_e32 v10, v4
	s_waitcnt lgkmcnt(1)
	v_cvt_f32_f16_sdwa v13, v6 dst_sel:DWORD dst_unused:UNUSED_PAD src0_sel:WORD_1
	v_cvt_f32_f16_e32 v12, v6
	v_mov_b32_e32 v4, v1
	v_pk_fma_f32 v[10:11], v[0:1], v[10:11], 0 op_sel_hi:[0,1,0]
	v_accvgpr_read_b32 v1, a47
	v_pk_fma_f32 v[10:11], v[4:5], v[12:13], v[10:11] op_sel_hi:[0,1,1]
	v_cvt_f32_f16_sdwa v13, v7 dst_sel:DWORD dst_unused:UNUSED_PAD src0_sel:WORD_1
	v_cvt_f32_f16_e32 v12, v7
	v_pk_fma_f32 v[6:7], v[2:3], v[12:13], v[10:11] op_sel_hi:[0,1,1]
	s_waitcnt lgkmcnt(0)
	v_cvt_f32_f16_sdwa v11, v15 dst_sel:DWORD dst_unused:UNUSED_PAD src0_sel:WORD_1
	v_cvt_f32_f16_e32 v10, v15
	v_mov_b32_e32 v12, v3
	v_pk_fma_f32 v[6:7], v[12:13], v[10:11], v[6:7] op_sel_hi:[0,1,1]
	global_store_dwordx2 v[8:9], v[6:7], off
	ds_read2st64_b32 v[6:7], v1 offset0:33 offset1:66
	ds_read_b32 v13, v1 offset:25344
	v_ashrrev_i32_e32 v1, 31, v14
	v_add_co_u32_e32 v8, vcc, v42, v14
	v_cvt_f32_f16_sdwa v11, v5 dst_sel:DWORD dst_unused:UNUSED_PAD src0_sel:WORD_1
	v_cvt_f32_f16_e32 v10, v5
	v_addc_co_u32_e32 v9, vcc, 0, v1, vcc
	v_lshlrev_b64 v[8:9], 3, v[8:9]
	v_add_co_u32_e32 v8, vcc, s42, v8
	v_mov_b32_e32 v1, s43
	v_addc_co_u32_e32 v9, vcc, v1, v9, vcc
	v_pk_fma_f32 v[0:1], v[0:1], v[10:11], 0 op_sel_hi:[0,1,0]
	s_waitcnt lgkmcnt(1)
	v_cvt_f32_f16_sdwa v11, v6 dst_sel:DWORD dst_unused:UNUSED_PAD src0_sel:WORD_1
	v_cvt_f32_f16_e32 v10, v6
	v_pk_fma_f32 v[0:1], v[4:5], v[10:11], v[0:1] op_sel_hi:[0,1,1]
	v_cvt_f32_f16_sdwa v5, v7 dst_sel:DWORD dst_unused:UNUSED_PAD src0_sel:WORD_1
	v_cvt_f32_f16_e32 v4, v7
	v_pk_fma_f32 v[0:1], v[2:3], v[4:5], v[0:1] op_sel_hi:[0,1,1]
	s_waitcnt lgkmcnt(0)
	v_cvt_f32_f16_sdwa v3, v13 dst_sel:DWORD dst_unused:UNUSED_PAD src0_sel:WORD_1
	v_cvt_f32_f16_e32 v2, v13
	v_pk_fma_f32 v[0:1], v[12:13], v[2:3], v[0:1] op_sel_hi:[0,1,1]
	global_store_dwordx2 v[8:9], v[0:1], off offset:512
	v_mov_b32_e32 v0, 0
.LBB30_140:                             ;   in Loop: Header=BB30_14 Depth=1
	s_or_b64 exec, exec, s[40:41]
	s_movk_i32 s40, 0x47
	v_cmp_gt_i32_e32 vcc, s40, v0
	s_mov_b64 s[40:41], -1
	s_and_saveexec_b64 s[42:43], vcc
; %bb.141:                              ;   in Loop: Header=BB30_14 Depth=1
	v_cmp_eq_u32_e32 vcc, 0, v0
	s_orn2_b64 s[40:41], vcc, exec
; %bb.142:                              ;   in Loop: Header=BB30_14 Depth=1
	s_or_b64 exec, exec, s[42:43]
	s_and_b64 exec, exec, s[40:41]
	s_cbranch_execz .LBB30_180
; %bb.143:                              ;   in Loop: Header=BB30_14 Depth=1
	v_accvgpr_read_b32 v0, a18
	v_add_u32_e32 v1, s74, v0
	v_cmp_gt_i32_e32 vcc, s52, v1
	v_mov_b32_e32 v0, 0x47
	s_and_saveexec_b64 s[40:41], vcc
	s_cbranch_execz .LBB30_145
; %bb.144:                              ;   in Loop: Header=BB30_14 Depth=1
	v_readlane_b32 s42, v254, 63
	v_accvgpr_read_b32 v0, a49
	v_mul_lo_u32 v14, s42, v1
	v_add_u32_e32 v2, 0, v0
	v_accvgpr_read_b32 v8, a48
	ds_read2st64_b32 v[0:1], v2 offset0:2 offset1:35
	ds_read2st64_b32 v[2:3], v2 offset0:68 offset1:101
	ds_read2st64_b32 v[4:5], v8 offset1:1
	ds_read2st64_b32 v[6:7], v8 offset0:33 offset1:66
	ds_read_b32 v15, v8 offset:25344
	v_add_u32_e32 v8, v42, v14
	v_ashrrev_i32_e32 v9, 31, v8
	v_lshlrev_b64 v[8:9], 3, v[8:9]
	v_readlane_b32 s42, v255, 23
	v_readlane_b32 s43, v255, 24
	v_add_co_u32_e32 v8, vcc, s42, v8
	v_mov_b32_e32 v10, s43
	v_addc_co_u32_e32 v9, vcc, v10, v9, vcc
	s_waitcnt lgkmcnt(2)
	v_cvt_f32_f16_sdwa v11, v4 dst_sel:DWORD dst_unused:UNUSED_PAD src0_sel:WORD_1
	v_cvt_f32_f16_e32 v10, v4
	s_waitcnt lgkmcnt(1)
	v_cvt_f32_f16_sdwa v13, v6 dst_sel:DWORD dst_unused:UNUSED_PAD src0_sel:WORD_1
	v_cvt_f32_f16_e32 v12, v6
	v_mov_b32_e32 v4, v1
	v_pk_fma_f32 v[10:11], v[0:1], v[10:11], 0 op_sel_hi:[0,1,0]
	v_accvgpr_read_b32 v1, a50
	v_pk_fma_f32 v[10:11], v[4:5], v[12:13], v[10:11] op_sel_hi:[0,1,1]
	v_cvt_f32_f16_sdwa v13, v7 dst_sel:DWORD dst_unused:UNUSED_PAD src0_sel:WORD_1
	v_cvt_f32_f16_e32 v12, v7
	v_pk_fma_f32 v[6:7], v[2:3], v[12:13], v[10:11] op_sel_hi:[0,1,1]
	s_waitcnt lgkmcnt(0)
	v_cvt_f32_f16_sdwa v11, v15 dst_sel:DWORD dst_unused:UNUSED_PAD src0_sel:WORD_1
	v_cvt_f32_f16_e32 v10, v15
	v_mov_b32_e32 v12, v3
	v_pk_fma_f32 v[6:7], v[12:13], v[10:11], v[6:7] op_sel_hi:[0,1,1]
	global_store_dwordx2 v[8:9], v[6:7], off
	ds_read2st64_b32 v[6:7], v1 offset0:33 offset1:66
	ds_read_b32 v13, v1 offset:25344
	v_ashrrev_i32_e32 v1, 31, v14
	v_add_co_u32_e32 v8, vcc, v42, v14
	v_cvt_f32_f16_sdwa v11, v5 dst_sel:DWORD dst_unused:UNUSED_PAD src0_sel:WORD_1
	v_cvt_f32_f16_e32 v10, v5
	v_addc_co_u32_e32 v9, vcc, 0, v1, vcc
	v_lshlrev_b64 v[8:9], 3, v[8:9]
	v_add_co_u32_e32 v8, vcc, s42, v8
	v_mov_b32_e32 v1, s43
	v_addc_co_u32_e32 v9, vcc, v1, v9, vcc
	v_pk_fma_f32 v[0:1], v[0:1], v[10:11], 0 op_sel_hi:[0,1,0]
	s_waitcnt lgkmcnt(1)
	v_cvt_f32_f16_sdwa v11, v6 dst_sel:DWORD dst_unused:UNUSED_PAD src0_sel:WORD_1
	v_cvt_f32_f16_e32 v10, v6
	v_pk_fma_f32 v[0:1], v[4:5], v[10:11], v[0:1] op_sel_hi:[0,1,1]
	v_cvt_f32_f16_sdwa v5, v7 dst_sel:DWORD dst_unused:UNUSED_PAD src0_sel:WORD_1
	v_cvt_f32_f16_e32 v4, v7
	v_pk_fma_f32 v[0:1], v[2:3], v[4:5], v[0:1] op_sel_hi:[0,1,1]
	s_waitcnt lgkmcnt(0)
	v_cvt_f32_f16_sdwa v3, v13 dst_sel:DWORD dst_unused:UNUSED_PAD src0_sel:WORD_1
	v_cvt_f32_f16_e32 v2, v13
	v_pk_fma_f32 v[0:1], v[12:13], v[2:3], v[0:1] op_sel_hi:[0,1,1]
	global_store_dwordx2 v[8:9], v[0:1], off offset:512
	v_mov_b32_e32 v0, 0
.LBB30_145:                             ;   in Loop: Header=BB30_14 Depth=1
	s_or_b64 exec, exec, s[40:41]
	s_movk_i32 s40, 0x47
	v_cmp_gt_i32_e32 vcc, s40, v0
	s_mov_b64 s[40:41], -1
	s_and_saveexec_b64 s[42:43], vcc
; %bb.146:                              ;   in Loop: Header=BB30_14 Depth=1
	v_cmp_eq_u32_e32 vcc, 0, v0
	s_orn2_b64 s[40:41], vcc, exec
; %bb.147:                              ;   in Loop: Header=BB30_14 Depth=1
	s_or_b64 exec, exec, s[42:43]
	s_and_b64 exec, exec, s[40:41]
	s_cbranch_execz .LBB30_180
; %bb.148:                              ;   in Loop: Header=BB30_14 Depth=1
	v_accvgpr_read_b32 v0, a19
	v_add_u32_e32 v1, s74, v0
	v_cmp_gt_i32_e32 vcc, s52, v1
	v_mov_b32_e32 v0, 0x47
	s_and_saveexec_b64 s[40:41], vcc
	s_cbranch_execz .LBB30_150
; %bb.149:                              ;   in Loop: Header=BB30_14 Depth=1
	v_readlane_b32 s42, v254, 63
	v_accvgpr_read_b32 v0, a52
	v_mul_lo_u32 v14, s42, v1
	v_add_u32_e32 v2, 0, v0
	v_accvgpr_read_b32 v8, a51
	ds_read2st64_b32 v[0:1], v2 offset0:2 offset1:35
	ds_read2st64_b32 v[2:3], v2 offset0:68 offset1:101
	ds_read2st64_b32 v[4:5], v8 offset1:1
	ds_read2st64_b32 v[6:7], v8 offset0:33 offset1:66
	ds_read_b32 v15, v8 offset:25344
	v_add_u32_e32 v8, v42, v14
	v_ashrrev_i32_e32 v9, 31, v8
	v_lshlrev_b64 v[8:9], 3, v[8:9]
	v_readlane_b32 s42, v255, 23
	v_readlane_b32 s43, v255, 24
	v_add_co_u32_e32 v8, vcc, s42, v8
	v_mov_b32_e32 v10, s43
	v_addc_co_u32_e32 v9, vcc, v10, v9, vcc
	s_waitcnt lgkmcnt(2)
	v_cvt_f32_f16_sdwa v11, v4 dst_sel:DWORD dst_unused:UNUSED_PAD src0_sel:WORD_1
	v_cvt_f32_f16_e32 v10, v4
	s_waitcnt lgkmcnt(1)
	v_cvt_f32_f16_sdwa v13, v6 dst_sel:DWORD dst_unused:UNUSED_PAD src0_sel:WORD_1
	v_cvt_f32_f16_e32 v12, v6
	v_mov_b32_e32 v4, v1
	v_pk_fma_f32 v[10:11], v[0:1], v[10:11], 0 op_sel_hi:[0,1,0]
	v_accvgpr_read_b32 v1, a53
	v_pk_fma_f32 v[10:11], v[4:5], v[12:13], v[10:11] op_sel_hi:[0,1,1]
	v_cvt_f32_f16_sdwa v13, v7 dst_sel:DWORD dst_unused:UNUSED_PAD src0_sel:WORD_1
	v_cvt_f32_f16_e32 v12, v7
	v_pk_fma_f32 v[6:7], v[2:3], v[12:13], v[10:11] op_sel_hi:[0,1,1]
	s_waitcnt lgkmcnt(0)
	v_cvt_f32_f16_sdwa v11, v15 dst_sel:DWORD dst_unused:UNUSED_PAD src0_sel:WORD_1
	v_cvt_f32_f16_e32 v10, v15
	v_mov_b32_e32 v12, v3
	v_pk_fma_f32 v[6:7], v[12:13], v[10:11], v[6:7] op_sel_hi:[0,1,1]
	global_store_dwordx2 v[8:9], v[6:7], off
	ds_read2st64_b32 v[6:7], v1 offset0:33 offset1:66
	ds_read_b32 v13, v1 offset:25344
	v_ashrrev_i32_e32 v1, 31, v14
	v_add_co_u32_e32 v8, vcc, v42, v14
	v_cvt_f32_f16_sdwa v11, v5 dst_sel:DWORD dst_unused:UNUSED_PAD src0_sel:WORD_1
	v_cvt_f32_f16_e32 v10, v5
	v_addc_co_u32_e32 v9, vcc, 0, v1, vcc
	v_lshlrev_b64 v[8:9], 3, v[8:9]
	v_add_co_u32_e32 v8, vcc, s42, v8
	v_mov_b32_e32 v1, s43
	v_addc_co_u32_e32 v9, vcc, v1, v9, vcc
	v_pk_fma_f32 v[0:1], v[0:1], v[10:11], 0 op_sel_hi:[0,1,0]
	s_waitcnt lgkmcnt(1)
	v_cvt_f32_f16_sdwa v11, v6 dst_sel:DWORD dst_unused:UNUSED_PAD src0_sel:WORD_1
	v_cvt_f32_f16_e32 v10, v6
	v_pk_fma_f32 v[0:1], v[4:5], v[10:11], v[0:1] op_sel_hi:[0,1,1]
	v_cvt_f32_f16_sdwa v5, v7 dst_sel:DWORD dst_unused:UNUSED_PAD src0_sel:WORD_1
	v_cvt_f32_f16_e32 v4, v7
	v_pk_fma_f32 v[0:1], v[2:3], v[4:5], v[0:1] op_sel_hi:[0,1,1]
	s_waitcnt lgkmcnt(0)
	v_cvt_f32_f16_sdwa v3, v13 dst_sel:DWORD dst_unused:UNUSED_PAD src0_sel:WORD_1
	v_cvt_f32_f16_e32 v2, v13
	v_pk_fma_f32 v[0:1], v[12:13], v[2:3], v[0:1] op_sel_hi:[0,1,1]
	global_store_dwordx2 v[8:9], v[0:1], off offset:512
	v_mov_b32_e32 v0, 0
.LBB30_150:                             ;   in Loop: Header=BB30_14 Depth=1
	s_or_b64 exec, exec, s[40:41]
	s_movk_i32 s40, 0x47
	v_cmp_gt_i32_e32 vcc, s40, v0
	s_mov_b64 s[40:41], -1
	s_and_saveexec_b64 s[42:43], vcc
; %bb.151:                              ;   in Loop: Header=BB30_14 Depth=1
	v_cmp_eq_u32_e32 vcc, 0, v0
	s_orn2_b64 s[40:41], vcc, exec
; %bb.152:                              ;   in Loop: Header=BB30_14 Depth=1
	s_or_b64 exec, exec, s[42:43]
	s_and_b64 exec, exec, s[40:41]
	s_cbranch_execz .LBB30_180
; %bb.153:                              ;   in Loop: Header=BB30_14 Depth=1
	v_accvgpr_read_b32 v0, a20
	v_add_u32_e32 v1, s74, v0
	v_cmp_gt_i32_e32 vcc, s52, v1
	v_mov_b32_e32 v0, 0x47
	s_and_saveexec_b64 s[40:41], vcc
	s_cbranch_execz .LBB30_155
; %bb.154:                              ;   in Loop: Header=BB30_14 Depth=1
	v_readlane_b32 s42, v254, 63
	v_accvgpr_read_b32 v0, a55
	v_mul_lo_u32 v14, s42, v1
	v_add_u32_e32 v2, 0, v0
	v_accvgpr_read_b32 v8, a54
	ds_read2st64_b32 v[0:1], v2 offset0:2 offset1:35
	ds_read2st64_b32 v[2:3], v2 offset0:68 offset1:101
	ds_read2st64_b32 v[4:5], v8 offset1:1
	ds_read2st64_b32 v[6:7], v8 offset0:33 offset1:66
	ds_read_b32 v15, v8 offset:25344
	v_add_u32_e32 v8, v42, v14
	v_ashrrev_i32_e32 v9, 31, v8
	v_lshlrev_b64 v[8:9], 3, v[8:9]
	v_readlane_b32 s42, v255, 23
	v_readlane_b32 s43, v255, 24
	v_add_co_u32_e32 v8, vcc, s42, v8
	v_mov_b32_e32 v10, s43
	v_addc_co_u32_e32 v9, vcc, v10, v9, vcc
	s_waitcnt lgkmcnt(2)
	v_cvt_f32_f16_sdwa v11, v4 dst_sel:DWORD dst_unused:UNUSED_PAD src0_sel:WORD_1
	v_cvt_f32_f16_e32 v10, v4
	s_waitcnt lgkmcnt(1)
	v_cvt_f32_f16_sdwa v13, v6 dst_sel:DWORD dst_unused:UNUSED_PAD src0_sel:WORD_1
	v_cvt_f32_f16_e32 v12, v6
	v_mov_b32_e32 v4, v1
	v_pk_fma_f32 v[10:11], v[0:1], v[10:11], 0 op_sel_hi:[0,1,0]
	v_accvgpr_read_b32 v1, a56
	v_pk_fma_f32 v[10:11], v[4:5], v[12:13], v[10:11] op_sel_hi:[0,1,1]
	v_cvt_f32_f16_sdwa v13, v7 dst_sel:DWORD dst_unused:UNUSED_PAD src0_sel:WORD_1
	v_cvt_f32_f16_e32 v12, v7
	v_pk_fma_f32 v[6:7], v[2:3], v[12:13], v[10:11] op_sel_hi:[0,1,1]
	s_waitcnt lgkmcnt(0)
	v_cvt_f32_f16_sdwa v11, v15 dst_sel:DWORD dst_unused:UNUSED_PAD src0_sel:WORD_1
	v_cvt_f32_f16_e32 v10, v15
	v_mov_b32_e32 v12, v3
	v_pk_fma_f32 v[6:7], v[12:13], v[10:11], v[6:7] op_sel_hi:[0,1,1]
	global_store_dwordx2 v[8:9], v[6:7], off
	ds_read2st64_b32 v[6:7], v1 offset0:33 offset1:66
	ds_read_b32 v13, v1 offset:25344
	v_ashrrev_i32_e32 v1, 31, v14
	v_add_co_u32_e32 v8, vcc, v42, v14
	v_cvt_f32_f16_sdwa v11, v5 dst_sel:DWORD dst_unused:UNUSED_PAD src0_sel:WORD_1
	v_cvt_f32_f16_e32 v10, v5
	v_addc_co_u32_e32 v9, vcc, 0, v1, vcc
	v_lshlrev_b64 v[8:9], 3, v[8:9]
	v_add_co_u32_e32 v8, vcc, s42, v8
	v_mov_b32_e32 v1, s43
	v_addc_co_u32_e32 v9, vcc, v1, v9, vcc
	v_pk_fma_f32 v[0:1], v[0:1], v[10:11], 0 op_sel_hi:[0,1,0]
	s_waitcnt lgkmcnt(1)
	v_cvt_f32_f16_sdwa v11, v6 dst_sel:DWORD dst_unused:UNUSED_PAD src0_sel:WORD_1
	v_cvt_f32_f16_e32 v10, v6
	v_pk_fma_f32 v[0:1], v[4:5], v[10:11], v[0:1] op_sel_hi:[0,1,1]
	v_cvt_f32_f16_sdwa v5, v7 dst_sel:DWORD dst_unused:UNUSED_PAD src0_sel:WORD_1
	v_cvt_f32_f16_e32 v4, v7
	v_pk_fma_f32 v[0:1], v[2:3], v[4:5], v[0:1] op_sel_hi:[0,1,1]
	s_waitcnt lgkmcnt(0)
	v_cvt_f32_f16_sdwa v3, v13 dst_sel:DWORD dst_unused:UNUSED_PAD src0_sel:WORD_1
	v_cvt_f32_f16_e32 v2, v13
	v_pk_fma_f32 v[0:1], v[12:13], v[2:3], v[0:1] op_sel_hi:[0,1,1]
	global_store_dwordx2 v[8:9], v[0:1], off offset:512
	v_mov_b32_e32 v0, 0
.LBB30_155:                             ;   in Loop: Header=BB30_14 Depth=1
	s_or_b64 exec, exec, s[40:41]
	s_movk_i32 s40, 0x47
	v_cmp_gt_i32_e32 vcc, s40, v0
	s_mov_b64 s[40:41], -1
	s_and_saveexec_b64 s[42:43], vcc
; %bb.156:                              ;   in Loop: Header=BB30_14 Depth=1
	v_cmp_eq_u32_e32 vcc, 0, v0
	s_orn2_b64 s[40:41], vcc, exec
; %bb.157:                              ;   in Loop: Header=BB30_14 Depth=1
	s_or_b64 exec, exec, s[42:43]
	s_and_b64 exec, exec, s[40:41]
	s_cbranch_execz .LBB30_180
; %bb.158:                              ;   in Loop: Header=BB30_14 Depth=1
	v_accvgpr_read_b32 v0, a21
	v_add_u32_e32 v1, s74, v0
	v_cmp_gt_i32_e32 vcc, s52, v1
	v_mov_b32_e32 v0, 0x47
	s_and_saveexec_b64 s[40:41], vcc
	s_cbranch_execz .LBB30_160
; %bb.159:                              ;   in Loop: Header=BB30_14 Depth=1
	v_readlane_b32 s42, v254, 63
	v_accvgpr_read_b32 v0, a58
	v_mul_lo_u32 v14, s42, v1
	v_add_u32_e32 v2, 0, v0
	v_accvgpr_read_b32 v8, a57
	ds_read2st64_b32 v[0:1], v2 offset0:2 offset1:35
	ds_read2st64_b32 v[2:3], v2 offset0:68 offset1:101
	ds_read2st64_b32 v[4:5], v8 offset1:1
	ds_read2st64_b32 v[6:7], v8 offset0:33 offset1:66
	ds_read_b32 v15, v8 offset:25344
	v_add_u32_e32 v8, v42, v14
	v_ashrrev_i32_e32 v9, 31, v8
	v_lshlrev_b64 v[8:9], 3, v[8:9]
	v_readlane_b32 s42, v255, 23
	v_readlane_b32 s43, v255, 24
	v_add_co_u32_e32 v8, vcc, s42, v8
	v_mov_b32_e32 v10, s43
	v_addc_co_u32_e32 v9, vcc, v10, v9, vcc
	s_waitcnt lgkmcnt(2)
	v_cvt_f32_f16_sdwa v11, v4 dst_sel:DWORD dst_unused:UNUSED_PAD src0_sel:WORD_1
	v_cvt_f32_f16_e32 v10, v4
	s_waitcnt lgkmcnt(1)
	v_cvt_f32_f16_sdwa v13, v6 dst_sel:DWORD dst_unused:UNUSED_PAD src0_sel:WORD_1
	v_cvt_f32_f16_e32 v12, v6
	v_mov_b32_e32 v4, v1
	v_pk_fma_f32 v[10:11], v[0:1], v[10:11], 0 op_sel_hi:[0,1,0]
	v_accvgpr_read_b32 v1, a59
	v_pk_fma_f32 v[10:11], v[4:5], v[12:13], v[10:11] op_sel_hi:[0,1,1]
	v_cvt_f32_f16_sdwa v13, v7 dst_sel:DWORD dst_unused:UNUSED_PAD src0_sel:WORD_1
	v_cvt_f32_f16_e32 v12, v7
	v_pk_fma_f32 v[6:7], v[2:3], v[12:13], v[10:11] op_sel_hi:[0,1,1]
	s_waitcnt lgkmcnt(0)
	v_cvt_f32_f16_sdwa v11, v15 dst_sel:DWORD dst_unused:UNUSED_PAD src0_sel:WORD_1
	v_cvt_f32_f16_e32 v10, v15
	v_mov_b32_e32 v12, v3
	v_pk_fma_f32 v[6:7], v[12:13], v[10:11], v[6:7] op_sel_hi:[0,1,1]
	global_store_dwordx2 v[8:9], v[6:7], off
	ds_read2st64_b32 v[6:7], v1 offset0:33 offset1:66
	ds_read_b32 v13, v1 offset:25344
	v_ashrrev_i32_e32 v1, 31, v14
	v_add_co_u32_e32 v8, vcc, v42, v14
	v_cvt_f32_f16_sdwa v11, v5 dst_sel:DWORD dst_unused:UNUSED_PAD src0_sel:WORD_1
	v_cvt_f32_f16_e32 v10, v5
	v_addc_co_u32_e32 v9, vcc, 0, v1, vcc
	v_lshlrev_b64 v[8:9], 3, v[8:9]
	v_add_co_u32_e32 v8, vcc, s42, v8
	v_mov_b32_e32 v1, s43
	v_addc_co_u32_e32 v9, vcc, v1, v9, vcc
	v_pk_fma_f32 v[0:1], v[0:1], v[10:11], 0 op_sel_hi:[0,1,0]
	s_waitcnt lgkmcnt(1)
	v_cvt_f32_f16_sdwa v11, v6 dst_sel:DWORD dst_unused:UNUSED_PAD src0_sel:WORD_1
	v_cvt_f32_f16_e32 v10, v6
	v_pk_fma_f32 v[0:1], v[4:5], v[10:11], v[0:1] op_sel_hi:[0,1,1]
	v_cvt_f32_f16_sdwa v5, v7 dst_sel:DWORD dst_unused:UNUSED_PAD src0_sel:WORD_1
	v_cvt_f32_f16_e32 v4, v7
	v_pk_fma_f32 v[0:1], v[2:3], v[4:5], v[0:1] op_sel_hi:[0,1,1]
	s_waitcnt lgkmcnt(0)
	v_cvt_f32_f16_sdwa v3, v13 dst_sel:DWORD dst_unused:UNUSED_PAD src0_sel:WORD_1
	v_cvt_f32_f16_e32 v2, v13
	v_pk_fma_f32 v[0:1], v[12:13], v[2:3], v[0:1] op_sel_hi:[0,1,1]
	global_store_dwordx2 v[8:9], v[0:1], off offset:512
	v_mov_b32_e32 v0, 0
.LBB30_160:                             ;   in Loop: Header=BB30_14 Depth=1
	s_or_b64 exec, exec, s[40:41]
	s_movk_i32 s40, 0x47
	v_cmp_gt_i32_e32 vcc, s40, v0
	s_mov_b64 s[40:41], -1
	s_and_saveexec_b64 s[42:43], vcc
; %bb.161:                              ;   in Loop: Header=BB30_14 Depth=1
	v_cmp_eq_u32_e32 vcc, 0, v0
	s_orn2_b64 s[40:41], vcc, exec
; %bb.162:                              ;   in Loop: Header=BB30_14 Depth=1
	s_or_b64 exec, exec, s[42:43]
	s_and_b64 exec, exec, s[40:41]
	s_cbranch_execz .LBB30_180
; %bb.163:                              ;   in Loop: Header=BB30_14 Depth=1
	v_accvgpr_read_b32 v0, a22
	v_add_u32_e32 v1, s74, v0
	v_cmp_gt_i32_e32 vcc, s52, v1
	v_mov_b32_e32 v0, 0x47
	s_and_saveexec_b64 s[40:41], vcc
	s_cbranch_execz .LBB30_165
; %bb.164:                              ;   in Loop: Header=BB30_14 Depth=1
	v_readlane_b32 s42, v254, 63
	v_accvgpr_read_b32 v0, a61
	v_mul_lo_u32 v14, s42, v1
	v_add_u32_e32 v2, 0, v0
	v_accvgpr_read_b32 v8, a60
	ds_read2st64_b32 v[0:1], v2 offset0:2 offset1:35
	ds_read2st64_b32 v[2:3], v2 offset0:68 offset1:101
	ds_read2st64_b32 v[4:5], v8 offset1:1
	ds_read2st64_b32 v[6:7], v8 offset0:33 offset1:66
	ds_read_b32 v15, v8 offset:25344
	v_add_u32_e32 v8, v42, v14
	v_ashrrev_i32_e32 v9, 31, v8
	v_lshlrev_b64 v[8:9], 3, v[8:9]
	v_readlane_b32 s42, v255, 23
	v_readlane_b32 s43, v255, 24
	v_add_co_u32_e32 v8, vcc, s42, v8
	v_mov_b32_e32 v10, s43
	v_addc_co_u32_e32 v9, vcc, v10, v9, vcc
	s_waitcnt lgkmcnt(2)
	v_cvt_f32_f16_sdwa v11, v4 dst_sel:DWORD dst_unused:UNUSED_PAD src0_sel:WORD_1
	v_cvt_f32_f16_e32 v10, v4
	s_waitcnt lgkmcnt(1)
	v_cvt_f32_f16_sdwa v13, v6 dst_sel:DWORD dst_unused:UNUSED_PAD src0_sel:WORD_1
	v_cvt_f32_f16_e32 v12, v6
	v_mov_b32_e32 v4, v1
	v_pk_fma_f32 v[10:11], v[0:1], v[10:11], 0 op_sel_hi:[0,1,0]
	v_accvgpr_read_b32 v1, a62
	v_pk_fma_f32 v[10:11], v[4:5], v[12:13], v[10:11] op_sel_hi:[0,1,1]
	v_cvt_f32_f16_sdwa v13, v7 dst_sel:DWORD dst_unused:UNUSED_PAD src0_sel:WORD_1
	v_cvt_f32_f16_e32 v12, v7
	v_pk_fma_f32 v[6:7], v[2:3], v[12:13], v[10:11] op_sel_hi:[0,1,1]
	s_waitcnt lgkmcnt(0)
	v_cvt_f32_f16_sdwa v11, v15 dst_sel:DWORD dst_unused:UNUSED_PAD src0_sel:WORD_1
	v_cvt_f32_f16_e32 v10, v15
	v_mov_b32_e32 v12, v3
	v_pk_fma_f32 v[6:7], v[12:13], v[10:11], v[6:7] op_sel_hi:[0,1,1]
	global_store_dwordx2 v[8:9], v[6:7], off
	ds_read2st64_b32 v[6:7], v1 offset0:33 offset1:66
	ds_read_b32 v13, v1 offset:25344
	v_ashrrev_i32_e32 v1, 31, v14
	v_add_co_u32_e32 v8, vcc, v42, v14
	v_cvt_f32_f16_sdwa v11, v5 dst_sel:DWORD dst_unused:UNUSED_PAD src0_sel:WORD_1
	v_cvt_f32_f16_e32 v10, v5
	v_addc_co_u32_e32 v9, vcc, 0, v1, vcc
	v_lshlrev_b64 v[8:9], 3, v[8:9]
	v_add_co_u32_e32 v8, vcc, s42, v8
	v_mov_b32_e32 v1, s43
	v_addc_co_u32_e32 v9, vcc, v1, v9, vcc
	v_pk_fma_f32 v[0:1], v[0:1], v[10:11], 0 op_sel_hi:[0,1,0]
	s_waitcnt lgkmcnt(1)
	v_cvt_f32_f16_sdwa v11, v6 dst_sel:DWORD dst_unused:UNUSED_PAD src0_sel:WORD_1
	v_cvt_f32_f16_e32 v10, v6
	v_pk_fma_f32 v[0:1], v[4:5], v[10:11], v[0:1] op_sel_hi:[0,1,1]
	v_cvt_f32_f16_sdwa v5, v7 dst_sel:DWORD dst_unused:UNUSED_PAD src0_sel:WORD_1
	v_cvt_f32_f16_e32 v4, v7
	v_pk_fma_f32 v[0:1], v[2:3], v[4:5], v[0:1] op_sel_hi:[0,1,1]
	s_waitcnt lgkmcnt(0)
	v_cvt_f32_f16_sdwa v3, v13 dst_sel:DWORD dst_unused:UNUSED_PAD src0_sel:WORD_1
	v_cvt_f32_f16_e32 v2, v13
	v_pk_fma_f32 v[0:1], v[12:13], v[2:3], v[0:1] op_sel_hi:[0,1,1]
	global_store_dwordx2 v[8:9], v[0:1], off offset:512
	v_mov_b32_e32 v0, 0
.LBB30_165:                             ;   in Loop: Header=BB30_14 Depth=1
	s_or_b64 exec, exec, s[40:41]
	s_movk_i32 s40, 0x47
	v_cmp_gt_i32_e32 vcc, s40, v0
	s_mov_b64 s[40:41], -1
	s_and_saveexec_b64 s[42:43], vcc
; %bb.166:                              ;   in Loop: Header=BB30_14 Depth=1
	v_cmp_eq_u32_e32 vcc, 0, v0
	s_orn2_b64 s[40:41], vcc, exec
; %bb.167:                              ;   in Loop: Header=BB30_14 Depth=1
	s_or_b64 exec, exec, s[42:43]
	s_and_b64 exec, exec, s[40:41]
	s_cbranch_execz .LBB30_180
; %bb.168:                              ;   in Loop: Header=BB30_14 Depth=1
	v_accvgpr_read_b32 v0, a23
	v_add_u32_e32 v1, s74, v0
	v_cmp_gt_i32_e32 vcc, s52, v1
	v_mov_b32_e32 v0, 0x47
	s_and_saveexec_b64 s[40:41], vcc
	s_cbranch_execz .LBB30_170
; %bb.169:                              ;   in Loop: Header=BB30_14 Depth=1
	v_readlane_b32 s42, v254, 63
	v_accvgpr_read_b32 v0, a64
	v_mul_lo_u32 v14, s42, v1
	v_add_u32_e32 v2, 0, v0
	v_accvgpr_read_b32 v8, a63
	ds_read2st64_b32 v[0:1], v2 offset0:2 offset1:35
	ds_read2st64_b32 v[2:3], v2 offset0:68 offset1:101
	ds_read2st64_b32 v[4:5], v8 offset1:1
	ds_read2st64_b32 v[6:7], v8 offset0:33 offset1:66
	ds_read_b32 v15, v8 offset:25344
	v_add_u32_e32 v8, v42, v14
	v_ashrrev_i32_e32 v9, 31, v8
	v_lshlrev_b64 v[8:9], 3, v[8:9]
	v_readlane_b32 s42, v255, 23
	v_readlane_b32 s43, v255, 24
	v_add_co_u32_e32 v8, vcc, s42, v8
	v_mov_b32_e32 v10, s43
	v_addc_co_u32_e32 v9, vcc, v10, v9, vcc
	s_waitcnt lgkmcnt(2)
	v_cvt_f32_f16_sdwa v11, v4 dst_sel:DWORD dst_unused:UNUSED_PAD src0_sel:WORD_1
	v_cvt_f32_f16_e32 v10, v4
	s_waitcnt lgkmcnt(1)
	v_cvt_f32_f16_sdwa v13, v6 dst_sel:DWORD dst_unused:UNUSED_PAD src0_sel:WORD_1
	v_cvt_f32_f16_e32 v12, v6
	v_mov_b32_e32 v4, v1
	v_pk_fma_f32 v[10:11], v[0:1], v[10:11], 0 op_sel_hi:[0,1,0]
	v_accvgpr_read_b32 v1, a65
	v_pk_fma_f32 v[10:11], v[4:5], v[12:13], v[10:11] op_sel_hi:[0,1,1]
	v_cvt_f32_f16_sdwa v13, v7 dst_sel:DWORD dst_unused:UNUSED_PAD src0_sel:WORD_1
	v_cvt_f32_f16_e32 v12, v7
	v_pk_fma_f32 v[6:7], v[2:3], v[12:13], v[10:11] op_sel_hi:[0,1,1]
	s_waitcnt lgkmcnt(0)
	v_cvt_f32_f16_sdwa v11, v15 dst_sel:DWORD dst_unused:UNUSED_PAD src0_sel:WORD_1
	v_cvt_f32_f16_e32 v10, v15
	v_mov_b32_e32 v12, v3
	v_pk_fma_f32 v[6:7], v[12:13], v[10:11], v[6:7] op_sel_hi:[0,1,1]
	global_store_dwordx2 v[8:9], v[6:7], off
	ds_read2st64_b32 v[6:7], v1 offset0:33 offset1:66
	ds_read_b32 v13, v1 offset:25344
	v_ashrrev_i32_e32 v1, 31, v14
	v_add_co_u32_e32 v8, vcc, v42, v14
	v_cvt_f32_f16_sdwa v11, v5 dst_sel:DWORD dst_unused:UNUSED_PAD src0_sel:WORD_1
	v_cvt_f32_f16_e32 v10, v5
	v_addc_co_u32_e32 v9, vcc, 0, v1, vcc
	v_lshlrev_b64 v[8:9], 3, v[8:9]
	v_add_co_u32_e32 v8, vcc, s42, v8
	v_mov_b32_e32 v1, s43
	v_addc_co_u32_e32 v9, vcc, v1, v9, vcc
	v_pk_fma_f32 v[0:1], v[0:1], v[10:11], 0 op_sel_hi:[0,1,0]
	s_waitcnt lgkmcnt(1)
	v_cvt_f32_f16_sdwa v11, v6 dst_sel:DWORD dst_unused:UNUSED_PAD src0_sel:WORD_1
	v_cvt_f32_f16_e32 v10, v6
	v_pk_fma_f32 v[0:1], v[4:5], v[10:11], v[0:1] op_sel_hi:[0,1,1]
	v_cvt_f32_f16_sdwa v5, v7 dst_sel:DWORD dst_unused:UNUSED_PAD src0_sel:WORD_1
	v_cvt_f32_f16_e32 v4, v7
	v_pk_fma_f32 v[0:1], v[2:3], v[4:5], v[0:1] op_sel_hi:[0,1,1]
	s_waitcnt lgkmcnt(0)
	v_cvt_f32_f16_sdwa v3, v13 dst_sel:DWORD dst_unused:UNUSED_PAD src0_sel:WORD_1
	v_cvt_f32_f16_e32 v2, v13
	v_pk_fma_f32 v[0:1], v[12:13], v[2:3], v[0:1] op_sel_hi:[0,1,1]
	global_store_dwordx2 v[8:9], v[0:1], off offset:512
	v_mov_b32_e32 v0, 0
.LBB30_170:                             ;   in Loop: Header=BB30_14 Depth=1
	s_or_b64 exec, exec, s[40:41]
	s_movk_i32 s40, 0x47
	v_cmp_gt_i32_e32 vcc, s40, v0
	s_mov_b64 s[40:41], -1
	s_and_saveexec_b64 s[42:43], vcc
; %bb.171:                              ;   in Loop: Header=BB30_14 Depth=1
	v_cmp_eq_u32_e32 vcc, 0, v0
	s_orn2_b64 s[40:41], vcc, exec
; %bb.172:                              ;   in Loop: Header=BB30_14 Depth=1
	s_or_b64 exec, exec, s[42:43]
	s_and_b64 exec, exec, s[40:41]
	s_cbranch_execz .LBB30_180
; %bb.173:                              ;   in Loop: Header=BB30_14 Depth=1
	v_accvgpr_read_b32 v0, a24
	v_add_u32_e32 v1, s74, v0
	v_cmp_gt_i32_e32 vcc, s52, v1
	v_mov_b32_e32 v0, 0x47
	s_and_saveexec_b64 s[40:41], vcc
	s_cbranch_execz .LBB30_175
; %bb.174:                              ;   in Loop: Header=BB30_14 Depth=1
	v_readlane_b32 s42, v254, 63
	v_accvgpr_read_b32 v0, a67
	v_mul_lo_u32 v14, s42, v1
	v_add_u32_e32 v2, 0, v0
	v_accvgpr_read_b32 v8, a66
	ds_read2st64_b32 v[0:1], v2 offset0:2 offset1:35
	ds_read2st64_b32 v[2:3], v2 offset0:68 offset1:101
	ds_read2st64_b32 v[4:5], v8 offset1:1
	ds_read2st64_b32 v[6:7], v8 offset0:33 offset1:66
	ds_read_b32 v15, v8 offset:25344
	v_add_u32_e32 v8, v42, v14
	v_ashrrev_i32_e32 v9, 31, v8
	v_lshlrev_b64 v[8:9], 3, v[8:9]
	v_readlane_b32 s42, v255, 23
	v_readlane_b32 s43, v255, 24
	v_add_co_u32_e32 v8, vcc, s42, v8
	v_mov_b32_e32 v10, s43
	v_addc_co_u32_e32 v9, vcc, v10, v9, vcc
	s_waitcnt lgkmcnt(2)
	v_cvt_f32_f16_sdwa v11, v4 dst_sel:DWORD dst_unused:UNUSED_PAD src0_sel:WORD_1
	v_cvt_f32_f16_e32 v10, v4
	s_waitcnt lgkmcnt(1)
	v_cvt_f32_f16_sdwa v13, v6 dst_sel:DWORD dst_unused:UNUSED_PAD src0_sel:WORD_1
	v_cvt_f32_f16_e32 v12, v6
	v_mov_b32_e32 v4, v1
	v_pk_fma_f32 v[10:11], v[0:1], v[10:11], 0 op_sel_hi:[0,1,0]
	v_accvgpr_read_b32 v1, a68
	v_pk_fma_f32 v[10:11], v[4:5], v[12:13], v[10:11] op_sel_hi:[0,1,1]
	v_cvt_f32_f16_sdwa v13, v7 dst_sel:DWORD dst_unused:UNUSED_PAD src0_sel:WORD_1
	v_cvt_f32_f16_e32 v12, v7
	v_pk_fma_f32 v[6:7], v[2:3], v[12:13], v[10:11] op_sel_hi:[0,1,1]
	s_waitcnt lgkmcnt(0)
	v_cvt_f32_f16_sdwa v11, v15 dst_sel:DWORD dst_unused:UNUSED_PAD src0_sel:WORD_1
	v_cvt_f32_f16_e32 v10, v15
	v_mov_b32_e32 v12, v3
	v_pk_fma_f32 v[6:7], v[12:13], v[10:11], v[6:7] op_sel_hi:[0,1,1]
	global_store_dwordx2 v[8:9], v[6:7], off
	ds_read2st64_b32 v[6:7], v1 offset0:33 offset1:66
	ds_read_b32 v13, v1 offset:25344
	v_ashrrev_i32_e32 v1, 31, v14
	v_add_co_u32_e32 v8, vcc, v42, v14
	v_cvt_f32_f16_sdwa v11, v5 dst_sel:DWORD dst_unused:UNUSED_PAD src0_sel:WORD_1
	v_cvt_f32_f16_e32 v10, v5
	v_addc_co_u32_e32 v9, vcc, 0, v1, vcc
	v_lshlrev_b64 v[8:9], 3, v[8:9]
	v_add_co_u32_e32 v8, vcc, s42, v8
	v_mov_b32_e32 v1, s43
	v_addc_co_u32_e32 v9, vcc, v1, v9, vcc
	v_pk_fma_f32 v[0:1], v[0:1], v[10:11], 0 op_sel_hi:[0,1,0]
	s_waitcnt lgkmcnt(1)
	v_cvt_f32_f16_sdwa v11, v6 dst_sel:DWORD dst_unused:UNUSED_PAD src0_sel:WORD_1
	v_cvt_f32_f16_e32 v10, v6
	v_pk_fma_f32 v[0:1], v[4:5], v[10:11], v[0:1] op_sel_hi:[0,1,1]
	v_cvt_f32_f16_sdwa v5, v7 dst_sel:DWORD dst_unused:UNUSED_PAD src0_sel:WORD_1
	v_cvt_f32_f16_e32 v4, v7
	v_pk_fma_f32 v[0:1], v[2:3], v[4:5], v[0:1] op_sel_hi:[0,1,1]
	s_waitcnt lgkmcnt(0)
	v_cvt_f32_f16_sdwa v3, v13 dst_sel:DWORD dst_unused:UNUSED_PAD src0_sel:WORD_1
	v_cvt_f32_f16_e32 v2, v13
	v_pk_fma_f32 v[0:1], v[12:13], v[2:3], v[0:1] op_sel_hi:[0,1,1]
	global_store_dwordx2 v[8:9], v[0:1], off offset:512
	v_mov_b32_e32 v0, 0
.LBB30_175:                             ;   in Loop: Header=BB30_14 Depth=1
	s_or_b64 exec, exec, s[40:41]
	s_movk_i32 s40, 0x47
	v_cmp_gt_i32_e32 vcc, s40, v0
	s_mov_b64 s[40:41], -1
	s_and_saveexec_b64 s[42:43], vcc
; %bb.176:                              ;   in Loop: Header=BB30_14 Depth=1
	v_cmp_eq_u32_e32 vcc, 0, v0
	s_orn2_b64 s[40:41], vcc, exec
; %bb.177:                              ;   in Loop: Header=BB30_14 Depth=1
	s_or_b64 exec, exec, s[42:43]
	s_and_b64 exec, exec, s[40:41]
	s_cbranch_execz .LBB30_180
; %bb.178:                              ;   in Loop: Header=BB30_14 Depth=1
	v_accvgpr_read_b32 v0, a25
	v_add_u32_e32 v0, s74, v0
	v_cmp_gt_i32_e32 vcc, s52, v0
	s_and_b64 exec, exec, vcc
	s_cbranch_execz .LBB30_180
; %bb.179:                              ;   in Loop: Header=BB30_14 Depth=1
	v_readlane_b32 s40, v254, 63
	v_mul_lo_u32 v14, s40, v0
	v_accvgpr_read_b32 v0, a69
	v_add_u32_e32 v2, 0, v0
	v_accvgpr_read_b32 v8, a70
	ds_read2st64_b32 v[0:1], v2 offset0:2 offset1:35
	ds_read2st64_b32 v[2:3], v2 offset0:68 offset1:101
	ds_read2st64_b32 v[4:5], v8 offset1:1
	ds_read2st64_b32 v[6:7], v8 offset0:33 offset1:66
	ds_read_b32 v15, v8 offset:25344
	v_add_u32_e32 v8, v42, v14
	v_ashrrev_i32_e32 v9, 31, v8
	v_lshlrev_b64 v[8:9], 3, v[8:9]
	v_readlane_b32 s40, v255, 23
	v_readlane_b32 s41, v255, 24
	v_add_co_u32_e32 v8, vcc, s40, v8
	v_mov_b32_e32 v10, s41
	v_addc_co_u32_e32 v9, vcc, v10, v9, vcc
	s_waitcnt lgkmcnt(2)
	v_cvt_f32_f16_sdwa v11, v4 dst_sel:DWORD dst_unused:UNUSED_PAD src0_sel:WORD_1
	v_cvt_f32_f16_e32 v10, v4
	s_waitcnt lgkmcnt(1)
	v_cvt_f32_f16_sdwa v13, v6 dst_sel:DWORD dst_unused:UNUSED_PAD src0_sel:WORD_1
	v_cvt_f32_f16_e32 v12, v6
	v_mov_b32_e32 v4, v1
	v_pk_fma_f32 v[10:11], v[0:1], v[10:11], 0 op_sel_hi:[0,1,0]
	v_accvgpr_read_b32 v1, a71
	v_pk_fma_f32 v[10:11], v[4:5], v[12:13], v[10:11] op_sel_hi:[0,1,1]
	v_cvt_f32_f16_sdwa v13, v7 dst_sel:DWORD dst_unused:UNUSED_PAD src0_sel:WORD_1
	v_cvt_f32_f16_e32 v12, v7
	v_pk_fma_f32 v[6:7], v[2:3], v[12:13], v[10:11] op_sel_hi:[0,1,1]
	s_waitcnt lgkmcnt(0)
	v_cvt_f32_f16_sdwa v11, v15 dst_sel:DWORD dst_unused:UNUSED_PAD src0_sel:WORD_1
	v_cvt_f32_f16_e32 v10, v15
	v_mov_b32_e32 v12, v3
	v_pk_fma_f32 v[6:7], v[12:13], v[10:11], v[6:7] op_sel_hi:[0,1,1]
	global_store_dwordx2 v[8:9], v[6:7], off
	ds_read2st64_b32 v[6:7], v1 offset0:33 offset1:66
	ds_read_b32 v13, v1 offset:25344
	v_ashrrev_i32_e32 v1, 31, v14
	v_add_co_u32_e32 v8, vcc, v42, v14
	v_cvt_f32_f16_sdwa v11, v5 dst_sel:DWORD dst_unused:UNUSED_PAD src0_sel:WORD_1
	v_cvt_f32_f16_e32 v10, v5
	v_addc_co_u32_e32 v9, vcc, 0, v1, vcc
	v_lshlrev_b64 v[8:9], 3, v[8:9]
	v_add_co_u32_e32 v8, vcc, s40, v8
	v_mov_b32_e32 v1, s41
	v_addc_co_u32_e32 v9, vcc, v1, v9, vcc
	v_pk_fma_f32 v[0:1], v[0:1], v[10:11], 0 op_sel_hi:[0,1,0]
	s_waitcnt lgkmcnt(1)
	v_cvt_f32_f16_sdwa v11, v6 dst_sel:DWORD dst_unused:UNUSED_PAD src0_sel:WORD_1
	v_cvt_f32_f16_e32 v10, v6
	v_pk_fma_f32 v[0:1], v[4:5], v[10:11], v[0:1] op_sel_hi:[0,1,1]
	v_cvt_f32_f16_sdwa v5, v7 dst_sel:DWORD dst_unused:UNUSED_PAD src0_sel:WORD_1
	v_cvt_f32_f16_e32 v4, v7
	v_pk_fma_f32 v[0:1], v[2:3], v[4:5], v[0:1] op_sel_hi:[0,1,1]
	s_waitcnt lgkmcnt(0)
	v_cvt_f32_f16_sdwa v3, v13 dst_sel:DWORD dst_unused:UNUSED_PAD src0_sel:WORD_1
	v_cvt_f32_f16_e32 v2, v13
	v_pk_fma_f32 v[0:1], v[12:13], v[2:3], v[0:1] op_sel_hi:[0,1,1]
	global_store_dwordx2 v[8:9], v[0:1], off offset:512
.LBB30_180:                             ;   in Loop: Header=BB30_14 Depth=1
	s_or_b64 exec, exec, s[38:39]
	s_barrier
	s_branch .LBB30_13
.LBB30_181:                             ;   in Loop: Header=BB30_14 Depth=1
	s_lshl_b32 s72, s53, 4
	v_add_u32_e32 v179, s72, v119
	v_cmp_le_i32_e32 vcc, s52, v179
	s_and_saveexec_b64 s[38:39], vcc
	s_xor_b64 s[38:39], exec, s[38:39]
	s_cbranch_execz .LBB30_183
; %bb.182:                              ;   in Loop: Header=BB30_14 Depth=1
	ds_write2st64_b32 v161, v243, v243 offset1:1
.LBB30_183:                             ;   in Loop: Header=BB30_14 Depth=1
	s_andn2_saveexec_b64 s[38:39], s[38:39]
	s_cbranch_execz .LBB30_185
; %bb.184:                              ;   in Loop: Header=BB30_14 Depth=1
	v_mad_u64_u32 v[0:1], s[40:41], v179, s86, v[42:43]
	v_ashrrev_i32_e32 v1, 31, v0
	v_lshlrev_b64 v[0:1], 3, v[0:1]
	v_mov_b32_e32 v2, s69
	v_add_co_u32_e32 v0, vcc, s68, v0
	v_addc_co_u32_e32 v1, vcc, v2, v1, vcc
	global_load_dwordx2 v[2:3], v[0:1], off
	s_nop 0
	global_load_dwordx2 v[0:1], v[0:1], off offset:512
	s_waitcnt vmcnt(1)
	v_cvt_f16_f32_e32 v2, v2
	v_cvt_f16_f32_e32 v3, v3
	s_waitcnt vmcnt(0)
	v_cvt_f16_f32_e32 v0, v0
	v_cvt_f16_f32_e32 v1, v1
	v_pack_b32_f16 v2, v2, v3
	v_pack_b32_f16 v0, v0, v1
	v_pk_mul_f16 v1, v127, v2
	v_pk_mul_f16 v0, v127, v0
	ds_write2st64_b32 v161, v1, v0 offset1:1
.LBB30_185:                             ;   in Loop: Header=BB30_14 Depth=1
	s_or_b64 exec, exec, s[38:39]
	v_add_u32_e32 v177, s72, v130
	v_cmp_le_i32_e32 vcc, s52, v177
	s_and_saveexec_b64 s[38:39], vcc
	s_xor_b64 s[38:39], exec, s[38:39]
	s_cbranch_execz .LBB30_187
; %bb.186:                              ;   in Loop: Header=BB30_14 Depth=1
	v_add_u32_e32 v0, 64, v161
	ds_write2st64_b32 v0, v243, v243 offset0:8 offset1:9
.LBB30_187:                             ;   in Loop: Header=BB30_14 Depth=1
	s_andn2_saveexec_b64 s[38:39], s[38:39]
	s_cbranch_execz .LBB30_189
; %bb.188:                              ;   in Loop: Header=BB30_14 Depth=1
	v_mad_u64_u32 v[0:1], s[40:41], v177, s86, v[42:43]
	v_ashrrev_i32_e32 v1, 31, v0
	v_lshlrev_b64 v[0:1], 3, v[0:1]
	v_mov_b32_e32 v2, s69
	v_add_co_u32_e32 v0, vcc, s68, v0
	v_addc_co_u32_e32 v1, vcc, v2, v1, vcc
	global_load_dwordx2 v[2:3], v[0:1], off
	s_nop 0
	global_load_dwordx2 v[0:1], v[0:1], off offset:512
	s_waitcnt vmcnt(1)
	v_cvt_f16_f32_e32 v2, v2
	v_cvt_f16_f32_e32 v3, v3
	s_waitcnt vmcnt(0)
	v_cvt_f16_f32_e32 v0, v0
	v_cvt_f16_f32_e32 v1, v1
	v_pack_b32_f16 v2, v2, v3
	v_pack_b32_f16 v0, v0, v1
	v_pk_mul_f16 v1, v127, v2
	v_pk_mul_f16 v0, v127, v0
	v_add_u32_e32 v2, 64, v161
	ds_write2st64_b32 v2, v1, v0 offset0:8 offset1:9
.LBB30_189:                             ;   in Loop: Header=BB30_14 Depth=1
	s_or_b64 exec, exec, s[38:39]
	v_add_u32_e32 v176, s72, v129
	v_cmp_le_i32_e32 vcc, s52, v176
	s_and_saveexec_b64 s[38:39], vcc
	s_xor_b64 s[38:39], exec, s[38:39]
	s_cbranch_execz .LBB30_191
; %bb.190:                              ;   in Loop: Header=BB30_14 Depth=1
	v_add_u32_e32 v0, 0x80, v161
	ds_write2st64_b32 v0, v243, v243 offset0:16 offset1:17
.LBB30_191:                             ;   in Loop: Header=BB30_14 Depth=1
	s_andn2_saveexec_b64 s[38:39], s[38:39]
	s_cbranch_execz .LBB30_193
; %bb.192:                              ;   in Loop: Header=BB30_14 Depth=1
	v_mad_u64_u32 v[0:1], s[40:41], v176, s86, v[42:43]
	v_ashrrev_i32_e32 v1, 31, v0
	v_lshlrev_b64 v[0:1], 3, v[0:1]
	v_mov_b32_e32 v2, s69
	v_add_co_u32_e32 v0, vcc, s68, v0
	v_addc_co_u32_e32 v1, vcc, v2, v1, vcc
	global_load_dwordx2 v[2:3], v[0:1], off
	s_nop 0
	global_load_dwordx2 v[0:1], v[0:1], off offset:512
	s_waitcnt vmcnt(1)
	v_cvt_f16_f32_e32 v2, v2
	v_cvt_f16_f32_e32 v3, v3
	s_waitcnt vmcnt(0)
	v_cvt_f16_f32_e32 v0, v0
	v_cvt_f16_f32_e32 v1, v1
	v_pack_b32_f16 v2, v2, v3
	v_pack_b32_f16 v0, v0, v1
	v_pk_mul_f16 v1, v127, v2
	v_pk_mul_f16 v0, v127, v0
	v_add_u32_e32 v2, 0x80, v161
	ds_write2st64_b32 v2, v1, v0 offset0:16 offset1:17
.LBB30_193:                             ;   in Loop: Header=BB30_14 Depth=1
	;; [unrolled: 35-line block ×3, first 2 shown]
	s_or_b64 exec, exec, s[38:39]
	s_waitcnt lgkmcnt(0)
	s_barrier
	ds_read2_b64 v[30:33], v131 offset1:4
	ds_read2_b64 v[26:29], v131 offset0:8 offset1:12
	ds_read2_b64 v[22:25], v131 offset0:16 offset1:20
	;; [unrolled: 1-line block ×7, first 2 shown]
	s_mov_b32 s42, 0
	s_cmp_lt_i32 s33, 2
	v_mov_b32_e32 v174, 0
	s_waitcnt lgkmcnt(0)
	s_barrier
	s_cbranch_scc1 .LBB30_224
; %bb.198:                              ;   in Loop: Header=BB30_14 Depth=1
	v_readlane_b32 s40, v254, 14
	v_mul_hi_u32 v0, s40, v179
	v_readlane_b32 s41, v254, 15
	v_add_u32_e32 v0, v179, v0
	v_lshrrev_b32_e32 v0, s41, v0
	v_mul_lo_u32 v0, v0, s52
	v_sub_u32_e32 v34, v179, v0
	v_mul_hi_u32 v0, s40, v177
	v_add_u32_e32 v0, v177, v0
	v_lshrrev_b32_e32 v0, s41, v0
	v_mul_lo_u32 v0, v0, s52
	v_sub_u32_e32 v35, v177, v0
	v_mul_hi_u32 v0, s40, v176
	;; [unrolled: 5-line block ×3, first 2 shown]
	v_add_u32_e32 v0, v172, v0
	v_lshrrev_b32_e32 v0, s41, v0
	v_mul_lo_u32 v0, v0, s52
	v_sub_u32_e32 v37, v172, v0
	v_and_b32_e32 v0, 64, v242
	v_add_u32_e32 v0, 64, v0
	v_xor_b32_e32 v1, 32, v242
	v_cmp_lt_i32_e32 vcc, v1, v0
	v_cndmask_b32_e32 v1, v242, v1, vcc
	v_lshlrev_b32_e32 v143, 2, v1
	v_xor_b32_e32 v1, 16, v242
	v_cmp_lt_i32_e32 vcc, v1, v0
	v_cndmask_b32_e32 v0, v242, v1, vcc
	v_lshlrev_b32_e32 v125, 2, v0
	v_accvgpr_read_b32 v0, a8
	v_mov_b32_e32 v1, s67
	v_add_co_u32_e32 v0, vcc, s66, v0
	v_readlane_b32 s40, v255, 19
	s_add_i32 s42, s33, -1
	v_addc_co_u32_e32 v1, vcc, 0, v1, vcc
	v_readlane_b32 s41, v255, 20
	s_mov_b32 s44, s40
	s_cmp_lg_u64 s[66:67], 0
	v_mad_i64_i32 v[88:89], s[40:41], s44, v37, v[0:1]
	v_mad_i64_i32 v[90:91], s[40:41], s44, v36, v[0:1]
	;; [unrolled: 1-line block ×4, first 2 shown]
	s_cselect_b64 s[38:39], -1, 0
	s_add_u32 s40, s80, s81
	s_addc_u32 s41, s79, s82
	v_accvgpr_read_b32 v1, a72
	v_mov_b32_e32 v0, s41
	v_add_co_u32_e32 v96, vcc, s40, v1
	v_accvgpr_read_b32 v1, a73
	v_addc_co_u32_e32 v1, vcc, v1, v0, vcc
	v_accvgpr_read_b32 v34, a74
	v_add_co_u32_e32 v98, vcc, s40, v34
	v_accvgpr_read_b32 v34, a75
	v_addc_co_u32_e32 v43, vcc, v34, v0, vcc
	v_accvgpr_read_b32 v34, a76
	;; [unrolled: 4-line block ×6, first 2 shown]
	v_add_co_u32_e32 v108, vcc, s40, v34
	v_addc_co_u32_e32 v99, vcc, v223, v0, vcc
	v_add_co_u32_e32 v110, vcc, s40, v224
	s_add_u32 s40, s77, s75
	v_addc_co_u32_e32 v101, vcc, v225, v0, vcc
	s_addc_u32 s8, s8, s76
	v_mov_b32_e32 v0, s8
	v_add_co_u32_e32 v112, vcc, s40, v226
	v_addc_co_u32_e32 v103, vcc, v227, v0, vcc
	v_add_co_u32_e32 v114, vcc, s40, v228
	v_addc_co_u32_e32 v105, vcc, v229, v0, vcc
	;; [unrolled: 2-line block ×7, first 2 shown]
	v_add_co_u32_e32 v126, vcc, s40, v240
	v_mov_b32_e32 v171, 0
	v_mov_b32_e32 v86, v84
	;; [unrolled: 1-line block ×3, first 2 shown]
	v_addc_co_u32_e32 v117, vcc, v241, v0, vcc
	v_mov_b32_e32 v210, 0
	v_mov_b32_e32 v211, 0xfeffffff
	s_mov_b32 s8, s42
	v_mov_b32_e32 v182, 0
	v_mov_b32_e32 v181, 0
	;; [unrolled: 1-line block ×31, first 2 shown]
	s_andn2_b64 vcc, exec, s[38:39]
	s_cbranch_vccnz .LBB30_202
.LBB30_199:                             ;   in Loop: Header=BB30_14 Depth=1
	v_mov_b32_e32 v34, 0
	v_mov_b32_e32 v35, 0
	;; [unrolled: 1-line block ×4, first 2 shown]
	s_and_saveexec_b64 s[40:41], s[4:5]
	s_cbranch_execz .LBB30_201
; %bb.200:                              ;   in Loop: Header=BB30_14 Depth=1
	flat_load_ushort v34, v[94:95]
	flat_load_ushort v35, v[92:93]
	;; [unrolled: 1-line block ×4, first 2 shown]
.LBB30_201:                             ;   in Loop: Header=BB30_14 Depth=1
	s_or_b64 exec, exec, s[40:41]
	s_waitcnt vmcnt(0) lgkmcnt(0)
	ds_write_b16 v132, v34 offset:33792
	ds_write_b16 v244, v35 offset:33792
	ds_write_b16 v245, v36 offset:33792
	ds_write_b16 v246, v37 offset:33792
.LBB30_202:                             ;   Parent Loop BB30_14 Depth=1
                                        ; =>  This Inner Loop Header: Depth=2
	v_add_co_u32_e32 v34, vcc, v112, v82
	v_addc_co_u32_e32 v35, vcc, 0, v103, vcc
	v_mov_b32_e32 v38, s37
	v_mov_b32_e32 v39, s88
	buffer_store_dword v243, off, s[0:3], 0
	buffer_store_dword v243, off, s[0:3], 0 offset:4
	buffer_store_dword v243, off, s[0:3], 0 offset:8
	buffer_store_dword v243, off, s[0:3], 0 offset:12
	v_cndmask_b32_e64 v35, v38, v35, s[6:7]
	v_cndmask_b32_e64 v34, v39, v34, s[6:7]
	flat_load_dwordx4 v[34:37], v[34:35]
	s_waitcnt vmcnt(0) lgkmcnt(0)
	ds_write_b128 v134, v[34:37]
	v_add_co_u32_e32 v34, vcc, v114, v82
	v_addc_co_u32_e32 v35, vcc, 0, v105, vcc
	v_cndmask_b32_e64 v35, v38, v35, s[54:55]
	v_cndmask_b32_e64 v34, v39, v34, s[54:55]
	flat_load_dwordx4 v[34:37], v[34:35]
	s_waitcnt vmcnt(0) lgkmcnt(0)
	ds_write_b128 v248, v[34:37]
	v_add_co_u32_e32 v34, vcc, v116, v82
	v_addc_co_u32_e32 v35, vcc, 0, v107, vcc
	;; [unrolled: 7-line block ×7, first 2 shown]
	v_cndmask_b32_e64 v35, v38, v35, s[20:21]
	v_cndmask_b32_e64 v34, v39, v34, s[20:21]
	flat_load_dwordx4 v[34:37], v[34:35]
                                        ; implicit-def: $vgpr39
	s_waitcnt vmcnt(0) lgkmcnt(0)
	ds_write_b128 v204, v[34:37]
	s_waitcnt lgkmcnt(0)
	s_barrier
	ds_read2_b64 v[34:37], v135 offset1:4
	s_waitcnt lgkmcnt(0)
	v_mfma_f32_16x16x16f16 a[0:3], v[34:35], v[30:31], 0
	v_mfma_f32_16x16x16f16 a[0:3], v[36:37], v[32:33], a[0:3]
	ds_read2_b64 v[34:37], v135 offset0:8 offset1:12
	s_waitcnt lgkmcnt(0)
	v_mfma_f32_16x16x16f16 a[0:3], v[34:35], v[26:27], a[0:3]
	v_mfma_f32_16x16x16f16 a[0:3], v[36:37], v[28:29], a[0:3]
	ds_read2_b64 v[34:37], v135 offset0:16 offset1:20
	s_waitcnt lgkmcnt(0)
	v_mfma_f32_16x16x16f16 a[0:3], v[34:35], v[22:23], a[0:3]
	v_mfma_f32_16x16x16f16 a[0:3], v[36:37], v[24:25], a[0:3]
	ds_read2_b64 v[34:37], v135 offset0:24 offset1:28
	s_waitcnt lgkmcnt(0)
	v_mfma_f32_16x16x16f16 a[0:3], v[34:35], v[18:19], a[0:3]
	v_mfma_f32_16x16x16f16 a[0:3], v[36:37], v[20:21], a[0:3]
	ds_read2_b64 v[34:37], v135 offset0:32 offset1:36
	s_waitcnt lgkmcnt(0)
	v_mfma_f32_16x16x16f16 a[0:3], v[34:35], v[14:15], a[0:3]
	v_mfma_f32_16x16x16f16 a[0:3], v[36:37], v[16:17], a[0:3]
	ds_read2_b64 v[34:37], v135 offset0:40 offset1:44
	s_waitcnt lgkmcnt(0)
	v_mfma_f32_16x16x16f16 a[0:3], v[34:35], v[10:11], a[0:3]
	v_mfma_f32_16x16x16f16 a[0:3], v[36:37], v[12:13], a[0:3]
	ds_read2_b64 v[34:37], v135 offset0:48 offset1:52
	s_waitcnt lgkmcnt(0)
	v_mfma_f32_16x16x16f16 a[0:3], v[34:35], v[6:7], a[0:3]
	v_mfma_f32_16x16x16f16 a[0:3], v[36:37], v[8:9], a[0:3]
	ds_read2_b64 v[34:37], v135 offset0:56 offset1:60
	s_waitcnt lgkmcnt(0)
	s_barrier
	v_mfma_f32_16x16x16f16 a[0:3], v[34:35], v[2:3], a[0:3]
	v_mfma_f32_16x16x16f16 a[0:3], v[36:37], v[4:5], a[0:3]
	s_nop 7
	s_nop 2
	v_accvgpr_read_b32 v38, a0
	v_cmp_nlt_f32_e64 s[40:41], |v38|, s95
	s_and_saveexec_b64 s[44:45], s[40:41]
	s_xor_b64 s[40:41], exec, s[44:45]
	s_cbranch_execz .LBB30_204
; %bb.203:                              ;   in Loop: Header=BB30_202 Depth=2
	v_add_f32_e64 v34, |v38|, |v38|
	v_mul_f32_e32 v35, 0x3fb8aa3b, v34
	v_rndne_f32_e32 v36, v35
	v_sub_f32_e32 v37, v35, v36
	v_fma_f32 v35, v34, s65, -v35
	v_fmac_f32_e32 v35, 0x32a5705f, v34
	v_add_f32_e32 v35, v37, v35
	v_cvt_i32_f32_e32 v36, v36
	v_exp_f32_e32 v35, v35
	v_cmp_ngt_f32_e32 vcc, s36, v34
	v_ldexp_f32 v35, v35, v36
	v_cndmask_b32_e32 v35, 0, v35, vcc
	v_cmp_nlt_f32_e32 vcc, s97, v34
	v_cndmask_b32_e32 v34, v180, v35, vcc
	v_add_f32_e32 v34, 1.0, v34
	v_rcp_f32_e32 v34, v34
	v_fma_f32 v39, v34, -2.0, 1.0
.LBB30_204:                             ;   in Loop: Header=BB30_202 Depth=2
	s_andn2_saveexec_b64 s[40:41], s[40:41]
; %bb.205:                              ;   in Loop: Header=BB30_202 Depth=2
	v_mul_f32_e32 v34, v38, v38
	v_mov_b32_e32 v35, 0x3ca908c9
	v_fmac_f32_e32 v35, 0xbbbac73d, v34
	v_fma_f32 v35, v34, v35, v185
	v_fma_f32 v35, v34, v35, v183
	v_fma_f32 v35, v34, v35, v178
	v_mul_f32_e64 v35, |v38|, v35
	v_fma_f32 v39, v34, v35, |v38|
; %bb.206:                              ;   in Loop: Header=BB30_202 Depth=2
	s_or_b64 exec, exec, s[40:41]
	v_accvgpr_read_b32 v37, a3
	v_accvgpr_read_b32 v35, a1
	;; [unrolled: 1-line block ×4, first 2 shown]
	v_cmp_nlt_f32_e64 s[40:41], |v35|, s95
                                        ; implicit-def: $vgpr34
	s_and_saveexec_b64 s[44:45], s[40:41]
	s_xor_b64 s[40:41], exec, s[44:45]
	s_cbranch_execz .LBB30_208
; %bb.207:                              ;   in Loop: Header=BB30_202 Depth=2
	v_add_f32_e64 v34, |v35|, |v35|
	v_mul_f32_e32 v40, 0x3fb8aa3b, v34
	v_rndne_f32_e32 v41, v40
	v_sub_f32_e32 v85, v40, v41
	v_fma_f32 v40, v34, s65, -v40
	v_fmac_f32_e32 v40, 0x32a5705f, v34
	v_add_f32_e32 v40, v85, v40
	v_cvt_i32_f32_e32 v41, v41
	v_exp_f32_e32 v40, v40
	v_cmp_ngt_f32_e32 vcc, s36, v34
	v_ldexp_f32 v40, v40, v41
	v_cndmask_b32_e32 v40, 0, v40, vcc
	v_cmp_nlt_f32_e32 vcc, s97, v34
	v_cndmask_b32_e32 v34, v180, v40, vcc
	v_add_f32_e32 v34, 1.0, v34
	v_rcp_f32_e32 v34, v34
	v_fma_f32 v34, v34, -2.0, 1.0
.LBB30_208:                             ;   in Loop: Header=BB30_202 Depth=2
	s_andn2_saveexec_b64 s[40:41], s[40:41]
; %bb.209:                              ;   in Loop: Header=BB30_202 Depth=2
	v_mul_f32_e32 v34, v35, v35
	v_mov_b32_e32 v40, 0x3ca908c9
	v_fmac_f32_e32 v40, 0xbbbac73d, v34
	v_fma_f32 v40, v34, v40, v185
	v_fma_f32 v40, v34, v40, v183
	;; [unrolled: 1-line block ×3, first 2 shown]
	v_mul_f32_e64 v40, |v35|, v40
	v_fma_f32 v34, v34, v40, |v35|
; %bb.210:                              ;   in Loop: Header=BB30_202 Depth=2
	s_or_b64 exec, exec, s[40:41]
	v_cmp_nlt_f32_e64 s[40:41], |v36|, s95
                                        ; implicit-def: $vgpr40
	s_and_saveexec_b64 s[44:45], s[40:41]
	s_xor_b64 s[40:41], exec, s[44:45]
	s_cbranch_execz .LBB30_212
; %bb.211:                              ;   in Loop: Header=BB30_202 Depth=2
	v_add_f32_e64 v40, |v36|, |v36|
	v_mul_f32_e32 v41, 0x3fb8aa3b, v40
	v_rndne_f32_e32 v85, v41
	v_sub_f32_e32 v212, v41, v85
	v_fma_f32 v41, v40, s65, -v41
	v_fmac_f32_e32 v41, 0x32a5705f, v40
	v_add_f32_e32 v41, v212, v41
	v_cvt_i32_f32_e32 v85, v85
	v_exp_f32_e32 v41, v41
	v_cmp_ngt_f32_e32 vcc, s36, v40
	v_ldexp_f32 v41, v41, v85
	v_cndmask_b32_e32 v41, 0, v41, vcc
	v_cmp_nlt_f32_e32 vcc, s97, v40
	v_cndmask_b32_e32 v40, v180, v41, vcc
	v_add_f32_e32 v40, 1.0, v40
	v_rcp_f32_e32 v40, v40
	v_fma_f32 v40, v40, -2.0, 1.0
.LBB30_212:                             ;   in Loop: Header=BB30_202 Depth=2
	s_andn2_saveexec_b64 s[40:41], s[40:41]
; %bb.213:                              ;   in Loop: Header=BB30_202 Depth=2
	v_mul_f32_e32 v40, v36, v36
	v_mov_b32_e32 v41, 0x3ca908c9
	v_fmac_f32_e32 v41, 0xbbbac73d, v40
	v_fma_f32 v41, v40, v41, v185
	v_fma_f32 v41, v40, v41, v183
	v_fma_f32 v41, v40, v41, v178
	v_mul_f32_e64 v41, |v36|, v41
	v_fma_f32 v40, v40, v41, |v36|
; %bb.214:                              ;   in Loop: Header=BB30_202 Depth=2
	s_or_b64 exec, exec, s[40:41]
	v_cmp_nlt_f32_e64 s[40:41], |v37|, s95
                                        ; implicit-def: $vgpr41
	s_and_saveexec_b64 s[44:45], s[40:41]
	s_xor_b64 s[40:41], exec, s[44:45]
	s_cbranch_execz .LBB30_216
; %bb.215:                              ;   in Loop: Header=BB30_202 Depth=2
	v_add_f32_e64 v41, |v37|, |v37|
	v_mul_f32_e32 v85, 0x3fb8aa3b, v41
	v_rndne_f32_e32 v212, v85
	v_sub_f32_e32 v213, v85, v212
	v_fma_f32 v85, v41, s65, -v85
	v_fmac_f32_e32 v85, 0x32a5705f, v41
	v_add_f32_e32 v85, v213, v85
	v_cvt_i32_f32_e32 v212, v212
	v_exp_f32_e32 v85, v85
	v_cmp_ngt_f32_e32 vcc, s36, v41
	v_ldexp_f32 v85, v85, v212
	v_cndmask_b32_e32 v85, 0, v85, vcc
	v_cmp_nlt_f32_e32 vcc, s97, v41
	v_cndmask_b32_e32 v41, v180, v85, vcc
	v_add_f32_e32 v41, 1.0, v41
	v_rcp_f32_e32 v41, v41
	v_fma_f32 v41, v41, -2.0, 1.0
.LBB30_216:                             ;   in Loop: Header=BB30_202 Depth=2
	s_andn2_saveexec_b64 s[40:41], s[40:41]
; %bb.217:                              ;   in Loop: Header=BB30_202 Depth=2
	v_mul_f32_e32 v41, v37, v37
	v_mov_b32_e32 v85, 0x3ca908c9
	v_fmac_f32_e32 v85, 0xbbbac73d, v41
	v_fma_f32 v85, v41, v85, v185
	v_fma_f32 v85, v41, v85, v183
	;; [unrolled: 1-line block ×3, first 2 shown]
	v_mul_f32_e64 v85, |v37|, v85
	v_fma_f32 v41, v41, v85, |v37|
; %bb.218:                              ;   in Loop: Header=BB30_202 Depth=2
	s_or_b64 exec, exec, s[40:41]
	v_bfi_b32 v34, s89, v34, v35
	v_bfi_b32 v38, s89, v39, v38
	v_mul_f32_e32 v39, s93, v34
	v_bfi_b32 v34, s89, v40, v36
	v_mul_f32_e32 v40, s93, v34
	;; [unrolled: 2-line block ×3, first 2 shown]
	v_mul_f32_e32 v41, s93, v34
	s_and_b64 vcc, exec, s[38:39]
	s_cbranch_vccz .LBB30_223
; %bb.219:                              ;   in Loop: Header=BB30_202 Depth=2
	v_add_u32_e32 v34, 0x8400, v136
	ds_read2_b32 v[34:35], v34 offset1:1
	v_mov_b32_e32 v85, v84
	s_waitcnt lgkmcnt(0)
	v_cvt_f32_f16_e32 v212, v34
	v_cvt_f32_f16_e32 v36, v35
	v_cvt_f32_f16_sdwa v37, v35 dst_sel:DWORD dst_unused:UNUSED_PAD src0_sel:WORD_1
	v_cvt_f32_f16_sdwa v213, v34 dst_sel:DWORD dst_unused:UNUSED_PAD src0_sel:WORD_1
	v_pk_fma_f32 v[36:37], v[84:85], v[36:37], v[40:41]
	v_pk_fma_f32 v[34:35], v[86:87], v[212:213], v[38:39]
	s_cbranch_execnz .LBB30_221
.LBB30_220:                             ;   in Loop: Header=BB30_202 Depth=2
	v_pk_mov_b32 v[34:35], v[38:39], v[38:39] op_sel:[0,1]
	v_pk_mov_b32 v[36:37], v[40:41], v[40:41] op_sel:[0,1]
.LBB30_221:                             ;   in Loop: Header=BB30_202 Depth=2
	v_add_f32_e32 v38, 0x40051340, v34
	v_max_f32_e32 v39, v211, v211
	v_max_f32_e32 v38, v39, v38
	v_cndmask_b32_e64 v38, v211, v38, s[22:23]
	v_add_f32_e32 v39, 0x40051340, v35
	v_max_f32_e32 v40, v38, v38
	v_max_f32_e32 v39, v40, v39
	v_cndmask_b32_e64 v38, v38, v39, s[24:25]
	;; [unrolled: 4-line block ×4, first 2 shown]
	ds_bpermute_b32 v39, v143, v38
	v_max_f32_e32 v38, v38, v38
	v_cndmask_b32_e64 v36, v36, v36, s[24:25]
	v_cndmask_b32_e64 v37, v37, v37, s[24:25]
	buffer_store_dword v243, off, s[0:3], 0
	buffer_store_dword v243, off, s[0:3], 0 offset:4
	buffer_store_dword v243, off, s[0:3], 0 offset:8
	;; [unrolled: 1-line block ×3, first 2 shown]
	s_waitcnt lgkmcnt(0)
	v_max_f32_e32 v39, v39, v39
	v_max_f32_e32 v38, v38, v39
	ds_bpermute_b32 v39, v125, v38
	v_add_u32_e32 v222, v137, v157
	s_add_i32 s8, s8, -1
	s_cmp_lg_u32 s8, 0
	s_waitcnt lgkmcnt(0)
	v_max_f32_e32 v39, v39, v39
	v_max_f32_e32 v38, v38, v39
	v_sub_f32_e32 v34, v34, v38
	v_mul_f32_e32 v39, 0x3fb8aa3b, v34
	v_fma_f32 v40, v34, s65, -v39
	v_rndne_f32_e32 v41, v39
	v_fmac_f32_e32 v40, 0x32a5705f, v34
	v_sub_f32_e32 v39, v39, v41
	v_add_f32_e32 v39, v39, v40
	v_exp_f32_e32 v39, v39
	v_cvt_i32_f32_e32 v40, v41
	v_cmp_ngt_f32_e32 vcc, s36, v34
	v_sub_f32_e32 v35, v35, v38
	v_sub_f32_e32 v36, v36, v38
	v_ldexp_f32 v39, v39, v40
	v_cndmask_b32_e32 v39, 0, v39, vcc
	v_cmp_nlt_f32_e32 vcc, s97, v34
	v_cndmask_b32_e32 v34, v180, v39, vcc
	v_mul_f32_e32 v39, 0x3fb8aa3b, v35
	v_fma_f32 v40, v35, s65, -v39
	v_rndne_f32_e32 v41, v39
	v_fmac_f32_e32 v40, 0x32a5705f, v35
	v_sub_f32_e32 v39, v39, v41
	v_add_f32_e32 v39, v39, v40
	v_exp_f32_e32 v39, v39
	v_cvt_i32_f32_e32 v40, v41
	v_cmp_ngt_f32_e32 vcc, s36, v35
	v_cndmask_b32_e64 v34, 0, v34, s[22:23]
	v_ldexp_f32 v39, v39, v40
	v_cndmask_b32_e32 v39, 0, v39, vcc
	v_cmp_nlt_f32_e32 vcc, s97, v35
	v_cndmask_b32_e32 v39, v180, v39, vcc
	v_mov_b32_e32 v35, s9
	v_add_f32_e32 v40, v39, v34
	v_cndmask_b32_e64 v218, v35, v39, s[24:25]
	v_mul_f32_e32 v39, 0x3fb8aa3b, v36
	v_cndmask_b32_e64 v35, v34, v40, s[24:25]
	v_fma_f32 v40, v36, s65, -v39
	v_rndne_f32_e32 v41, v39
	v_fmac_f32_e32 v40, 0x32a5705f, v36
	v_sub_f32_e32 v39, v39, v41
	v_add_f32_e32 v39, v39, v40
	v_exp_f32_e32 v39, v39
	v_cvt_i32_f32_e32 v40, v41
	v_cmp_ngt_f32_e32 vcc, s36, v36
	v_cvt_f16_f32_e32 v34, v34
	v_ldexp_f32 v39, v39, v40
	v_cndmask_b32_e32 v39, 0, v39, vcc
	v_cmp_nlt_f32_e32 vcc, s97, v36
	v_cndmask_b32_e32 v39, v180, v39, vcc
	v_add_f32_e32 v40, v35, v39
	v_mov_b32_e32 v36, s9
	v_cndmask_b32_e64 v219, v36, v39, s[26:27]
	v_cndmask_b32_e64 v36, v35, v40, s[26:27]
	v_sub_f32_e32 v35, v37, v38
	v_mul_f32_e32 v37, 0x3fb8aa3b, v35
	v_fma_f32 v39, v35, s65, -v37
	v_rndne_f32_e32 v40, v37
	v_fmac_f32_e32 v39, 0x32a5705f, v35
	v_sub_f32_e32 v37, v37, v40
	v_add_f32_e32 v37, v37, v39
	v_exp_f32_e32 v37, v37
	v_cvt_i32_f32_e32 v39, v40
	v_cmp_ngt_f32_e32 vcc, s36, v35
	v_ldexp_f32 v37, v37, v39
	v_cndmask_b32_e32 v37, 0, v37, vcc
	v_cmp_nlt_f32_e32 vcc, s97, v35
	v_cndmask_b32_e32 v37, v180, v37, vcc
	v_mov_b32_e32 v35, s9
	v_add_f32_e32 v39, v36, v37
	v_cndmask_b32_e64 v35, v35, v37, s[28:29]
	v_sub_f32_e32 v37, v211, v38
	v_cndmask_b32_e64 v36, v36, v39, s[28:29]
	v_mul_f32_e32 v39, 0x3fb8aa3b, v37
	v_fma_f32 v40, v37, s65, -v39
	v_rndne_f32_e32 v41, v39
	v_fmac_f32_e32 v40, 0x32a5705f, v37
	v_sub_f32_e32 v39, v39, v41
	v_add_f32_e32 v39, v39, v40
	v_exp_f32_e32 v39, v39
	v_cvt_i32_f32_e32 v40, v41
	v_cmp_ngt_f32_e32 vcc, s36, v37
	v_cvt_f16_f32_e32 v35, v35
	v_ldexp_f32 v39, v39, v40
	v_cndmask_b32_e32 v39, 0, v39, vcc
	v_cmp_nlt_f32_e32 vcc, s97, v37
	v_cndmask_b32_e32 v39, v180, v39, vcc
	v_cmp_le_f32_e32 vcc, s94, v37
	v_cndmask_b32_e32 v37, 0, v39, vcc
	v_fmac_f32_e32 v36, v210, v37
	v_cvt_f16_f32_e32 v37, v37
	v_pk_mul_f16 v40, v37, v49 op_sel_hi:[0,1]
	v_cvt_f16_f32_e32 v49, v218
	v_pk_mul_f16 v211, v37, v44 op_sel_hi:[0,1]
	v_pk_mul_f16 v44, v37, v123 op_sel_hi:[0,1]
	;; [unrolled: 1-line block ×3, first 2 shown]
	v_pack_b32_f16 v34, v34, v49
	v_cvt_f16_f32_e32 v49, v219
	v_pk_mul_f16 v0, v37, v140 op_sel_hi:[0,1]
	v_mov_b32_e32 v140, s37
	v_pk_mul_f16 v39, v37, v171 op_sel_hi:[0,1]
	v_pack_b32_f16 v35, v49, v35
	v_add_co_u32_e32 v49, vcc, v96, v82
	v_addc_co_u32_e32 v123, vcc, 0, v1, vcc
	v_cndmask_b32_e64 v171, v140, v123, s[6:7]
	v_mov_b32_e32 v123, s88
	v_pk_mul_f16 v212, v37, v121 op_sel_hi:[0,1]
	v_pk_mul_f16 v121, v37, v170 op_sel_hi:[0,1]
	v_cndmask_b32_e64 v170, v123, v49, s[6:7]
	flat_load_dwordx4 v[218:221], v[170:171]
	v_add_co_u32_e32 v49, vcc, v98, v82
	v_pk_mul_f16 v213, v37, v144 op_sel_hi:[0,1]
	v_pk_mul_f16 v144, v37, v145 op_sel_hi:[0,1]
	v_addc_co_u32_e32 v145, vcc, 0, v43, vcc
	v_cndmask_b32_e64 v171, v140, v145, s[54:55]
	v_cndmask_b32_e64 v170, v123, v49, s[54:55]
	v_add_co_u32_e32 v49, vcc, v100, v82
	v_addc_co_u32_e32 v145, vcc, 0, v45, vcc
	v_pk_mul_f16 v217, v37, v153 op_sel_hi:[0,1]
	v_pk_mul_f16 v153, v37, v174 op_sel_hi:[0,1]
	;; [unrolled: 1-line block ×22, first 2 shown]
	v_add_u32_e32 v182, v137, v156
	s_waitcnt vmcnt(0) lgkmcnt(0)
	ds_write_b128 v134, v[218:221]
	flat_load_dwordx4 v[218:221], v[170:171]
	v_cndmask_b32_e64 v171, v140, v145, s[10:11]
	v_cndmask_b32_e64 v170, v123, v49, s[10:11]
	v_add_co_u32_e32 v49, vcc, v102, v82
	v_addc_co_u32_e32 v145, vcc, 0, v47, vcc
	s_waitcnt vmcnt(0) lgkmcnt(0)
	ds_write_b128 v248, v[218:221]
	flat_load_dwordx4 v[218:221], v[170:171]
	v_cndmask_b32_e64 v171, v140, v145, s[12:13]
	v_cndmask_b32_e64 v170, v123, v49, s[12:13]
	v_add_co_u32_e32 v49, vcc, v104, v82
	v_addc_co_u32_e32 v145, vcc, 0, v83, vcc
	;; [unrolled: 7-line block ×5, first 2 shown]
	v_add_co_u32_e32 v88, vcc, s96, v88
	v_addc_co_u32_e32 v89, vcc, 0, v89, vcc
	v_add_co_u32_e32 v90, vcc, s96, v90
	v_addc_co_u32_e32 v91, vcc, 0, v91, vcc
	;; [unrolled: 2-line block ×4, first 2 shown]
	v_add_co_u32_e32 v96, vcc, s90, v96
	s_waitcnt vmcnt(0) lgkmcnt(0)
	ds_write_b128 v209, v[218:221]
	flat_load_dwordx4 v[218:221], v[170:171]
	v_cndmask_b32_e64 v171, v140, v145, s[20:21]
	v_cndmask_b32_e64 v170, v123, v49, s[20:21]
	s_waitcnt vmcnt(0) lgkmcnt(0)
	ds_write_b128 v208, v[218:221]
	flat_load_dwordx4 v[218:221], v[170:171]
	s_waitcnt vmcnt(0) lgkmcnt(0)
	ds_write_b128 v204, v[218:221]
	s_waitcnt lgkmcnt(0)
	s_barrier
	ds_read_u16 v49, v158 offset:1056
	ds_read_u16 v123, v222
	ds_read_u16 v140, v222 offset:32
	v_cvt_f32_f16_e32 v218, v217
	v_cvt_f32_f16_sdwa v219, v217 dst_sel:DWORD dst_unused:UNUSED_PAD src0_sel:WORD_1
	v_cvt_f32_f16_e32 v220, v153
	s_waitcnt lgkmcnt(1)
	v_perm_b32 v171, v123, v49, s64
	ds_read_u16 v49, v138
	ds_read_u16 v123, v138 offset:32
	ds_read_u16 v145, v182 offset:528
	;; [unrolled: 1-line block ×3, first 2 shown]
	v_cvt_f32_f16_sdwa v221, v153 dst_sel:DWORD dst_unused:UNUSED_PAD src0_sel:WORD_1
	v_accvgpr_write_b32 a0, v218
	v_accvgpr_write_b32 a1, v219
	s_waitcnt lgkmcnt(1)
	v_perm_b32 v170, v145, v49, s64
	v_accvgpr_write_b32 a2, v220
	v_accvgpr_write_b32 a3, v221
	v_cvt_f32_f16_e32 v218, v154
	v_cvt_f32_f16_sdwa v219, v154 dst_sel:DWORD dst_unused:UNUSED_PAD src0_sel:WORD_1
	v_mfma_f32_16x16x16f16 a[0:3], v[170:171], v[34:35], a[0:3]
	v_cvt_f32_f16_e32 v220, v152
	v_cvt_f32_f16_sdwa v221, v152 dst_sel:DWORD dst_unused:UNUSED_PAD src0_sel:WORD_1
	s_waitcnt lgkmcnt(0)
	v_perm_b32 v170, v147, v123, s64
	v_cvt_f32_f16_sdwa v217, v215 dst_sel:DWORD dst_unused:UNUSED_PAD src0_sel:WORD_1
	s_nop 5
	v_accvgpr_read_b32 v49, a0
	v_accvgpr_read_b32 v145, a1
	v_cvt_f16_f32_e32 v49, v49
	v_cvt_f16_f32_e32 v145, v145
	v_accvgpr_read_b32 v149, a2
	v_accvgpr_read_b32 v151, a3
	v_accvgpr_write_b32 a0, v218
	v_pack_b32_f16 v153, v49, v145
	ds_read_u16 v49, v199 offset:1056
	v_accvgpr_write_b32 a1, v219
	v_accvgpr_write_b32 a2, v220
	;; [unrolled: 1-line block ×3, first 2 shown]
	v_cvt_f16_f32_e32 v149, v149
	s_waitcnt lgkmcnt(0)
	v_perm_b32 v171, v140, v49, s64
	v_cvt_f16_f32_e32 v151, v151
	v_cvt_f32_f16_e32 v218, v216
	v_mfma_f32_16x16x16f16 a[0:3], v[170:171], v[34:35], a[0:3]
	v_pack_b32_f16 v174, v149, v151
	v_cvt_f32_f16_sdwa v219, v216 dst_sel:DWORD dst_unused:UNUSED_PAD src0_sel:WORD_1
	v_cvt_f32_f16_e32 v220, v150
	v_cvt_f32_f16_sdwa v221, v150 dst_sel:DWORD dst_unused:UNUSED_PAD src0_sel:WORD_1
	v_cvt_f32_f16_e32 v216, v215
	v_cvt_f32_f16_sdwa v215, v173 dst_sel:DWORD dst_unused:UNUSED_PAD src0_sel:WORD_1
	s_nop 4
	v_accvgpr_read_b32 v49, a0
	v_accvgpr_read_b32 v123, a1
	;; [unrolled: 1-line block ×4, first 2 shown]
	v_cvt_f16_f32_e32 v49, v49
	v_cvt_f16_f32_e32 v123, v123
	;; [unrolled: 1-line block ×4, first 2 shown]
	v_accvgpr_write_b32 a0, v218
	v_pack_b32_f16 v154, v49, v123
	v_accvgpr_write_b32 a1, v219
	v_pack_b32_f16 v152, v140, v145
	ds_read_u16 v49, v138 offset:64
	ds_read_u16 v123, v182 offset:592
	;; [unrolled: 1-line block ×4, first 2 shown]
	v_accvgpr_write_b32 a2, v220
	v_accvgpr_write_b32 a3, v221
	s_waitcnt lgkmcnt(2)
	v_perm_b32 v150, v123, v49, s64
	v_cvt_f32_f16_e32 v218, v148
	s_waitcnt lgkmcnt(0)
	v_perm_b32 v151, v145, v140, s64
	v_cvt_f32_f16_sdwa v219, v148 dst_sel:DWORD dst_unused:UNUSED_PAD src0_sel:WORD_1
	s_nop 0
	v_mfma_f32_16x16x16f16 a[0:3], v[150:151], v[34:35], a[0:3]
	s_nop 7
	s_nop 2
	v_accvgpr_read_b32 v49, a0
	v_accvgpr_read_b32 v123, a1
	;; [unrolled: 1-line block ×4, first 2 shown]
	v_cvt_f16_f32_e32 v49, v49
	v_cvt_f16_f32_e32 v123, v123
	;; [unrolled: 1-line block ×4, first 2 shown]
	v_accvgpr_write_b32 a0, v216
	v_pack_b32_f16 v150, v49, v123
	v_accvgpr_write_b32 a1, v217
	v_pack_b32_f16 v151, v140, v145
	ds_read_u16 v49, v138 offset:96
	ds_read_u16 v123, v182 offset:624
	;; [unrolled: 1-line block ×4, first 2 shown]
	v_accvgpr_write_b32 a2, v218
	v_accvgpr_write_b32 a3, v219
	s_waitcnt lgkmcnt(2)
	v_perm_b32 v148, v123, v49, s64
	v_cvt_f32_f16_e32 v216, v214
	s_waitcnt lgkmcnt(0)
	v_perm_b32 v149, v145, v140, s64
	v_cvt_f32_f16_sdwa v217, v214 dst_sel:DWORD dst_unused:UNUSED_PAD src0_sel:WORD_1
	v_cvt_f32_f16_e32 v218, v146
	v_mfma_f32_16x16x16f16 a[0:3], v[148:149], v[34:35], a[0:3]
	v_cvt_f32_f16_sdwa v219, v146 dst_sel:DWORD dst_unused:UNUSED_PAD src0_sel:WORD_1
	v_cvt_f32_f16_e32 v214, v173
	s_nop 7
	s_nop 0
	v_accvgpr_read_b32 v49, a0
	v_accvgpr_read_b32 v123, a1
	;; [unrolled: 1-line block ×4, first 2 shown]
	v_cvt_f16_f32_e32 v49, v49
	v_cvt_f16_f32_e32 v123, v123
	v_cvt_f16_f32_e32 v140, v140
	v_cvt_f16_f32_e32 v145, v145
	v_accvgpr_write_b32 a0, v216
	v_pack_b32_f16 v148, v49, v123
	v_accvgpr_write_b32 a1, v217
	v_pack_b32_f16 v149, v140, v145
	ds_read_u16 v49, v138 offset:128
	ds_read_u16 v123, v182 offset:656
	;; [unrolled: 1-line block ×4, first 2 shown]
	v_accvgpr_write_b32 a2, v218
	v_accvgpr_write_b32 a3, v219
	s_waitcnt lgkmcnt(2)
	v_perm_b32 v146, v123, v49, s64
	v_cvt_f32_f16_e32 v216, v169
	s_waitcnt lgkmcnt(0)
	v_perm_b32 v147, v145, v140, s64
	v_cvt_f32_f16_sdwa v217, v169 dst_sel:DWORD dst_unused:UNUSED_PAD src0_sel:WORD_1
	s_nop 0
	v_mfma_f32_16x16x16f16 a[0:3], v[146:147], v[34:35], a[0:3]
	s_nop 7
	s_nop 2
	v_accvgpr_read_b32 v49, a0
	v_accvgpr_read_b32 v123, a1
	;; [unrolled: 1-line block ×4, first 2 shown]
	v_cvt_f16_f32_e32 v49, v49
	v_cvt_f16_f32_e32 v123, v123
	;; [unrolled: 1-line block ×4, first 2 shown]
	v_accvgpr_write_b32 a0, v214
	v_pack_b32_f16 v146, v49, v123
	v_accvgpr_write_b32 a1, v215
	v_pack_b32_f16 v147, v140, v145
	ds_read_u16 v49, v138 offset:160
	ds_read_u16 v123, v182 offset:688
	;; [unrolled: 1-line block ×4, first 2 shown]
	v_accvgpr_write_b32 a2, v216
	v_accvgpr_write_b32 a3, v217
	s_waitcnt lgkmcnt(2)
	v_perm_b32 v170, v123, v49, s64
	v_cvt_f32_f16_e32 v214, v213
	s_waitcnt lgkmcnt(0)
	v_perm_b32 v171, v145, v140, s64
	v_cvt_f32_f16_sdwa v215, v213 dst_sel:DWORD dst_unused:UNUSED_PAD src0_sel:WORD_1
	v_cvt_f32_f16_e32 v216, v144
	v_mfma_f32_16x16x16f16 a[0:3], v[170:171], v[34:35], a[0:3]
	v_cvt_f32_f16_sdwa v217, v144 dst_sel:DWORD dst_unused:UNUSED_PAD src0_sel:WORD_1
	v_cvt_f32_f16_sdwa v213, v168 dst_sel:DWORD dst_unused:UNUSED_PAD src0_sel:WORD_1
	s_nop 7
	s_nop 0
	v_accvgpr_read_b32 v49, a0
	v_accvgpr_read_b32 v123, a1
	;; [unrolled: 1-line block ×4, first 2 shown]
	v_cvt_f16_f32_e32 v49, v49
	v_cvt_f16_f32_e32 v123, v123
	;; [unrolled: 1-line block ×4, first 2 shown]
	v_accvgpr_write_b32 a0, v214
	v_pack_b32_f16 v173, v49, v123
	v_accvgpr_write_b32 a1, v215
	v_pack_b32_f16 v169, v140, v145
	ds_read_u16 v49, v138 offset:192
	ds_read_u16 v123, v182 offset:720
	;; [unrolled: 1-line block ×4, first 2 shown]
	v_accvgpr_write_b32 a2, v216
	v_accvgpr_write_b32 a3, v217
	s_waitcnt lgkmcnt(2)
	v_perm_b32 v144, v123, v49, s64
	v_cvt_f32_f16_e32 v214, v166
	s_waitcnt lgkmcnt(0)
	v_perm_b32 v145, v145, v140, s64
	v_cvt_f32_f16_sdwa v215, v166 dst_sel:DWORD dst_unused:UNUSED_PAD src0_sel:WORD_1
	v_cvt_f32_f16_e32 v216, v142
	v_mfma_f32_16x16x16f16 a[0:3], v[144:145], v[34:35], a[0:3]
	v_cvt_f32_f16_sdwa v217, v142 dst_sel:DWORD dst_unused:UNUSED_PAD src0_sel:WORD_1
	s_nop 7
	s_nop 1
	v_accvgpr_read_b32 v49, a0
	v_accvgpr_read_b32 v123, a1
	;; [unrolled: 1-line block ×4, first 2 shown]
	v_cvt_f16_f32_e32 v49, v49
	v_cvt_f16_f32_e32 v123, v123
	;; [unrolled: 1-line block ×4, first 2 shown]
	v_accvgpr_write_b32 a0, v214
	v_pack_b32_f16 v144, v49, v123
	v_accvgpr_write_b32 a1, v215
	v_pack_b32_f16 v145, v140, v145
	ds_read_u16 v49, v138 offset:224
	ds_read_u16 v123, v182 offset:752
	;; [unrolled: 1-line block ×4, first 2 shown]
	v_accvgpr_write_b32 a2, v216
	v_accvgpr_write_b32 a3, v217
	s_waitcnt lgkmcnt(2)
	v_perm_b32 v170, v123, v49, s64
	v_cvt_f32_f16_e32 v214, v212
	s_waitcnt lgkmcnt(0)
	v_perm_b32 v171, v165, v140, s64
	v_cvt_f32_f16_sdwa v215, v212 dst_sel:DWORD dst_unused:UNUSED_PAD src0_sel:WORD_1
	v_cvt_f32_f16_e32 v216, v121
	v_mfma_f32_16x16x16f16 a[0:3], v[170:171], v[34:35], a[0:3]
	v_cvt_f32_f16_sdwa v217, v121 dst_sel:DWORD dst_unused:UNUSED_PAD src0_sel:WORD_1
	v_cvt_f32_f16_e32 v212, v168
	s_nop 7
	s_nop 0
	v_accvgpr_read_b32 v49, a0
	v_accvgpr_read_b32 v123, a1
	;; [unrolled: 1-line block ×4, first 2 shown]
	v_cvt_f16_f32_e32 v49, v49
	v_cvt_f16_f32_e32 v123, v123
	;; [unrolled: 1-line block ×4, first 2 shown]
	v_accvgpr_write_b32 a0, v214
	v_pack_b32_f16 v166, v49, v123
	v_accvgpr_write_b32 a1, v215
	v_pack_b32_f16 v142, v140, v142
	ds_read_u16 v49, v138 offset:256
	ds_read_u16 v123, v182 offset:784
	;; [unrolled: 1-line block ×4, first 2 shown]
	v_accvgpr_write_b32 a2, v216
	v_accvgpr_write_b32 a3, v217
	s_waitcnt lgkmcnt(2)
	v_perm_b32 v170, v123, v49, s64
	v_cvt_f32_f16_e32 v214, v141
	s_waitcnt lgkmcnt(0)
	v_perm_b32 v171, v165, v140, s64
	v_cvt_f32_f16_sdwa v215, v141 dst_sel:DWORD dst_unused:UNUSED_PAD src0_sel:WORD_1
	s_nop 0
	v_mfma_f32_16x16x16f16 a[0:3], v[170:171], v[34:35], a[0:3]
	s_nop 7
	s_nop 2
	v_accvgpr_read_b32 v49, a0
	v_accvgpr_read_b32 v121, a1
	;; [unrolled: 1-line block ×4, first 2 shown]
	v_cvt_f16_f32_e32 v49, v49
	v_cvt_f16_f32_e32 v121, v121
	;; [unrolled: 1-line block ×4, first 2 shown]
	v_accvgpr_write_b32 a0, v212
	v_pack_b32_f16 v121, v49, v121
	v_accvgpr_write_b32 a1, v213
	v_pack_b32_f16 v170, v123, v140
	ds_read_u16 v49, v138 offset:288
	ds_read_u16 v123, v182 offset:816
	;; [unrolled: 1-line block ×4, first 2 shown]
	v_accvgpr_write_b32 a2, v214
	v_accvgpr_write_b32 a3, v215
	v_cvt_f32_f16_e32 v212, v211
	v_cvt_f32_f16_sdwa v213, v211 dst_sel:DWORD dst_unused:UNUSED_PAD src0_sel:WORD_1
	s_waitcnt lgkmcnt(0)
	v_perm_b32 v141, v165, v140, s64
	v_perm_b32 v140, v123, v49, s64
	v_cvt_f32_f16_e32 v214, v44
	v_cvt_f32_f16_sdwa v215, v44 dst_sel:DWORD dst_unused:UNUSED_PAD src0_sel:WORD_1
	v_mfma_f32_16x16x16f16 a[0:3], v[140:141], v[34:35], a[0:3]
	s_nop 7
	s_nop 2
	v_accvgpr_read_b32 v49, a0
	v_accvgpr_read_b32 v123, a1
	;; [unrolled: 1-line block ×4, first 2 shown]
	v_cvt_f16_f32_e32 v49, v49
	v_cvt_f16_f32_e32 v123, v123
	;; [unrolled: 1-line block ×4, first 2 shown]
	v_accvgpr_write_b32 a0, v212
	v_pack_b32_f16 v168, v49, v123
	v_accvgpr_write_b32 a1, v213
	v_pack_b32_f16 v141, v140, v141
	ds_read_u16 v49, v138 offset:320
	ds_read_u16 v123, v182 offset:848
	;; [unrolled: 1-line block ×4, first 2 shown]
	v_accvgpr_write_b32 a2, v214
	v_accvgpr_write_b32 a3, v215
	s_waitcnt lgkmcnt(2)
	v_perm_b32 v216, v123, v49, s64
	v_cvt_f32_f16_e32 v212, v167
	s_waitcnt lgkmcnt(0)
	v_perm_b32 v217, v165, v140, s64
	v_cvt_f32_f16_sdwa v213, v167 dst_sel:DWORD dst_unused:UNUSED_PAD src0_sel:WORD_1
	v_cvt_f32_f16_e32 v214, v163
	v_mfma_f32_16x16x16f16 a[0:3], v[216:217], v[34:35], a[0:3]
	v_cvt_f32_f16_sdwa v215, v163 dst_sel:DWORD dst_unused:UNUSED_PAD src0_sel:WORD_1
	s_nop 7
	s_nop 1
	v_accvgpr_read_b32 v44, a0
	v_accvgpr_read_b32 v49, a1
	;; [unrolled: 1-line block ×4, first 2 shown]
	v_cvt_f16_f32_e32 v44, v44
	v_cvt_f16_f32_e32 v49, v49
	;; [unrolled: 1-line block ×4, first 2 shown]
	v_accvgpr_write_b32 a0, v212
	v_pack_b32_f16 v44, v44, v49
	v_accvgpr_write_b32 a1, v213
	v_pack_b32_f16 v123, v123, v140
	ds_read_u16 v49, v138 offset:352
	ds_read_u16 v140, v182 offset:880
	;; [unrolled: 1-line block ×4, first 2 shown]
	v_accvgpr_write_b32 a2, v214
	v_accvgpr_write_b32 a3, v215
	s_waitcnt lgkmcnt(2)
	v_perm_b32 v216, v140, v49, s64
	v_cvt_f32_f16_e32 v212, v210
	s_waitcnt lgkmcnt(0)
	v_perm_b32 v217, v171, v165, s64
	v_cvt_f32_f16_sdwa v213, v210 dst_sel:DWORD dst_unused:UNUSED_PAD src0_sel:WORD_1
	v_cvt_f32_f16_e32 v214, v0
	v_mfma_f32_16x16x16f16 a[0:3], v[216:217], v[34:35], a[0:3]
	v_cvt_f32_f16_sdwa v215, v0 dst_sel:DWORD dst_unused:UNUSED_PAD src0_sel:WORD_1
	s_nop 7
	s_nop 1
	v_accvgpr_read_b32 v49, a0
	v_accvgpr_read_b32 v140, a1
	;; [unrolled: 1-line block ×4, first 2 shown]
	v_cvt_f16_f32_e32 v49, v49
	v_cvt_f16_f32_e32 v140, v140
	;; [unrolled: 1-line block ×4, first 2 shown]
	v_accvgpr_write_b32 a0, v212
	v_pack_b32_f16 v167, v49, v140
	v_accvgpr_write_b32 a1, v213
	v_pack_b32_f16 v163, v163, v165
	ds_read_u16 v49, v138 offset:384
	ds_read_u16 v140, v182 offset:912
	;; [unrolled: 1-line block ×4, first 2 shown]
	v_accvgpr_write_b32 a2, v214
	v_accvgpr_write_b32 a3, v215
	s_waitcnt lgkmcnt(2)
	v_perm_b32 v210, v140, v49, s64
	v_cvt_f32_f16_e32 v212, v48
	s_waitcnt lgkmcnt(0)
	v_perm_b32 v211, v171, v165, s64
	v_cvt_f32_f16_sdwa v213, v48 dst_sel:DWORD dst_unused:UNUSED_PAD src0_sel:WORD_1
	s_nop 0
	v_mfma_f32_16x16x16f16 a[0:3], v[210:211], v[34:35], a[0:3]
	v_cvt_f32_f16_e32 v210, v85
	v_cvt_f32_f16_sdwa v211, v85 dst_sel:DWORD dst_unused:UNUSED_PAD src0_sel:WORD_1
	s_nop 7
	s_nop 0
	v_accvgpr_read_b32 v0, a0
	v_accvgpr_read_b32 v49, a1
	;; [unrolled: 1-line block ×4, first 2 shown]
	v_cvt_f16_f32_e32 v0, v0
	v_cvt_f16_f32_e32 v49, v49
	;; [unrolled: 1-line block ×4, first 2 shown]
	v_accvgpr_write_b32 a0, v210
	v_pack_b32_f16 v0, v0, v49
	v_accvgpr_write_b32 a1, v211
	v_pack_b32_f16 v140, v140, v165
	ds_read_u16 v165, v138 offset:416
	ds_read_u16 v171, v182 offset:944
	;; [unrolled: 1-line block ×4, first 2 shown]
	v_accvgpr_write_b32 a2, v212
	v_accvgpr_write_b32 a3, v213
	s_waitcnt lgkmcnt(2)
	v_perm_b32 v48, v171, v165, s64
	v_cvt_f32_f16_e32 v210, v41
	s_waitcnt lgkmcnt(0)
	v_perm_b32 v49, v181, v49, s64
	v_cvt_f32_f16_sdwa v211, v41 dst_sel:DWORD dst_unused:UNUSED_PAD src0_sel:WORD_1
	v_cvt_f32_f16_e32 v212, v40
	v_mfma_f32_16x16x16f16 a[0:3], v[48:49], v[34:35], a[0:3]
	v_cvt_f32_f16_sdwa v213, v40 dst_sel:DWORD dst_unused:UNUSED_PAD src0_sel:WORD_1
	s_nop 7
	s_nop 1
	v_accvgpr_read_b32 v48, a0
	v_accvgpr_read_b32 v49, a1
	;; [unrolled: 1-line block ×4, first 2 shown]
	v_cvt_f16_f32_e32 v48, v48
	v_cvt_f16_f32_e32 v49, v49
	v_cvt_f16_f32_e32 v85, v85
	v_cvt_f16_f32_e32 v165, v165
	v_accvgpr_write_b32 a0, v210
	v_pack_b32_f16 v48, v48, v49
	v_accvgpr_write_b32 a1, v211
	v_pack_b32_f16 v165, v85, v165
	ds_read_u16 v49, v138 offset:448
	ds_read_u16 v85, v182 offset:976
	;; [unrolled: 1-line block ×4, first 2 shown]
	v_accvgpr_write_b32 a2, v212
	v_accvgpr_write_b32 a3, v213
	s_waitcnt lgkmcnt(2)
	v_perm_b32 v40, v85, v49, s64
	v_cvt_f32_f16_e32 v210, v39
	s_waitcnt lgkmcnt(0)
	v_perm_b32 v41, v181, v171, s64
	v_cvt_f32_f16_sdwa v211, v39 dst_sel:DWORD dst_unused:UNUSED_PAD src0_sel:WORD_1
	v_cvt_f32_f16_e32 v212, v37
	v_mfma_f32_16x16x16f16 a[0:3], v[40:41], v[34:35], a[0:3]
	v_cvt_f32_f16_sdwa v213, v37 dst_sel:DWORD dst_unused:UNUSED_PAD src0_sel:WORD_1
	s_nop 7
	s_nop 1
	v_accvgpr_read_b32 v40, a0
	v_accvgpr_read_b32 v41, a1
	;; [unrolled: 1-line block ×4, first 2 shown]
	v_cvt_f16_f32_e32 v40, v40
	v_cvt_f16_f32_e32 v41, v41
	;; [unrolled: 1-line block ×4, first 2 shown]
	v_accvgpr_write_b32 a0, v210
	v_pack_b32_f16 v181, v40, v41
	v_accvgpr_write_b32 a1, v211
	v_pack_b32_f16 v49, v49, v85
	ds_read_u16 v40, v138 offset:480
	ds_read_u16 v85, v182 offset:1008
	;; [unrolled: 1-line block ×4, first 2 shown]
	v_accvgpr_write_b32 a2, v212
	v_accvgpr_write_b32 a3, v213
	s_waitcnt lgkmcnt(2)
	v_perm_b32 v40, v85, v40, s64
	s_waitcnt lgkmcnt(0)
	v_perm_b32 v41, v171, v41, s64
	s_barrier
	s_nop 0
	v_mfma_f32_16x16x16f16 a[0:3], v[40:41], v[34:35], a[0:3]
	s_nop 7
	s_nop 2
	v_accvgpr_read_b32 v34, a0
	v_accvgpr_read_b32 v35, a1
	v_cvt_f16_f32_e32 v34, v34
	v_cvt_f16_f32_e32 v35, v35
	v_accvgpr_read_b32 v37, a2
	v_accvgpr_read_b32 v39, a3
	v_cvt_f16_f32_e32 v37, v37
	v_pack_b32_f16 v171, v34, v35
	v_mov_b32_e32 v34, s91
	v_addc_co_u32_e32 v1, vcc, v1, v34, vcc
	v_add_co_u32_e32 v98, vcc, s90, v98
	v_addc_co_u32_e32 v43, vcc, v43, v34, vcc
	v_add_co_u32_e32 v100, vcc, s90, v100
	;; [unrolled: 2-line block ×8, first 2 shown]
	v_mov_b32_e32 v34, s35
	v_addc_co_u32_e32 v103, vcc, v103, v34, vcc
	v_add_co_u32_e32 v114, vcc, s34, v114
	v_addc_co_u32_e32 v105, vcc, v105, v34, vcc
	v_add_co_u32_e32 v116, vcc, s34, v116
	;; [unrolled: 2-line block ×5, first 2 shown]
	v_cvt_f16_f32_e32 v39, v39
	v_addc_co_u32_e32 v113, vcc, v113, v34, vcc
	v_add_co_u32_e32 v124, vcc, s34, v124
	v_addc_co_u32_e32 v115, vcc, v115, v34, vcc
	v_add_co_u32_e32 v126, vcc, s34, v126
	v_pack_b32_f16 v182, v37, v39
	v_addc_co_u32_e32 v117, vcc, v117, v34, vcc
	s_cbranch_scc0 .LBB30_225
; %bb.222:                              ;   in Loop: Header=BB30_202 Depth=2
	v_mov_b32_e32 v210, v36
	v_mov_b32_e32 v211, v38
	s_andn2_b64 vcc, exec, s[38:39]
	s_cbranch_vccz .LBB30_199
	s_branch .LBB30_202
.LBB30_223:                             ;   in Loop: Header=BB30_202 Depth=2
                                        ; implicit-def: $vgpr34_vgpr35_vgpr36_vgpr37
	s_branch .LBB30_220
.LBB30_224:                             ;   in Loop: Header=BB30_14 Depth=1
	v_mov_b32_e32 v36, 0
	v_mov_b32_e32 v38, 0xfeffffff
	;; [unrolled: 1-line block ×33, first 2 shown]
	s_branch .LBB30_226
.LBB30_225:                             ;   in Loop: Header=BB30_14 Depth=1
	v_mov_b32_e32 v210, 0x3ecccdef
	v_mov_b32_e32 v211, 0x37000000
.LBB30_226:                             ;   in Loop: Header=BB30_14 Depth=1
	s_lshl_b32 s8, s42, 6
	v_readlane_b32 s38, v254, 4
	s_sub_i32 s60, s38, s8
	s_cmp_lg_u64 s[66:67], 0
	s_mov_b32 s68, s48
	s_cselect_b64 s[56:57], -1, 0
	s_cmp_eq_u64 s[66:67], 0
	v_readlane_b32 s39, v254, 5
	s_cbranch_scc1 .LBB30_232
; %bb.227:                              ;   in Loop: Header=BB30_14 Depth=1
	v_cmp_le_i32_e32 vcc, s60, v42
                                        ; implicit-def: $sgpr40
	s_and_saveexec_b64 s[38:39], vcc
	s_xor_b64 s[38:39], exec, s[38:39]
	s_cbranch_execz .LBB30_229
; %bb.228:                              ;   in Loop: Header=BB30_14 Depth=1
	ds_write_b16 v132, v243 offset:33792
	ds_write_b16 v244, v243 offset:33792
	s_mov_b32 s40, 0
                                        ; implicit-def: $vgpr179
                                        ; implicit-def: $vgpr177
                                        ; implicit-def: $vgpr176
                                        ; implicit-def: $vgpr172
.LBB30_229:                             ;   in Loop: Header=BB30_14 Depth=1
	s_or_saveexec_b64 s[38:39], s[38:39]
	v_mov_b32_e32 v1, s40
	v_mov_b32_e32 v34, s40
	s_xor_b64 exec, exec, s[38:39]
	s_cbranch_execz .LBB30_231
; %bb.230:                              ;   in Loop: Header=BB30_14 Depth=1
	s_lshl_b64 s[40:41], s[8:9], 1
	s_add_u32 s40, s66, s40
	s_addc_u32 s41, s67, s41
	v_lshlrev_b32_e32 v1, 1, v42
	v_add_co_u32_e32 v37, vcc, s40, v1
	v_mov_b32_e32 v1, s41
	v_readlane_b32 s42, v254, 14
	v_addc_co_u32_e32 v39, vcc, 0, v1, vcc
	v_mul_hi_u32 v1, s42, v179
	v_readlane_b32 s43, v254, 15
	v_add_u32_e32 v1, v179, v1
	v_lshrrev_b32_e32 v1, s43, v1
	v_readlane_b32 s44, v254, 10
	v_readlane_b32 s46, v254, 12
	v_mul_lo_u32 v1, v1, s44
	v_readlane_b32 s40, v255, 17
	v_sub_u32_e32 v1, v179, v1
	v_readlane_b32 s41, v255, 18
	s_mov_b32 s46, s40
	v_mad_i64_i32 v[34:35], s[40:41], v1, s46, 0
	v_lshlrev_b64 v[34:35], 1, v[34:35]
	v_add_co_u32_e32 v34, vcc, v37, v34
	v_addc_co_u32_e32 v35, vcc, v39, v35, vcc
	flat_load_ushort v1, v[34:35]
	v_mul_hi_u32 v34, s42, v177
	v_add_u32_e32 v34, v177, v34
	v_lshrrev_b32_e32 v34, s43, v34
	v_mul_lo_u32 v34, v34, s44
	v_sub_u32_e32 v34, v177, v34
	v_mad_i64_i32 v[34:35], s[40:41], v34, s46, 0
	v_lshlrev_b64 v[34:35], 1, v[34:35]
	v_add_co_u32_e32 v34, vcc, v37, v34
	v_addc_co_u32_e32 v35, vcc, v39, v35, vcc
	flat_load_ushort v34, v[34:35]
	v_readlane_b32 s45, v254, 11
	v_readlane_b32 s47, v254, 13
	s_waitcnt vmcnt(0) lgkmcnt(0)
	ds_write_b16 v132, v1 offset:33792
	ds_write_b16 v244, v34 offset:33792
	v_mul_hi_u32 v1, s42, v176
	v_add_u32_e32 v1, v176, v1
	v_lshrrev_b32_e32 v1, s43, v1
	v_mul_lo_u32 v1, v1, s44
	v_sub_u32_e32 v1, v176, v1
	v_mad_i64_i32 v[34:35], s[40:41], v1, s46, 0
	v_lshlrev_b64 v[34:35], 1, v[34:35]
	v_add_co_u32_e32 v34, vcc, v37, v34
	v_addc_co_u32_e32 v35, vcc, v39, v35, vcc
	flat_load_ushort v1, v[34:35]
	v_mul_hi_u32 v34, s42, v172
	v_add_u32_e32 v34, v172, v34
	v_lshrrev_b32_e32 v34, s43, v34
	v_mul_lo_u32 v34, v34, s44
	v_sub_u32_e32 v34, v172, v34
	v_mad_i64_i32 v[34:35], s[40:41], v34, s46, 0
	v_lshlrev_b64 v[34:35], 1, v[34:35]
	v_add_co_u32_e32 v34, vcc, v37, v34
	v_addc_co_u32_e32 v35, vcc, v39, v35, vcc
	flat_load_ushort v34, v[34:35]
.LBB30_231:                             ;   in Loop: Header=BB30_14 Depth=1
	s_or_b64 exec, exec, s[38:39]
	s_waitcnt vmcnt(0) lgkmcnt(0)
	ds_write_b16 v245, v1 offset:33792
	ds_write_b16 v246, v34 offset:33792
.LBB30_232:                             ;   in Loop: Header=BB30_14 Depth=1
	s_mul_i32 s38, s8, s99
	s_mul_hi_u32 s39, s8, s98
	s_add_i32 s39, s39, s38
	s_mul_i32 s38, s8, s98
	s_lshl_b64 s[38:39], s[38:39], 2
	s_add_u32 s59, s70, s38
	s_addc_u32 s58, s71, s39
	v_add_co_u32_e32 v34, vcc, s59, v66
	v_mov_b32_e32 v1, s58
	v_addc_co_u32_e32 v35, vcc, v1, v67, vcc
	v_lshlrev_b32_e32 v1, 2, v46
	v_add_co_u32_e32 v34, vcc, v34, v1
	v_cmp_gt_i32_e64 s[40:41], s60, v133
	v_addc_co_u32_e32 v35, vcc, 0, v35, vcc
	v_mov_b32_e32 v37, s37
	v_mov_b32_e32 v39, s88
	buffer_store_dword v243, off, s[0:3], 0
	buffer_store_dword v243, off, s[0:3], 0 offset:4
	buffer_store_dword v243, off, s[0:3], 0 offset:8
	;; [unrolled: 1-line block ×3, first 2 shown]
	v_cndmask_b32_e64 v35, v37, v35, s[40:41]
	v_cndmask_b32_e64 v34, v39, v34, s[40:41]
	flat_load_dwordx4 v[86:89], v[34:35]
	v_add_co_u32_e32 v34, vcc, s59, v68
	v_mov_b32_e32 v35, s58
	v_addc_co_u32_e32 v35, vcc, v35, v69, vcc
	v_add_co_u32_e32 v34, vcc, v34, v1
	v_cmp_gt_i32_e64 s[38:39], s60, v247
	v_addc_co_u32_e32 v35, vcc, 0, v35, vcc
	v_cndmask_b32_e64 v35, v37, v35, s[38:39]
	v_cndmask_b32_e64 v34, v39, v34, s[38:39]
	v_cmp_gt_i32_e64 s[42:43], s60, v249
	v_cmp_gt_i32_e64 s[44:45], s60, v251
	v_cmp_gt_i32_e64 s[46:47], s60, v253
	v_cmp_gt_i32_e64 s[48:49], s60, v205
	v_cmp_gt_i32_e64 s[50:51], s60, v202
	v_cmp_gt_i32_e64 s[52:53], s60, v206
	s_waitcnt vmcnt(0) lgkmcnt(0)
	ds_write_b128 v134, v[86:89]
	flat_load_dwordx4 v[86:89], v[34:35]
	v_add_co_u32_e32 v34, vcc, s59, v70
	v_mov_b32_e32 v35, s58
	v_addc_co_u32_e32 v35, vcc, v35, v71, vcc
	v_add_co_u32_e32 v34, vcc, v34, v1
	v_addc_co_u32_e32 v35, vcc, 0, v35, vcc
	v_cndmask_b32_e64 v35, v37, v35, s[42:43]
	v_cndmask_b32_e64 v34, v39, v34, s[42:43]
	s_waitcnt vmcnt(0) lgkmcnt(0)
	ds_write_b128 v248, v[86:89]
	flat_load_dwordx4 v[86:89], v[34:35]
	v_add_co_u32_e32 v34, vcc, s59, v72
	v_mov_b32_e32 v35, s58
	v_addc_co_u32_e32 v35, vcc, v35, v73, vcc
	v_add_co_u32_e32 v34, vcc, v34, v1
	v_addc_co_u32_e32 v35, vcc, 0, v35, vcc
	v_cndmask_b32_e64 v35, v37, v35, s[44:45]
	v_cndmask_b32_e64 v34, v39, v34, s[44:45]
	;; [unrolled: 10-line block ×6, first 2 shown]
	s_waitcnt vmcnt(0) lgkmcnt(0)
	ds_write_b128 v208, v[86:89]
	flat_load_dwordx4 v[86:89], v[34:35]
	s_waitcnt vmcnt(0) lgkmcnt(0)
	ds_write_b128 v204, v[86:89]
	s_waitcnt lgkmcnt(0)
	s_barrier
	ds_read2_b64 v[86:89], v135 offset1:4
	s_waitcnt lgkmcnt(0)
	v_mfma_f32_16x16x16f16 a[0:3], v[86:87], v[30:31], 0
	v_mfma_f32_16x16x16f16 a[0:3], v[88:89], v[32:33], a[0:3]
	ds_read2_b64 v[30:33], v135 offset0:8 offset1:12
	s_waitcnt lgkmcnt(0)
	v_mfma_f32_16x16x16f16 a[0:3], v[30:31], v[26:27], a[0:3]
	v_mfma_f32_16x16x16f16 a[0:3], v[32:33], v[28:29], a[0:3]
	ds_read2_b64 v[26:29], v135 offset0:16 offset1:20
	;; [unrolled: 4-line block ×7, first 2 shown]
	s_waitcnt lgkmcnt(0)
	s_barrier
	v_mfma_f32_16x16x16f16 a[0:3], v[6:7], v[2:3], a[0:3]
                                        ; implicit-def: $vgpr7
	v_mfma_f32_16x16x16f16 a[0:3], v[8:9], v[4:5], a[0:3]
	s_nop 7
	s_nop 2
	v_accvgpr_read_b32 v6, a0
	v_cmp_nlt_f32_e64 s[58:59], |v6|, s95
	s_and_saveexec_b64 s[62:63], s[58:59]
	s_xor_b64 s[58:59], exec, s[62:63]
	s_cbranch_execz .LBB30_234
; %bb.233:                              ;   in Loop: Header=BB30_14 Depth=1
	v_add_f32_e64 v2, |v6|, |v6|
	v_mul_f32_e32 v3, 0x3fb8aa3b, v2
	v_rndne_f32_e32 v4, v3
	v_sub_f32_e32 v5, v3, v4
	v_fma_f32 v3, v2, s65, -v3
	v_fmac_f32_e32 v3, 0x32a5705f, v2
	v_add_f32_e32 v3, v5, v3
	v_cvt_i32_f32_e32 v4, v4
	v_exp_f32_e32 v3, v3
	v_cmp_ngt_f32_e32 vcc, s36, v2
	v_ldexp_f32 v3, v3, v4
	v_cndmask_b32_e32 v3, 0, v3, vcc
	v_cmp_nlt_f32_e32 vcc, s97, v2
	v_cndmask_b32_e32 v2, v180, v3, vcc
	v_add_f32_e32 v2, 1.0, v2
	v_rcp_f32_e32 v2, v2
	v_fma_f32 v7, v2, -2.0, 1.0
.LBB30_234:                             ;   in Loop: Header=BB30_14 Depth=1
	s_andn2_saveexec_b64 s[58:59], s[58:59]
; %bb.235:                              ;   in Loop: Header=BB30_14 Depth=1
	v_mul_f32_e32 v2, v6, v6
	v_mov_b32_e32 v3, 0x3ca908c9
	v_fmac_f32_e32 v3, 0xbbbac73d, v2
	v_fma_f32 v3, v2, v3, v185
	v_fma_f32 v3, v2, v3, v183
	;; [unrolled: 1-line block ×3, first 2 shown]
	v_mul_f32_e64 v3, |v6|, v3
	v_fma_f32 v7, v2, v3, |v6|
; %bb.236:                              ;   in Loop: Header=BB30_14 Depth=1
	s_or_b64 exec, exec, s[58:59]
	v_accvgpr_read_b32 v5, a3
	v_accvgpr_read_b32 v3, a1
	;; [unrolled: 1-line block ×4, first 2 shown]
	v_cmp_nlt_f32_e64 s[58:59], |v3|, s95
                                        ; implicit-def: $vgpr2
	s_and_saveexec_b64 s[62:63], s[58:59]
	s_xor_b64 s[58:59], exec, s[62:63]
	s_cbranch_execz .LBB30_238
; %bb.237:                              ;   in Loop: Header=BB30_14 Depth=1
	v_add_f32_e64 v2, |v3|, |v3|
	v_mul_f32_e32 v8, 0x3fb8aa3b, v2
	v_rndne_f32_e32 v9, v8
	v_sub_f32_e32 v10, v8, v9
	v_fma_f32 v8, v2, s65, -v8
	v_fmac_f32_e32 v8, 0x32a5705f, v2
	v_add_f32_e32 v8, v10, v8
	v_cvt_i32_f32_e32 v9, v9
	v_exp_f32_e32 v8, v8
	v_cmp_ngt_f32_e32 vcc, s36, v2
	v_ldexp_f32 v8, v8, v9
	v_cndmask_b32_e32 v8, 0, v8, vcc
	v_cmp_nlt_f32_e32 vcc, s97, v2
	v_cndmask_b32_e32 v2, v180, v8, vcc
	v_add_f32_e32 v2, 1.0, v2
	v_rcp_f32_e32 v2, v2
	v_fma_f32 v2, v2, -2.0, 1.0
.LBB30_238:                             ;   in Loop: Header=BB30_14 Depth=1
	s_andn2_saveexec_b64 s[58:59], s[58:59]
; %bb.239:                              ;   in Loop: Header=BB30_14 Depth=1
	v_mul_f32_e32 v2, v3, v3
	v_mov_b32_e32 v8, 0x3ca908c9
	v_fmac_f32_e32 v8, 0xbbbac73d, v2
	v_fma_f32 v8, v2, v8, v185
	v_fma_f32 v8, v2, v8, v183
	;; [unrolled: 1-line block ×3, first 2 shown]
	v_mul_f32_e64 v8, |v3|, v8
	v_fma_f32 v2, v2, v8, |v3|
; %bb.240:                              ;   in Loop: Header=BB30_14 Depth=1
	s_or_b64 exec, exec, s[58:59]
	v_cmp_nlt_f32_e64 s[58:59], |v4|, s95
                                        ; implicit-def: $vgpr8
	s_and_saveexec_b64 s[62:63], s[58:59]
	s_xor_b64 s[58:59], exec, s[62:63]
	s_cbranch_execz .LBB30_242
; %bb.241:                              ;   in Loop: Header=BB30_14 Depth=1
	v_add_f32_e64 v8, |v4|, |v4|
	v_mul_f32_e32 v9, 0x3fb8aa3b, v8
	v_rndne_f32_e32 v10, v9
	v_sub_f32_e32 v11, v9, v10
	v_fma_f32 v9, v8, s65, -v9
	v_fmac_f32_e32 v9, 0x32a5705f, v8
	v_add_f32_e32 v9, v11, v9
	v_cvt_i32_f32_e32 v10, v10
	v_exp_f32_e32 v9, v9
	v_cmp_ngt_f32_e32 vcc, s36, v8
	v_ldexp_f32 v9, v9, v10
	v_cndmask_b32_e32 v9, 0, v9, vcc
	v_cmp_nlt_f32_e32 vcc, s97, v8
	v_cndmask_b32_e32 v8, v180, v9, vcc
	v_add_f32_e32 v8, 1.0, v8
	v_rcp_f32_e32 v8, v8
	v_fma_f32 v8, v8, -2.0, 1.0
.LBB30_242:                             ;   in Loop: Header=BB30_14 Depth=1
	s_andn2_saveexec_b64 s[58:59], s[58:59]
; %bb.243:                              ;   in Loop: Header=BB30_14 Depth=1
	v_mul_f32_e32 v8, v4, v4
	v_mov_b32_e32 v9, 0x3ca908c9
	v_fmac_f32_e32 v9, 0xbbbac73d, v8
	v_fma_f32 v9, v8, v9, v185
	v_fma_f32 v9, v8, v9, v183
	;; [unrolled: 1-line block ×3, first 2 shown]
	v_mul_f32_e64 v9, |v4|, v9
	v_fma_f32 v8, v8, v9, |v4|
; %bb.244:                              ;   in Loop: Header=BB30_14 Depth=1
	s_or_b64 exec, exec, s[58:59]
	v_cmp_nlt_f32_e64 s[58:59], |v5|, s95
                                        ; implicit-def: $vgpr9
	s_and_saveexec_b64 s[62:63], s[58:59]
	s_xor_b64 s[58:59], exec, s[62:63]
	s_cbranch_execz .LBB30_246
; %bb.245:                              ;   in Loop: Header=BB30_14 Depth=1
	v_add_f32_e64 v9, |v5|, |v5|
	v_mul_f32_e32 v10, 0x3fb8aa3b, v9
	v_rndne_f32_e32 v11, v10
	v_sub_f32_e32 v12, v10, v11
	v_fma_f32 v10, v9, s65, -v10
	v_fmac_f32_e32 v10, 0x32a5705f, v9
	v_add_f32_e32 v10, v12, v10
	v_cvt_i32_f32_e32 v11, v11
	v_exp_f32_e32 v10, v10
	v_cmp_ngt_f32_e32 vcc, s36, v9
	v_ldexp_f32 v10, v10, v11
	v_cndmask_b32_e32 v10, 0, v10, vcc
	v_cmp_nlt_f32_e32 vcc, s97, v9
	v_cndmask_b32_e32 v9, v180, v10, vcc
	v_add_f32_e32 v9, 1.0, v9
	v_rcp_f32_e32 v9, v9
	v_fma_f32 v9, v9, -2.0, 1.0
.LBB30_246:                             ;   in Loop: Header=BB30_14 Depth=1
	s_andn2_saveexec_b64 s[58:59], s[58:59]
; %bb.247:                              ;   in Loop: Header=BB30_14 Depth=1
	v_mul_f32_e32 v9, v5, v5
	v_mov_b32_e32 v10, 0x3ca908c9
	v_fmac_f32_e32 v10, 0xbbbac73d, v9
	v_fma_f32 v10, v9, v10, v185
	v_fma_f32 v10, v9, v10, v183
	;; [unrolled: 1-line block ×3, first 2 shown]
	v_mul_f32_e64 v10, |v5|, v10
	v_fma_f32 v9, v9, v10, |v5|
; %bb.248:                              ;   in Loop: Header=BB30_14 Depth=1
	s_or_b64 exec, exec, s[58:59]
	v_bfi_b32 v2, s89, v2, v3
	v_bfi_b32 v6, s89, v7, v6
	v_mul_f32_e32 v7, s93, v2
	v_bfi_b32 v2, s89, v8, v4
	v_mul_f32_e32 v8, s93, v2
	;; [unrolled: 2-line block ×3, first 2 shown]
	v_mul_f32_e32 v9, s93, v2
	s_and_b64 vcc, exec, s[56:57]
	s_cbranch_vccz .LBB30_338
; %bb.249:                              ;   in Loop: Header=BB30_14 Depth=1
	v_add_u32_e32 v2, 0x8400, v136
	ds_read2_b32 v[2:3], v2 offset1:1
	s_waitcnt lgkmcnt(0)
	v_cvt_f32_f16_e32 v10, v2
	v_cvt_f32_f16_e32 v4, v3
	v_cvt_f32_f16_sdwa v5, v3 dst_sel:DWORD dst_unused:UNUSED_PAD src0_sel:WORD_1
	v_cvt_f32_f16_sdwa v11, v2 dst_sel:DWORD dst_unused:UNUSED_PAD src0_sel:WORD_1
	v_pk_fma_f32 v[4:5], v[84:85], v[4:5], v[8:9] op_sel_hi:[0,1,1]
	v_pk_fma_f32 v[2:3], v[84:85], v[10:11], v[6:7] op_sel_hi:[0,1,1]
	s_cbranch_execnz .LBB30_251
.LBB30_250:                             ;   in Loop: Header=BB30_14 Depth=1
	v_pk_mov_b32 v[2:3], v[6:7], v[6:7] op_sel:[0,1]
	v_pk_mov_b32 v[4:5], v[8:9], v[8:9] op_sel:[0,1]
.LBB30_251:                             ;   in Loop: Header=BB30_14 Depth=1
	v_add_f32_e32 v6, 0x40051340, v2
	v_max_f32_e32 v7, v38, v38
	v_cmp_gt_u32_e32 vcc, s60, v155
	v_max_f32_e32 v6, v7, v6
	v_cndmask_b32_e32 v6, v38, v6, vcc
	v_add_f32_e32 v7, 0x40051340, v3
	v_max_f32_e32 v8, v6, v6
	v_cmp_gt_u32_e64 s[56:57], s60, v184
	v_max_f32_e32 v7, v8, v7
	v_cndmask_b32_e64 v6, v6, v7, s[56:57]
	v_add_f32_e32 v7, 0x40051340, v4
	v_max_f32_e32 v8, v6, v6
	v_cmp_gt_u32_e64 s[58:59], s60, v188
	v_max_f32_e32 v7, v8, v7
	v_cndmask_b32_e64 v6, v6, v7, s[58:59]
	;; [unrolled: 5-line block ×3, first 2 shown]
	v_and_b32_e32 v7, 64, v242
	v_add_u32_e32 v7, 64, v7
	v_xor_b32_e32 v8, 32, v242
	v_cmp_lt_i32_e64 s[62:63], v8, v7
	v_cndmask_b32_e64 v8, v242, v8, s[62:63]
	v_lshlrev_b32_e32 v39, 2, v8
	ds_bpermute_b32 v8, v39, v6
	v_max_f32_e32 v6, v6, v6
	v_cndmask_b32_e64 v4, v4, v4, s[56:57]
	v_cndmask_b32_e64 v5, v5, v5, s[56:57]
	buffer_store_dword v243, off, s[0:3], 0
	buffer_store_dword v243, off, s[0:3], 0 offset:4
	buffer_store_dword v243, off, s[0:3], 0 offset:8
	;; [unrolled: 1-line block ×3, first 2 shown]
	s_waitcnt lgkmcnt(0)
	v_max_f32_e32 v8, v8, v8
	v_max_f32_e32 v6, v6, v8
	v_xor_b32_e32 v8, 16, v242
	v_cmp_lt_i32_e64 s[62:63], v8, v7
	v_cndmask_b32_e64 v7, v242, v8, s[62:63]
	v_lshlrev_b32_e32 v40, 2, v7
	ds_bpermute_b32 v7, v40, v6
	s_waitcnt lgkmcnt(0)
	v_max_f32_e32 v7, v7, v7
	v_max_f32_e32 v6, v6, v7
	v_sub_f32_e32 v2, v2, v6
	v_mul_f32_e32 v7, 0x3fb8aa3b, v2
	v_fma_f32 v8, v2, s65, -v7
	v_rndne_f32_e32 v9, v7
	v_fmac_f32_e32 v8, 0x32a5705f, v2
	v_sub_f32_e32 v7, v7, v9
	v_add_f32_e32 v7, v7, v8
	v_exp_f32_e32 v7, v7
	v_cvt_i32_f32_e32 v8, v9
	v_cmp_ngt_f32_e64 s[62:63], s36, v2
	v_ldexp_f32 v7, v7, v8
	v_cndmask_b32_e64 v7, 0, v7, s[62:63]
	v_cmp_nlt_f32_e64 s[62:63], s97, v2
	v_cndmask_b32_e64 v2, v180, v7, s[62:63]
	v_cndmask_b32_e32 v34, 0, v2, vcc
	v_sub_f32_e32 v2, v3, v6
	v_mul_f32_e32 v3, 0x3fb8aa3b, v2
	v_fma_f32 v7, v2, s65, -v3
	v_rndne_f32_e32 v8, v3
	v_fmac_f32_e32 v7, 0x32a5705f, v2
	v_sub_f32_e32 v3, v3, v8
	v_add_f32_e32 v3, v3, v7
	v_exp_f32_e32 v3, v3
	v_cvt_i32_f32_e32 v7, v8
	v_cmp_ngt_f32_e32 vcc, s36, v2
	v_ldexp_f32 v3, v3, v7
	v_cndmask_b32_e32 v3, 0, v3, vcc
	v_cmp_nlt_f32_e32 vcc, s97, v2
	v_cndmask_b32_e32 v2, v180, v3, vcc
	v_mov_b32_e32 v3, s9
	v_add_f32_e32 v7, v2, v34
	v_cndmask_b32_e64 v35, v3, v2, s[56:57]
	v_sub_f32_e32 v2, v4, v6
	v_mul_f32_e32 v4, 0x3fb8aa3b, v2
	v_cndmask_b32_e64 v3, v34, v7, s[56:57]
	v_fma_f32 v7, v2, s65, -v4
	v_rndne_f32_e32 v8, v4
	v_fmac_f32_e32 v7, 0x32a5705f, v2
	v_sub_f32_e32 v4, v4, v8
	v_add_f32_e32 v4, v4, v7
	v_exp_f32_e32 v4, v4
	v_cvt_i32_f32_e32 v7, v8
	v_cmp_ngt_f32_e32 vcc, s36, v2
	v_cvt_f16_f32_e32 v34, v34
	v_cvt_f16_f32_e32 v35, v35
	v_ldexp_f32 v4, v4, v7
	v_cndmask_b32_e32 v4, 0, v4, vcc
	v_cmp_nlt_f32_e32 vcc, s97, v2
	v_cndmask_b32_e32 v4, v180, v4, vcc
	v_add_f32_e32 v7, v3, v4
	v_mov_b32_e32 v2, s9
	v_cndmask_b32_e64 v37, v2, v4, s[58:59]
	v_cndmask_b32_e64 v2, v3, v7, s[58:59]
	v_sub_f32_e32 v3, v5, v6
	v_mul_f32_e32 v4, 0x3fb8aa3b, v3
	v_fma_f32 v5, v3, s65, -v4
	v_rndne_f32_e32 v7, v4
	v_fmac_f32_e32 v5, 0x32a5705f, v3
	v_sub_f32_e32 v4, v4, v7
	v_add_f32_e32 v4, v4, v5
	v_exp_f32_e32 v4, v4
	v_cvt_i32_f32_e32 v5, v7
	v_cmp_ngt_f32_e32 vcc, s36, v3
	s_mul_i32 s56, s8, s85
	s_mul_hi_u32 s57, s8, s84
	v_ldexp_f32 v4, v4, v5
	v_cndmask_b32_e32 v4, 0, v4, vcc
	v_cmp_nlt_f32_e32 vcc, s97, v3
	v_cndmask_b32_e32 v4, v180, v4, vcc
	v_add_f32_e32 v5, v2, v4
	v_mov_b32_e32 v3, s9
	v_cndmask_b32_e64 v7, v2, v5, s[60:61]
	v_sub_f32_e32 v2, v38, v6
	v_cndmask_b32_e64 v41, v3, v4, s[60:61]
	v_mul_f32_e32 v3, 0x3fb8aa3b, v2
	v_fma_f32 v4, v2, s65, -v3
	v_rndne_f32_e32 v5, v3
	v_fmac_f32_e32 v4, 0x32a5705f, v2
	v_sub_f32_e32 v3, v3, v5
	v_add_f32_e32 v3, v3, v4
	v_exp_f32_e32 v3, v3
	v_cvt_i32_f32_e32 v4, v5
	v_cmp_ngt_f32_e32 vcc, s36, v2
	v_pack_b32_f16 v34, v34, v35
	v_cvt_f16_f32_e32 v35, v37
	v_ldexp_f32 v3, v3, v4
	v_cndmask_b32_e32 v3, 0, v3, vcc
	v_cmp_nlt_f32_e32 vcc, s97, v2
	v_cndmask_b32_e32 v3, v180, v3, vcc
	v_cmp_le_f32_e32 vcc, s94, v2
	v_cndmask_b32_e32 v2, 0, v3, vcc
	v_cvt_f16_f32_e32 v38, v2
	v_cvt_f16_f32_e32 v37, v41
	s_add_i32 s57, s57, s56
	s_mul_i32 s56, s8, s84
	s_lshl_b64 s[56:57], s[56:57], 2
	s_add_u32 s8, s73, s56
	s_addc_u32 s56, s78, s57
	v_fmac_f32_e32 v7, v36, v2
	v_pk_mul_f16 v36, v38, v153 op_sel_hi:[0,1]
	v_pk_mul_f16 v2, v38, v174 op_sel_hi:[0,1]
	;; [unrolled: 1-line block ×32, first 2 shown]
	v_pack_b32_f16 v35, v35, v37
	v_add_co_u32_e32 v37, vcc, s8, v50
	v_mov_b32_e32 v38, s56
	v_addc_co_u32_e32 v38, vcc, v38, v51, vcc
	v_add_co_u32_e32 v37, vcc, v37, v1
	v_addc_co_u32_e32 v38, vcc, 0, v38, vcc
	v_mov_b32_e32 v41, s37
	v_cndmask_b32_e64 v45, v41, v38, s[40:41]
	v_mov_b32_e32 v38, s88
	v_cndmask_b32_e64 v44, v38, v37, s[40:41]
	flat_load_dwordx4 v[84:87], v[44:45]
	v_add_co_u32_e32 v37, vcc, s8, v52
	v_mov_b32_e32 v43, s56
	v_addc_co_u32_e32 v43, vcc, v43, v53, vcc
	v_add_co_u32_e32 v37, vcc, v37, v1
	v_addc_co_u32_e32 v43, vcc, 0, v43, vcc
	v_cndmask_b32_e64 v45, v41, v43, s[38:39]
	v_cndmask_b32_e64 v44, v38, v37, s[38:39]
	v_add_co_u32_e32 v37, vcc, s8, v54
	v_mov_b32_e32 v43, s56
	v_addc_co_u32_e32 v43, vcc, v43, v55, vcc
	v_add_co_u32_e32 v37, vcc, v37, v1
	v_addc_co_u32_e32 v43, vcc, 0, v43, vcc
	s_cmp_eq_u64 s[30:31], 0
	s_cselect_b64 s[38:39], -1, 0
	s_waitcnt vmcnt(0) lgkmcnt(0)
	ds_write_b128 v134, v[84:87]
	flat_load_dwordx4 v[84:87], v[44:45]
	v_cndmask_b32_e64 v45, v41, v43, s[42:43]
	v_cndmask_b32_e64 v44, v38, v37, s[42:43]
	v_add_co_u32_e32 v37, vcc, s8, v56
	v_mov_b32_e32 v43, s56
	v_addc_co_u32_e32 v43, vcc, v43, v57, vcc
	v_add_co_u32_e32 v37, vcc, v37, v1
	v_addc_co_u32_e32 v43, vcc, 0, v43, vcc
	s_waitcnt vmcnt(0) lgkmcnt(0)
	ds_write_b128 v248, v[84:87]
	flat_load_dwordx4 v[84:87], v[44:45]
	v_cndmask_b32_e64 v45, v41, v43, s[44:45]
	v_cndmask_b32_e64 v44, v38, v37, s[44:45]
	v_add_co_u32_e32 v37, vcc, s8, v58
	v_mov_b32_e32 v43, s56
	v_addc_co_u32_e32 v43, vcc, v43, v59, vcc
	v_add_co_u32_e32 v37, vcc, v37, v1
	v_addc_co_u32_e32 v43, vcc, 0, v43, vcc
	v_readlane_b32 s44, v255, 11
	v_readlane_b32 s45, v255, 12
	s_xor_b64 s[40:41], s[44:45], -1
	s_or_b64 s[38:39], s[40:41], s[38:39]
	s_waitcnt vmcnt(0) lgkmcnt(0)
	ds_write_b128 v250, v[84:87]
	flat_load_dwordx4 v[84:87], v[44:45]
	v_cndmask_b32_e64 v45, v41, v43, s[46:47]
	v_cndmask_b32_e64 v44, v38, v37, s[46:47]
	v_add_co_u32_e32 v37, vcc, s8, v60
	v_mov_b32_e32 v43, s56
	v_addc_co_u32_e32 v43, vcc, v43, v61, vcc
	v_add_co_u32_e32 v37, vcc, v37, v1
	v_addc_co_u32_e32 v43, vcc, 0, v43, vcc
	s_waitcnt vmcnt(0) lgkmcnt(0)
	ds_write_b128 v252, v[84:87]
	flat_load_dwordx4 v[84:87], v[44:45]
	v_cndmask_b32_e64 v45, v41, v43, s[48:49]
	v_cndmask_b32_e64 v44, v38, v37, s[48:49]
	v_add_co_u32_e32 v37, vcc, s8, v62
	v_mov_b32_e32 v43, s56
	v_addc_co_u32_e32 v43, vcc, v43, v63, vcc
	v_add_co_u32_e32 v37, vcc, v37, v1
	v_addc_co_u32_e32 v43, vcc, 0, v43, vcc
	;; [unrolled: 10-line block ×3, first 2 shown]
	s_waitcnt vmcnt(0) lgkmcnt(0)
	ds_write_b128 v209, v[84:87]
	flat_load_dwordx4 v[84:87], v[44:45]
	v_cndmask_b32_e64 v45, v41, v37, s[52:53]
	v_cndmask_b32_e64 v44, v38, v1, s[52:53]
	v_add_u32_e32 v41, v137, v157
	v_add_u32_e32 v38, v137, v156
	s_waitcnt vmcnt(0) lgkmcnt(0)
	ds_write_b128 v208, v[84:87]
	flat_load_dwordx4 v[84:87], v[44:45]
	s_waitcnt vmcnt(0) lgkmcnt(0)
	ds_write_b128 v204, v[84:87]
	s_waitcnt lgkmcnt(0)
	s_barrier
	ds_read_u16 v1, v158 offset:1056
	v_cvt_f32_f16_e32 v86, v2
	v_cvt_f32_f16_sdwa v87, v2 dst_sel:DWORD dst_unused:UNUSED_PAD src0_sel:WORD_1
	ds_read_u16 v2, v41
	ds_read_u16 v43, v41 offset:32
	v_cvt_f32_f16_e32 v84, v36
	v_cvt_f32_f16_sdwa v85, v36 dst_sel:DWORD dst_unused:UNUSED_PAD src0_sel:WORD_1
	s_waitcnt lgkmcnt(1)
	v_perm_b32 v37, v2, v1, s64
	ds_read_u16 v1, v138
	ds_read_u16 v44, v138 offset:32
	ds_read_u16 v2, v38 offset:528
	;; [unrolled: 1-line block ×3, first 2 shown]
	v_accvgpr_write_b32 a0, v84
	v_accvgpr_write_b32 a1, v85
	;; [unrolled: 1-line block ×3, first 2 shown]
	s_waitcnt lgkmcnt(1)
	v_perm_b32 v36, v2, v1, s64
	v_accvgpr_write_b32 a3, v87
	v_cvt_f32_f16_e32 v84, v4
	v_cvt_f32_f16_sdwa v85, v4 dst_sel:DWORD dst_unused:UNUSED_PAD src0_sel:WORD_1
	v_mfma_f32_16x16x16f16 a[0:3], v[36:37], v[34:35], a[0:3]
	v_cvt_f32_f16_e32 v86, v3
	v_cvt_f32_f16_sdwa v87, v3 dst_sel:DWORD dst_unused:UNUSED_PAD src0_sel:WORD_1
	s_nop 7
	s_nop 0
	v_accvgpr_read_b32 v1, a0
	v_accvgpr_read_b32 v2, a1
	;; [unrolled: 1-line block ×4, first 2 shown]
	v_cvt_f16_f32_e32 v1, v1
	v_cvt_f16_f32_e32 v2, v2
	;; [unrolled: 1-line block ×4, first 2 shown]
	v_accvgpr_write_b32 a0, v84
	v_pack_b32_f16 v2, v1, v2
	v_accvgpr_write_b32 a1, v85
	v_pack_b32_f16 v1, v36, v37
	ds_read_u16 v36, v199 offset:1056
	v_accvgpr_write_b32 a2, v86
	v_accvgpr_write_b32 a3, v87
	v_cvt_f32_f16_e32 v84, v8
	v_cvt_f32_f16_sdwa v85, v8 dst_sel:DWORD dst_unused:UNUSED_PAD src0_sel:WORD_1
	s_waitcnt lgkmcnt(0)
	v_perm_b32 v37, v43, v36, s64
	v_perm_b32 v36, v45, v44, s64
	v_cvt_f32_f16_e32 v86, v5
	v_cvt_f32_f16_sdwa v87, v5 dst_sel:DWORD dst_unused:UNUSED_PAD src0_sel:WORD_1
	v_mfma_f32_16x16x16f16 a[0:3], v[36:37], v[34:35], a[0:3]
	s_nop 7
	s_nop 2
	v_accvgpr_read_b32 v3, a0
	v_accvgpr_read_b32 v4, a1
	v_accvgpr_read_b32 v36, a2
	v_accvgpr_read_b32 v37, a3
	v_cvt_f16_f32_e32 v3, v3
	v_cvt_f16_f32_e32 v4, v4
	v_cvt_f16_f32_e32 v36, v36
	v_cvt_f16_f32_e32 v37, v37
	v_accvgpr_write_b32 a0, v84
	v_pack_b32_f16 v4, v3, v4
	v_accvgpr_write_b32 a1, v85
	v_pack_b32_f16 v3, v36, v37
	ds_read_u16 v36, v138 offset:64
	ds_read_u16 v43, v38 offset:592
	ds_read_u16 v37, v203 offset:1056
	ds_read_u16 v44, v41 offset:64
	v_accvgpr_write_b32 a2, v86
	v_accvgpr_write_b32 a3, v87
	s_waitcnt lgkmcnt(2)
	v_perm_b32 v36, v43, v36, s64
	v_cvt_f32_f16_e32 v84, v10
	s_waitcnt lgkmcnt(0)
	v_perm_b32 v37, v44, v37, s64
	v_cvt_f32_f16_sdwa v85, v10 dst_sel:DWORD dst_unused:UNUSED_PAD src0_sel:WORD_1
	v_cvt_f32_f16_e32 v86, v9
	v_mfma_f32_16x16x16f16 a[0:3], v[36:37], v[34:35], a[0:3]
	v_cvt_f32_f16_sdwa v87, v9 dst_sel:DWORD dst_unused:UNUSED_PAD src0_sel:WORD_1
	s_nop 7
	s_nop 1
	v_accvgpr_read_b32 v5, a0
	v_accvgpr_read_b32 v8, a1
	v_accvgpr_read_b32 v36, a2
	v_accvgpr_read_b32 v37, a3
	v_cvt_f16_f32_e32 v5, v5
	v_cvt_f16_f32_e32 v8, v8
	v_cvt_f16_f32_e32 v36, v36
	v_cvt_f16_f32_e32 v37, v37
	v_accvgpr_write_b32 a0, v84
	v_pack_b32_f16 v8, v5, v8
	v_accvgpr_write_b32 a1, v85
	v_pack_b32_f16 v5, v36, v37
	ds_read_u16 v36, v138 offset:96
	ds_read_u16 v43, v38 offset:624
	ds_read_u16 v37, v201 offset:1056
	ds_read_u16 v44, v41 offset:96
	v_accvgpr_write_b32 a2, v86
	v_accvgpr_write_b32 a3, v87
	s_waitcnt lgkmcnt(2)
	v_perm_b32 v36, v43, v36, s64
	v_cvt_f32_f16_e32 v84, v12
	s_waitcnt lgkmcnt(0)
	v_perm_b32 v37, v44, v37, s64
	v_cvt_f32_f16_sdwa v85, v12 dst_sel:DWORD dst_unused:UNUSED_PAD src0_sel:WORD_1
	v_cvt_f32_f16_e32 v86, v11
	v_mfma_f32_16x16x16f16 a[0:3], v[36:37], v[34:35], a[0:3]
	v_cvt_f32_f16_sdwa v87, v11 dst_sel:DWORD dst_unused:UNUSED_PAD src0_sel:WORD_1
	;; [unrolled: 29-line block ×13, first 2 shown]
	s_nop 7
	s_nop 1
	v_accvgpr_read_b32 v31, a0
	v_accvgpr_read_b32 v32, a1
	;; [unrolled: 1-line block ×4, first 2 shown]
	v_cvt_f16_f32_e32 v31, v31
	v_cvt_f16_f32_e32 v32, v32
	;; [unrolled: 1-line block ×4, first 2 shown]
	v_accvgpr_write_b32 a0, v84
	v_pack_b32_f16 v32, v31, v32
	v_accvgpr_write_b32 a1, v85
	v_pack_b32_f16 v31, v36, v37
	ds_read_u16 v36, v138 offset:480
	ds_read_u16 v38, v38 offset:1008
	;; [unrolled: 1-line block ×4, first 2 shown]
	v_accvgpr_write_b32 a2, v86
	v_accvgpr_write_b32 a3, v87
	s_waitcnt lgkmcnt(2)
	v_perm_b32 v36, v38, v36, s64
	s_waitcnt lgkmcnt(0)
	v_perm_b32 v37, v41, v37, s64
	s_barrier
	s_nop 0
	v_mfma_f32_16x16x16f16 a[0:3], v[36:37], v[34:35], a[0:3]
	s_nop 7
	s_nop 2
	v_accvgpr_read_b32 v0, a0
	v_accvgpr_read_b32 v33, a1
	v_cvt_f16_f32_e32 v0, v0
	v_cvt_f16_f32_e32 v33, v33
	v_accvgpr_read_b32 v34, a2
	v_cvt_f16_f32_e32 v35, v34
	v_accvgpr_read_b32 v34, a3
	v_cvt_f16_f32_e32 v36, v34
	v_pack_b32_f16 v34, v0, v33
	ds_bpermute_b32 v0, v39, v7
	v_pack_b32_f16 v33, v35, v36
	s_waitcnt lgkmcnt(0)
	v_add_f32_e32 v0, v7, v0
	ds_bpermute_b32 v7, v40, v0
	s_waitcnt lgkmcnt(0)
	v_add_f32_e32 v7, v0, v7
	s_and_saveexec_b64 s[40:41], s[38:39]
	s_xor_b64 s[38:39], exec, s[40:41]
	s_or_saveexec_b64 s[38:39], s[38:39]
	v_readlane_b32 s40, v254, 10
	s_mov_b32 s52, s40
	s_mov_b32 s48, s68
	v_readlane_b32 s41, v254, 11
	v_readlane_b32 s42, v254, 12
	;; [unrolled: 1-line block ×3, first 2 shown]
	s_xor_b64 exec, exec, s[38:39]
	s_cbranch_execz .LBB30_253
; %bb.252:                              ;   in Loop: Header=BB30_14 Depth=1
	global_load_dword v0, v243, s[30:31]
	v_max_f32_e32 v36, v6, v6
	s_waitcnt vmcnt(0)
	v_max_f32_e32 v35, v0, v0
	v_max_f32_e32 v36, v36, v35
	v_sub_f32_e32 v6, v6, v36
	v_mul_f32_e32 v35, 0x3fb8aa3b, v6
	v_fma_f32 v37, v6, s65, -v35
	v_rndne_f32_e32 v38, v35
	v_fmac_f32_e32 v37, 0x32a5705f, v6
	v_sub_f32_e32 v35, v35, v38
	v_add_f32_e32 v35, v35, v37
	v_exp_f32_e32 v35, v35
	v_cvt_i32_f32_e32 v37, v38
	v_cmp_ngt_f32_e32 vcc, s36, v6
	v_sub_f32_e32 v0, v0, v36
	v_ldexp_f32 v35, v35, v37
	v_cndmask_b32_e32 v35, 0, v35, vcc
	v_cmp_nlt_f32_e32 vcc, s97, v6
	v_cndmask_b32_e32 v35, v180, v35, vcc
	v_cmp_le_f32_e32 vcc, s94, v6
	v_cndmask_b32_e32 v6, 0, v35, vcc
	v_cvt_f16_f32_e32 v35, v6
	v_cmp_ngt_f32_e32 vcc, s36, v0
	v_pk_mul_f16 v2, v35, v2 op_sel_hi:[0,1]
	v_pk_mul_f16 v1, v35, v1 op_sel_hi:[0,1]
	;; [unrolled: 1-line block ×32, first 2 shown]
	v_mul_f32_e32 v35, 0x3fb8aa3b, v0
	v_fma_f32 v37, v0, s65, -v35
	v_rndne_f32_e32 v38, v35
	v_fmac_f32_e32 v37, 0x32a5705f, v0
	v_sub_f32_e32 v35, v35, v38
	v_add_f32_e32 v35, v35, v37
	v_exp_f32_e32 v35, v35
	v_cvt_i32_f32_e32 v37, v38
	v_ldexp_f32 v35, v35, v37
	v_cndmask_b32_e32 v35, 0, v35, vcc
	v_cmp_nlt_f32_e32 vcc, s97, v0
	v_cndmask_b32_e32 v37, v180, v35, vcc
	v_fmac_f32_e32 v37, v7, v6
	v_pk_mov_b32 v[6:7], v[36:37], v[36:37] op_sel:[0,1]
.LBB30_253:                             ;   in Loop: Header=BB30_14 Depth=1
	s_or_b64 exec, exec, s[38:39]
	s_mov_b64 s[30:31], exec
	v_readlane_b32 s38, v255, 15
	v_readlane_b32 s39, v255, 16
	s_and_b64 s[38:39], s[30:31], s[38:39]
	s_mov_b64 exec, s[38:39]
	s_cbranch_execz .LBB30_255
; %bb.254:                              ;   in Loop: Header=BB30_14 Depth=1
	v_add_u32_e32 v0, 0, v159
	ds_write2_b32 v0, v6, v7 offset0:128 offset1:129
.LBB30_255:                             ;   in Loop: Header=BB30_14 Depth=1
	s_or_b64 exec, exec, s[30:31]
	s_waitcnt lgkmcnt(0)
	s_barrier
	s_mov_b64 s[30:31], exec
	v_readlane_b32 s38, v255, 13
	v_readlane_b32 s39, v255, 14
	s_and_b64 s[38:39], s[30:31], s[38:39]
	s_xor_b64 s[30:31], s[38:39], s[30:31]
	s_mov_b64 exec, s[38:39]
	s_cbranch_execz .LBB30_257
; %bb.256:                              ;   in Loop: Header=BB30_14 Depth=1
	s_barrier
	s_waitcnt lgkmcnt(0)
                                        ; implicit-def: $vgpr39
                                        ; implicit-def: $vgpr40
.LBB30_257:                             ;   in Loop: Header=BB30_14 Depth=1
	s_andn2_saveexec_b64 s[30:31], s[30:31]
	s_cbranch_execz .LBB30_259
; %bb.258:                              ;   in Loop: Header=BB30_14 Depth=1
	v_add_u32_e32 v0, 0, v159
	ds_read_b64 v[6:7], v0 offset:512
	s_waitcnt lgkmcnt(0)
	s_barrier
	ds_bpermute_b32 v35, v39, v6
	v_max_f32_e32 v36, v6, v6
	s_waitcnt lgkmcnt(0)
	v_max_f32_e32 v35, v35, v35
	v_max_f32_e32 v35, v36, v35
	ds_bpermute_b32 v36, v40, v35
	s_waitcnt lgkmcnt(0)
	v_max_f32_e32 v36, v36, v36
	v_max_f32_e32 v35, v35, v36
	v_sub_f32_e32 v6, v6, v35
	v_mul_f32_e32 v35, 0x3fb8aa3b, v6
	v_fma_f32 v36, v6, s65, -v35
	v_rndne_f32_e32 v37, v35
	v_fmac_f32_e32 v36, 0x32a5705f, v6
	v_sub_f32_e32 v35, v35, v37
	v_add_f32_e32 v35, v35, v36
	v_cvt_i32_f32_e32 v37, v37
	v_exp_f32_e32 v35, v35
	v_cmp_ngt_f32_e32 vcc, s36, v6
	v_ldexp_f32 v35, v35, v37
	v_cndmask_b32_e32 v35, 0, v35, vcc
	v_cmp_nlt_f32_e32 vcc, s97, v6
	v_cndmask_b32_e32 v6, v180, v35, vcc
	v_mul_f32_e32 v35, v7, v6
	ds_bpermute_b32 v35, v39, v35
	s_waitcnt lgkmcnt(0)
	v_fmac_f32_e32 v35, v7, v6
	ds_bpermute_b32 v7, v40, v35
	s_waitcnt lgkmcnt(0)
	v_add_f32_e32 v7, v35, v7
	ds_write_b64 v0, v[6:7] offset:512
.LBB30_259:                             ;   in Loop: Header=BB30_14 Depth=1
	s_or_b64 exec, exec, s[30:31]
	ds_write2_b32 v160, v2, v1 offset1:1
	ds_write2_b32 v160, v4, v3 offset0:8 offset1:9
	ds_write2_b32 v160, v8, v5 offset0:16 offset1:17
	;; [unrolled: 1-line block ×15, first 2 shown]
	s_waitcnt lgkmcnt(0)
	s_barrier
	s_and_saveexec_b64 s[30:31], s[44:45]
	s_cbranch_execz .LBB30_12
; %bb.260:                              ;   in Loop: Header=BB30_14 Depth=1
	v_add_u32_e32 v1, s72, v139
	v_cmp_gt_i32_e32 vcc, s52, v1
	v_mov_b32_e32 v0, 0x47
	s_and_saveexec_b64 s[38:39], vcc
	s_cbranch_execz .LBB30_262
; %bb.261:                              ;   in Loop: Header=BB30_14 Depth=1
	v_readlane_b32 s8, v254, 63
	v_mul_lo_u32 v5, s8, v1
	v_accvgpr_read_b32 v0, a26
	v_add_u32_e32 v0, 0, v0
	v_add_u32_e32 v10, v42, v5
	ds_read2_b32 v[2:3], v0 offset0:128 offset1:129
	ds_read2st64_b32 v[6:7], v0 offset0:35 offset1:68
	ds_read_b32 v4, v0 offset:25856
	ds_read2st64_b32 v[8:9], v162 offset1:1
	ds_read2st64_b32 v[0:1], v162 offset0:33 offset1:66
	ds_read_b32 v16, v162 offset:25344
	v_ashrrev_i32_e32 v11, 31, v10
	v_lshlrev_b64 v[10:11], 3, v[10:11]
	v_readlane_b32 s8, v255, 23
	v_readlane_b32 s33, v255, 24
	v_add_co_u32_e32 v10, vcc, s8, v10
	v_mov_b32_e32 v12, s33
	v_addc_co_u32_e32 v11, vcc, v12, v11, vcc
	s_waitcnt lgkmcnt(2)
	v_cvt_f32_f16_sdwa v13, v8 dst_sel:DWORD dst_unused:UNUSED_PAD src0_sel:WORD_1
	v_cvt_f32_f16_e32 v12, v8
	s_waitcnt lgkmcnt(1)
	v_cvt_f32_f16_sdwa v15, v0 dst_sel:DWORD dst_unused:UNUSED_PAD src0_sel:WORD_1
	v_cvt_f32_f16_e32 v14, v0
	v_mov_b32_e32 v8, v7
	v_pk_fma_f32 v[12:13], v[2:3], v[12:13], 0 op_sel_hi:[0,1,0]
	v_pk_fma_f32 v[12:13], v[6:7], v[14:15], v[12:13] op_sel_hi:[0,1,1]
	v_cvt_f32_f16_sdwa v15, v1 dst_sel:DWORD dst_unused:UNUSED_PAD src0_sel:WORD_1
	v_cvt_f32_f16_e32 v14, v1
	v_pk_fma_f32 v[0:1], v[8:9], v[14:15], v[12:13] op_sel_hi:[0,1,1]
	s_waitcnt lgkmcnt(0)
	v_cvt_f32_f16_sdwa v13, v16 dst_sel:DWORD dst_unused:UNUSED_PAD src0_sel:WORD_1
	v_cvt_f32_f16_e32 v12, v16
	v_pk_fma_f32 v[0:1], v[4:5], v[12:13], v[0:1] op_sel_hi:[0,1,1]
	v_div_scale_f32 v7, s[40:41], v3, v3, v1
	v_rcp_f32_e32 v12, v7
	v_fma_f32 v13, -v7, v12, 1.0
	v_fmac_f32_e32 v12, v13, v12
	v_div_scale_f32 v13, vcc, v1, v3, v1
	v_mul_f32_e32 v14, v13, v12
	v_fma_f32 v15, -v7, v14, v13
	v_fmac_f32_e32 v14, v15, v12
	v_fma_f32 v7, -v7, v14, v13
	v_div_fmas_f32 v7, v7, v12, v14
	v_div_fixup_f32 v1, v7, v3, v1
	v_div_scale_f32 v7, s[40:41], v3, v3, v0
	v_rcp_f32_e32 v12, v7
	v_fma_f32 v13, -v7, v12, 1.0
	v_fmac_f32_e32 v12, v13, v12
	v_div_scale_f32 v13, vcc, v0, v3, v0
	v_mul_f32_e32 v14, v13, v12
	v_fma_f32 v15, -v7, v14, v13
	v_fmac_f32_e32 v14, v15, v12
	v_fma_f32 v7, -v7, v14, v13
	v_div_fmas_f32 v7, v7, v12, v14
	v_div_fixup_f32 v0, v7, v3, v0
	global_store_dwordx2 v[10:11], v[0:1], off
	ds_read2st64_b32 v[10:11], v164 offset0:33 offset1:66
	ds_read_b32 v16, v164 offset:25344
	v_cvt_f32_f16_sdwa v13, v9 dst_sel:DWORD dst_unused:UNUSED_PAD src0_sel:WORD_1
	v_cvt_f32_f16_e32 v12, v9
	v_ashrrev_i32_e32 v1, 31, v5
	s_waitcnt lgkmcnt(1)
	v_cvt_f32_f16_sdwa v15, v10 dst_sel:DWORD dst_unused:UNUSED_PAD src0_sel:WORD_1
	v_cvt_f32_f16_e32 v14, v10
	v_pk_fma_f32 v[12:13], v[2:3], v[12:13], 0 op_sel_hi:[0,1,0]
	v_add_co_u32_e32 v0, vcc, v42, v5
	v_pk_fma_f32 v[6:7], v[6:7], v[14:15], v[12:13] op_sel_hi:[0,1,1]
	v_cvt_f32_f16_sdwa v13, v11 dst_sel:DWORD dst_unused:UNUSED_PAD src0_sel:WORD_1
	v_cvt_f32_f16_e32 v12, v11
	v_addc_co_u32_e32 v1, vcc, 0, v1, vcc
	v_lshlrev_b64 v[0:1], 3, v[0:1]
	v_pk_fma_f32 v[6:7], v[8:9], v[12:13], v[6:7] op_sel_hi:[0,1,1]
	s_waitcnt lgkmcnt(0)
	v_cvt_f32_f16_sdwa v9, v16 dst_sel:DWORD dst_unused:UNUSED_PAD src0_sel:WORD_1
	v_cvt_f32_f16_e32 v8, v16
	v_add_co_u32_e32 v0, vcc, s8, v0
	v_mov_b32_e32 v5, s33
	v_addc_co_u32_e32 v1, vcc, v5, v1, vcc
	v_pk_fma_f32 v[4:5], v[4:5], v[8:9], v[6:7] op_sel_hi:[0,1,1]
	v_div_scale_f32 v2, s[40:41], v3, v3, v5
	v_rcp_f32_e32 v6, v2
	v_fma_f32 v7, -v2, v6, 1.0
	v_fmac_f32_e32 v6, v7, v6
	v_div_scale_f32 v7, vcc, v5, v3, v5
	v_mul_f32_e32 v8, v7, v6
	v_fma_f32 v9, -v2, v8, v7
	v_fmac_f32_e32 v8, v9, v6
	v_fma_f32 v2, -v2, v8, v7
	v_div_fmas_f32 v2, v2, v6, v8
	v_div_fixup_f32 v5, v2, v3, v5
	v_div_scale_f32 v2, s[40:41], v3, v3, v4
	v_rcp_f32_e32 v6, v2
	v_fma_f32 v7, -v2, v6, 1.0
	v_fmac_f32_e32 v6, v7, v6
	v_div_scale_f32 v7, vcc, v4, v3, v4
	v_mul_f32_e32 v8, v7, v6
	v_fma_f32 v9, -v2, v8, v7
	v_fmac_f32_e32 v8, v9, v6
	v_fma_f32 v2, -v2, v8, v7
	v_div_fmas_f32 v2, v2, v6, v8
	v_div_fixup_f32 v4, v2, v3, v4
	global_store_dwordx2 v[0:1], v[4:5], off offset:512
	v_mov_b32_e32 v0, 0
.LBB30_262:                             ;   in Loop: Header=BB30_14 Depth=1
	s_or_b64 exec, exec, s[38:39]
	s_movk_i32 s8, 0x47
	v_cmp_gt_i32_e32 vcc, s8, v0
	s_mov_b64 s[38:39], -1
	s_and_saveexec_b64 s[40:41], vcc
; %bb.263:                              ;   in Loop: Header=BB30_14 Depth=1
	v_cmp_eq_u32_e32 vcc, 0, v0
	s_orn2_b64 s[38:39], vcc, exec
; %bb.264:                              ;   in Loop: Header=BB30_14 Depth=1
	s_or_b64 exec, exec, s[40:41]
	s_and_b64 exec, exec, s[38:39]
	s_cbranch_execz .LBB30_12
; %bb.265:                              ;   in Loop: Header=BB30_14 Depth=1
	v_accvgpr_read_b32 v0, a9
	v_add_u32_e32 v1, s72, v0
	v_cmp_gt_i32_e32 vcc, s52, v1
	v_mov_b32_e32 v0, 0x47
	s_and_saveexec_b64 s[38:39], vcc
	s_cbranch_execz .LBB30_267
; %bb.266:                              ;   in Loop: Header=BB30_14 Depth=1
	v_readlane_b32 s8, v254, 63
	v_accvgpr_read_b32 v0, a28
	v_mul_lo_u32 v5, s8, v1
	v_add_u32_e32 v0, 0, v0
	v_accvgpr_read_b32 v10, a27
	ds_read2_b32 v[2:3], v0 offset0:128 offset1:129
	ds_read2st64_b32 v[6:7], v0 offset0:35 offset1:68
	ds_read_b32 v4, v0 offset:25856
	ds_read2st64_b32 v[8:9], v10 offset1:1
	ds_read2st64_b32 v[0:1], v10 offset0:33 offset1:66
	ds_read_b32 v16, v10 offset:25344
	v_add_u32_e32 v10, v42, v5
	v_ashrrev_i32_e32 v11, 31, v10
	v_lshlrev_b64 v[10:11], 3, v[10:11]
	v_readlane_b32 s8, v255, 23
	v_readlane_b32 s33, v255, 24
	v_add_co_u32_e32 v10, vcc, s8, v10
	v_mov_b32_e32 v12, s33
	v_addc_co_u32_e32 v11, vcc, v12, v11, vcc
	s_waitcnt lgkmcnt(2)
	v_cvt_f32_f16_sdwa v13, v8 dst_sel:DWORD dst_unused:UNUSED_PAD src0_sel:WORD_1
	v_cvt_f32_f16_e32 v12, v8
	s_waitcnt lgkmcnt(1)
	v_cvt_f32_f16_sdwa v15, v0 dst_sel:DWORD dst_unused:UNUSED_PAD src0_sel:WORD_1
	v_cvt_f32_f16_e32 v14, v0
	v_mov_b32_e32 v8, v7
	v_pk_fma_f32 v[12:13], v[2:3], v[12:13], 0 op_sel_hi:[0,1,0]
	v_pk_fma_f32 v[12:13], v[6:7], v[14:15], v[12:13] op_sel_hi:[0,1,1]
	v_cvt_f32_f16_sdwa v15, v1 dst_sel:DWORD dst_unused:UNUSED_PAD src0_sel:WORD_1
	v_cvt_f32_f16_e32 v14, v1
	v_pk_fma_f32 v[0:1], v[8:9], v[14:15], v[12:13] op_sel_hi:[0,1,1]
	s_waitcnt lgkmcnt(0)
	v_cvt_f32_f16_sdwa v13, v16 dst_sel:DWORD dst_unused:UNUSED_PAD src0_sel:WORD_1
	v_cvt_f32_f16_e32 v12, v16
	v_pk_fma_f32 v[0:1], v[4:5], v[12:13], v[0:1] op_sel_hi:[0,1,1]
	v_div_scale_f32 v7, s[40:41], v3, v3, v1
	v_rcp_f32_e32 v12, v7
	v_fma_f32 v13, -v7, v12, 1.0
	v_fmac_f32_e32 v12, v13, v12
	v_div_scale_f32 v13, vcc, v1, v3, v1
	v_mul_f32_e32 v14, v13, v12
	v_fma_f32 v15, -v7, v14, v13
	v_fmac_f32_e32 v14, v15, v12
	v_fma_f32 v7, -v7, v14, v13
	v_div_fmas_f32 v7, v7, v12, v14
	v_div_fixup_f32 v1, v7, v3, v1
	v_div_scale_f32 v7, s[40:41], v3, v3, v0
	v_rcp_f32_e32 v12, v7
	v_fma_f32 v13, -v7, v12, 1.0
	v_fmac_f32_e32 v12, v13, v12
	v_div_scale_f32 v13, vcc, v0, v3, v0
	v_mul_f32_e32 v14, v13, v12
	v_fma_f32 v15, -v7, v14, v13
	v_fmac_f32_e32 v14, v15, v12
	v_fma_f32 v7, -v7, v14, v13
	v_div_fmas_f32 v7, v7, v12, v14
	v_div_fixup_f32 v0, v7, v3, v0
	global_store_dwordx2 v[10:11], v[0:1], off
	v_accvgpr_read_b32 v0, a29
	ds_read2st64_b32 v[10:11], v0 offset0:33 offset1:66
	ds_read_b32 v16, v0 offset:25344
	v_cvt_f32_f16_sdwa v13, v9 dst_sel:DWORD dst_unused:UNUSED_PAD src0_sel:WORD_1
	v_cvt_f32_f16_e32 v12, v9
	v_ashrrev_i32_e32 v1, 31, v5
	s_waitcnt lgkmcnt(1)
	v_cvt_f32_f16_sdwa v15, v10 dst_sel:DWORD dst_unused:UNUSED_PAD src0_sel:WORD_1
	v_cvt_f32_f16_e32 v14, v10
	v_pk_fma_f32 v[12:13], v[2:3], v[12:13], 0 op_sel_hi:[0,1,0]
	v_add_co_u32_e32 v0, vcc, v42, v5
	v_pk_fma_f32 v[6:7], v[6:7], v[14:15], v[12:13] op_sel_hi:[0,1,1]
	v_cvt_f32_f16_sdwa v13, v11 dst_sel:DWORD dst_unused:UNUSED_PAD src0_sel:WORD_1
	v_cvt_f32_f16_e32 v12, v11
	v_addc_co_u32_e32 v1, vcc, 0, v1, vcc
	v_lshlrev_b64 v[0:1], 3, v[0:1]
	v_pk_fma_f32 v[6:7], v[8:9], v[12:13], v[6:7] op_sel_hi:[0,1,1]
	s_waitcnt lgkmcnt(0)
	v_cvt_f32_f16_sdwa v9, v16 dst_sel:DWORD dst_unused:UNUSED_PAD src0_sel:WORD_1
	v_cvt_f32_f16_e32 v8, v16
	v_add_co_u32_e32 v0, vcc, s8, v0
	v_mov_b32_e32 v5, s33
	v_addc_co_u32_e32 v1, vcc, v5, v1, vcc
	v_pk_fma_f32 v[4:5], v[4:5], v[8:9], v[6:7] op_sel_hi:[0,1,1]
	v_div_scale_f32 v2, s[40:41], v3, v3, v5
	v_rcp_f32_e32 v6, v2
	v_fma_f32 v7, -v2, v6, 1.0
	v_fmac_f32_e32 v6, v7, v6
	v_div_scale_f32 v7, vcc, v5, v3, v5
	v_mul_f32_e32 v8, v7, v6
	v_fma_f32 v9, -v2, v8, v7
	v_fmac_f32_e32 v8, v9, v6
	v_fma_f32 v2, -v2, v8, v7
	v_div_fmas_f32 v2, v2, v6, v8
	v_div_fixup_f32 v5, v2, v3, v5
	v_div_scale_f32 v2, s[40:41], v3, v3, v4
	v_rcp_f32_e32 v6, v2
	v_fma_f32 v7, -v2, v6, 1.0
	v_fmac_f32_e32 v6, v7, v6
	v_div_scale_f32 v7, vcc, v4, v3, v4
	v_mul_f32_e32 v8, v7, v6
	v_fma_f32 v9, -v2, v8, v7
	v_fmac_f32_e32 v8, v9, v6
	v_fma_f32 v2, -v2, v8, v7
	v_div_fmas_f32 v2, v2, v6, v8
	v_div_fixup_f32 v4, v2, v3, v4
	global_store_dwordx2 v[0:1], v[4:5], off offset:512
	v_mov_b32_e32 v0, 0
.LBB30_267:                             ;   in Loop: Header=BB30_14 Depth=1
	s_or_b64 exec, exec, s[38:39]
	s_movk_i32 s8, 0x47
	v_cmp_gt_i32_e32 vcc, s8, v0
	s_mov_b64 s[38:39], -1
	s_and_saveexec_b64 s[40:41], vcc
; %bb.268:                              ;   in Loop: Header=BB30_14 Depth=1
	v_cmp_eq_u32_e32 vcc, 0, v0
	s_orn2_b64 s[38:39], vcc, exec
; %bb.269:                              ;   in Loop: Header=BB30_14 Depth=1
	s_or_b64 exec, exec, s[40:41]
	s_and_b64 exec, exec, s[38:39]
	s_cbranch_execz .LBB30_12
; %bb.270:                              ;   in Loop: Header=BB30_14 Depth=1
	v_accvgpr_read_b32 v0, a12
	v_add_u32_e32 v1, s72, v0
	v_cmp_gt_i32_e32 vcc, s52, v1
	v_mov_b32_e32 v0, 0x47
	s_and_saveexec_b64 s[38:39], vcc
	s_cbranch_execz .LBB30_272
; %bb.271:                              ;   in Loop: Header=BB30_14 Depth=1
	v_readlane_b32 s8, v254, 63
	v_accvgpr_read_b32 v0, a31
	v_mul_lo_u32 v5, s8, v1
	v_add_u32_e32 v0, 0, v0
	v_accvgpr_read_b32 v10, a30
	ds_read2_b32 v[2:3], v0 offset0:128 offset1:129
	ds_read2st64_b32 v[6:7], v0 offset0:35 offset1:68
	ds_read_b32 v4, v0 offset:25856
	ds_read2st64_b32 v[8:9], v10 offset1:1
	ds_read2st64_b32 v[0:1], v10 offset0:33 offset1:66
	ds_read_b32 v16, v10 offset:25344
	v_add_u32_e32 v10, v42, v5
	v_ashrrev_i32_e32 v11, 31, v10
	v_lshlrev_b64 v[10:11], 3, v[10:11]
	v_readlane_b32 s8, v255, 23
	v_readlane_b32 s33, v255, 24
	v_add_co_u32_e32 v10, vcc, s8, v10
	v_mov_b32_e32 v12, s33
	v_addc_co_u32_e32 v11, vcc, v12, v11, vcc
	s_waitcnt lgkmcnt(2)
	v_cvt_f32_f16_sdwa v13, v8 dst_sel:DWORD dst_unused:UNUSED_PAD src0_sel:WORD_1
	v_cvt_f32_f16_e32 v12, v8
	s_waitcnt lgkmcnt(1)
	v_cvt_f32_f16_sdwa v15, v0 dst_sel:DWORD dst_unused:UNUSED_PAD src0_sel:WORD_1
	v_cvt_f32_f16_e32 v14, v0
	v_mov_b32_e32 v8, v7
	v_pk_fma_f32 v[12:13], v[2:3], v[12:13], 0 op_sel_hi:[0,1,0]
	v_pk_fma_f32 v[12:13], v[6:7], v[14:15], v[12:13] op_sel_hi:[0,1,1]
	v_cvt_f32_f16_sdwa v15, v1 dst_sel:DWORD dst_unused:UNUSED_PAD src0_sel:WORD_1
	v_cvt_f32_f16_e32 v14, v1
	v_pk_fma_f32 v[0:1], v[8:9], v[14:15], v[12:13] op_sel_hi:[0,1,1]
	s_waitcnt lgkmcnt(0)
	v_cvt_f32_f16_sdwa v13, v16 dst_sel:DWORD dst_unused:UNUSED_PAD src0_sel:WORD_1
	v_cvt_f32_f16_e32 v12, v16
	v_pk_fma_f32 v[0:1], v[4:5], v[12:13], v[0:1] op_sel_hi:[0,1,1]
	v_div_scale_f32 v7, s[40:41], v3, v3, v1
	v_rcp_f32_e32 v12, v7
	v_fma_f32 v13, -v7, v12, 1.0
	v_fmac_f32_e32 v12, v13, v12
	v_div_scale_f32 v13, vcc, v1, v3, v1
	v_mul_f32_e32 v14, v13, v12
	v_fma_f32 v15, -v7, v14, v13
	v_fmac_f32_e32 v14, v15, v12
	v_fma_f32 v7, -v7, v14, v13
	v_div_fmas_f32 v7, v7, v12, v14
	v_div_fixup_f32 v1, v7, v3, v1
	v_div_scale_f32 v7, s[40:41], v3, v3, v0
	v_rcp_f32_e32 v12, v7
	v_fma_f32 v13, -v7, v12, 1.0
	v_fmac_f32_e32 v12, v13, v12
	v_div_scale_f32 v13, vcc, v0, v3, v0
	v_mul_f32_e32 v14, v13, v12
	v_fma_f32 v15, -v7, v14, v13
	v_fmac_f32_e32 v14, v15, v12
	v_fma_f32 v7, -v7, v14, v13
	v_div_fmas_f32 v7, v7, v12, v14
	v_div_fixup_f32 v0, v7, v3, v0
	global_store_dwordx2 v[10:11], v[0:1], off
	v_accvgpr_read_b32 v0, a32
	ds_read2st64_b32 v[10:11], v0 offset0:33 offset1:66
	ds_read_b32 v16, v0 offset:25344
	v_cvt_f32_f16_sdwa v13, v9 dst_sel:DWORD dst_unused:UNUSED_PAD src0_sel:WORD_1
	v_cvt_f32_f16_e32 v12, v9
	v_ashrrev_i32_e32 v1, 31, v5
	s_waitcnt lgkmcnt(1)
	v_cvt_f32_f16_sdwa v15, v10 dst_sel:DWORD dst_unused:UNUSED_PAD src0_sel:WORD_1
	v_cvt_f32_f16_e32 v14, v10
	v_pk_fma_f32 v[12:13], v[2:3], v[12:13], 0 op_sel_hi:[0,1,0]
	v_add_co_u32_e32 v0, vcc, v42, v5
	v_pk_fma_f32 v[6:7], v[6:7], v[14:15], v[12:13] op_sel_hi:[0,1,1]
	v_cvt_f32_f16_sdwa v13, v11 dst_sel:DWORD dst_unused:UNUSED_PAD src0_sel:WORD_1
	v_cvt_f32_f16_e32 v12, v11
	v_addc_co_u32_e32 v1, vcc, 0, v1, vcc
	v_lshlrev_b64 v[0:1], 3, v[0:1]
	v_pk_fma_f32 v[6:7], v[8:9], v[12:13], v[6:7] op_sel_hi:[0,1,1]
	s_waitcnt lgkmcnt(0)
	v_cvt_f32_f16_sdwa v9, v16 dst_sel:DWORD dst_unused:UNUSED_PAD src0_sel:WORD_1
	v_cvt_f32_f16_e32 v8, v16
	v_add_co_u32_e32 v0, vcc, s8, v0
	v_mov_b32_e32 v5, s33
	v_addc_co_u32_e32 v1, vcc, v5, v1, vcc
	v_pk_fma_f32 v[4:5], v[4:5], v[8:9], v[6:7] op_sel_hi:[0,1,1]
	v_div_scale_f32 v2, s[40:41], v3, v3, v5
	v_rcp_f32_e32 v6, v2
	v_fma_f32 v7, -v2, v6, 1.0
	v_fmac_f32_e32 v6, v7, v6
	v_div_scale_f32 v7, vcc, v5, v3, v5
	v_mul_f32_e32 v8, v7, v6
	v_fma_f32 v9, -v2, v8, v7
	v_fmac_f32_e32 v8, v9, v6
	v_fma_f32 v2, -v2, v8, v7
	v_div_fmas_f32 v2, v2, v6, v8
	v_div_fixup_f32 v5, v2, v3, v5
	v_div_scale_f32 v2, s[40:41], v3, v3, v4
	v_rcp_f32_e32 v6, v2
	v_fma_f32 v7, -v2, v6, 1.0
	v_fmac_f32_e32 v6, v7, v6
	v_div_scale_f32 v7, vcc, v4, v3, v4
	v_mul_f32_e32 v8, v7, v6
	v_fma_f32 v9, -v2, v8, v7
	v_fmac_f32_e32 v8, v9, v6
	v_fma_f32 v2, -v2, v8, v7
	v_div_fmas_f32 v2, v2, v6, v8
	v_div_fixup_f32 v4, v2, v3, v4
	global_store_dwordx2 v[0:1], v[4:5], off offset:512
	v_mov_b32_e32 v0, 0
.LBB30_272:                             ;   in Loop: Header=BB30_14 Depth=1
	s_or_b64 exec, exec, s[38:39]
	s_movk_i32 s8, 0x47
	v_cmp_gt_i32_e32 vcc, s8, v0
	s_mov_b64 s[38:39], -1
	s_and_saveexec_b64 s[40:41], vcc
; %bb.273:                              ;   in Loop: Header=BB30_14 Depth=1
	v_cmp_eq_u32_e32 vcc, 0, v0
	s_orn2_b64 s[38:39], vcc, exec
; %bb.274:                              ;   in Loop: Header=BB30_14 Depth=1
	s_or_b64 exec, exec, s[40:41]
	s_and_b64 exec, exec, s[38:39]
	s_cbranch_execz .LBB30_12
; %bb.275:                              ;   in Loop: Header=BB30_14 Depth=1
	v_accvgpr_read_b32 v0, a13
	v_add_u32_e32 v1, s72, v0
	v_cmp_gt_i32_e32 vcc, s52, v1
	v_mov_b32_e32 v0, 0x47
	s_and_saveexec_b64 s[38:39], vcc
	s_cbranch_execz .LBB30_277
; %bb.276:                              ;   in Loop: Header=BB30_14 Depth=1
	v_readlane_b32 s8, v254, 63
	v_accvgpr_read_b32 v0, a34
	v_mul_lo_u32 v5, s8, v1
	v_add_u32_e32 v0, 0, v0
	v_accvgpr_read_b32 v10, a33
	ds_read2_b32 v[2:3], v0 offset0:128 offset1:129
	ds_read2st64_b32 v[6:7], v0 offset0:35 offset1:68
	ds_read_b32 v4, v0 offset:25856
	ds_read2st64_b32 v[8:9], v10 offset1:1
	ds_read2st64_b32 v[0:1], v10 offset0:33 offset1:66
	ds_read_b32 v16, v10 offset:25344
	v_add_u32_e32 v10, v42, v5
	v_ashrrev_i32_e32 v11, 31, v10
	v_lshlrev_b64 v[10:11], 3, v[10:11]
	v_readlane_b32 s8, v255, 23
	v_readlane_b32 s33, v255, 24
	v_add_co_u32_e32 v10, vcc, s8, v10
	v_mov_b32_e32 v12, s33
	v_addc_co_u32_e32 v11, vcc, v12, v11, vcc
	s_waitcnt lgkmcnt(2)
	v_cvt_f32_f16_sdwa v13, v8 dst_sel:DWORD dst_unused:UNUSED_PAD src0_sel:WORD_1
	v_cvt_f32_f16_e32 v12, v8
	s_waitcnt lgkmcnt(1)
	v_cvt_f32_f16_sdwa v15, v0 dst_sel:DWORD dst_unused:UNUSED_PAD src0_sel:WORD_1
	v_cvt_f32_f16_e32 v14, v0
	v_mov_b32_e32 v8, v7
	v_pk_fma_f32 v[12:13], v[2:3], v[12:13], 0 op_sel_hi:[0,1,0]
	v_pk_fma_f32 v[12:13], v[6:7], v[14:15], v[12:13] op_sel_hi:[0,1,1]
	v_cvt_f32_f16_sdwa v15, v1 dst_sel:DWORD dst_unused:UNUSED_PAD src0_sel:WORD_1
	v_cvt_f32_f16_e32 v14, v1
	v_pk_fma_f32 v[0:1], v[8:9], v[14:15], v[12:13] op_sel_hi:[0,1,1]
	s_waitcnt lgkmcnt(0)
	v_cvt_f32_f16_sdwa v13, v16 dst_sel:DWORD dst_unused:UNUSED_PAD src0_sel:WORD_1
	v_cvt_f32_f16_e32 v12, v16
	v_pk_fma_f32 v[0:1], v[4:5], v[12:13], v[0:1] op_sel_hi:[0,1,1]
	v_div_scale_f32 v7, s[40:41], v3, v3, v1
	v_rcp_f32_e32 v12, v7
	v_fma_f32 v13, -v7, v12, 1.0
	v_fmac_f32_e32 v12, v13, v12
	v_div_scale_f32 v13, vcc, v1, v3, v1
	v_mul_f32_e32 v14, v13, v12
	v_fma_f32 v15, -v7, v14, v13
	v_fmac_f32_e32 v14, v15, v12
	v_fma_f32 v7, -v7, v14, v13
	v_div_fmas_f32 v7, v7, v12, v14
	v_div_fixup_f32 v1, v7, v3, v1
	v_div_scale_f32 v7, s[40:41], v3, v3, v0
	v_rcp_f32_e32 v12, v7
	v_fma_f32 v13, -v7, v12, 1.0
	v_fmac_f32_e32 v12, v13, v12
	v_div_scale_f32 v13, vcc, v0, v3, v0
	v_mul_f32_e32 v14, v13, v12
	v_fma_f32 v15, -v7, v14, v13
	v_fmac_f32_e32 v14, v15, v12
	v_fma_f32 v7, -v7, v14, v13
	v_div_fmas_f32 v7, v7, v12, v14
	v_div_fixup_f32 v0, v7, v3, v0
	global_store_dwordx2 v[10:11], v[0:1], off
	v_accvgpr_read_b32 v0, a35
	ds_read2st64_b32 v[10:11], v0 offset0:33 offset1:66
	ds_read_b32 v16, v0 offset:25344
	v_cvt_f32_f16_sdwa v13, v9 dst_sel:DWORD dst_unused:UNUSED_PAD src0_sel:WORD_1
	v_cvt_f32_f16_e32 v12, v9
	v_ashrrev_i32_e32 v1, 31, v5
	s_waitcnt lgkmcnt(1)
	v_cvt_f32_f16_sdwa v15, v10 dst_sel:DWORD dst_unused:UNUSED_PAD src0_sel:WORD_1
	v_cvt_f32_f16_e32 v14, v10
	v_pk_fma_f32 v[12:13], v[2:3], v[12:13], 0 op_sel_hi:[0,1,0]
	v_add_co_u32_e32 v0, vcc, v42, v5
	v_pk_fma_f32 v[6:7], v[6:7], v[14:15], v[12:13] op_sel_hi:[0,1,1]
	v_cvt_f32_f16_sdwa v13, v11 dst_sel:DWORD dst_unused:UNUSED_PAD src0_sel:WORD_1
	v_cvt_f32_f16_e32 v12, v11
	v_addc_co_u32_e32 v1, vcc, 0, v1, vcc
	v_lshlrev_b64 v[0:1], 3, v[0:1]
	v_pk_fma_f32 v[6:7], v[8:9], v[12:13], v[6:7] op_sel_hi:[0,1,1]
	s_waitcnt lgkmcnt(0)
	v_cvt_f32_f16_sdwa v9, v16 dst_sel:DWORD dst_unused:UNUSED_PAD src0_sel:WORD_1
	v_cvt_f32_f16_e32 v8, v16
	v_add_co_u32_e32 v0, vcc, s8, v0
	v_mov_b32_e32 v5, s33
	v_addc_co_u32_e32 v1, vcc, v5, v1, vcc
	v_pk_fma_f32 v[4:5], v[4:5], v[8:9], v[6:7] op_sel_hi:[0,1,1]
	v_div_scale_f32 v2, s[40:41], v3, v3, v5
	v_rcp_f32_e32 v6, v2
	v_fma_f32 v7, -v2, v6, 1.0
	v_fmac_f32_e32 v6, v7, v6
	v_div_scale_f32 v7, vcc, v5, v3, v5
	v_mul_f32_e32 v8, v7, v6
	v_fma_f32 v9, -v2, v8, v7
	v_fmac_f32_e32 v8, v9, v6
	v_fma_f32 v2, -v2, v8, v7
	v_div_fmas_f32 v2, v2, v6, v8
	v_div_fixup_f32 v5, v2, v3, v5
	v_div_scale_f32 v2, s[40:41], v3, v3, v4
	v_rcp_f32_e32 v6, v2
	v_fma_f32 v7, -v2, v6, 1.0
	v_fmac_f32_e32 v6, v7, v6
	v_div_scale_f32 v7, vcc, v4, v3, v4
	v_mul_f32_e32 v8, v7, v6
	v_fma_f32 v9, -v2, v8, v7
	v_fmac_f32_e32 v8, v9, v6
	v_fma_f32 v2, -v2, v8, v7
	v_div_fmas_f32 v2, v2, v6, v8
	v_div_fixup_f32 v4, v2, v3, v4
	global_store_dwordx2 v[0:1], v[4:5], off offset:512
	v_mov_b32_e32 v0, 0
.LBB30_277:                             ;   in Loop: Header=BB30_14 Depth=1
	s_or_b64 exec, exec, s[38:39]
	s_movk_i32 s8, 0x47
	v_cmp_gt_i32_e32 vcc, s8, v0
	s_mov_b64 s[38:39], -1
	s_and_saveexec_b64 s[40:41], vcc
; %bb.278:                              ;   in Loop: Header=BB30_14 Depth=1
	v_cmp_eq_u32_e32 vcc, 0, v0
	s_orn2_b64 s[38:39], vcc, exec
; %bb.279:                              ;   in Loop: Header=BB30_14 Depth=1
	s_or_b64 exec, exec, s[40:41]
	s_and_b64 exec, exec, s[38:39]
	s_cbranch_execz .LBB30_12
; %bb.280:                              ;   in Loop: Header=BB30_14 Depth=1
	v_accvgpr_read_b32 v0, a14
	v_add_u32_e32 v1, s72, v0
	v_cmp_gt_i32_e32 vcc, s52, v1
	v_mov_b32_e32 v0, 0x47
	s_and_saveexec_b64 s[38:39], vcc
	s_cbranch_execz .LBB30_282
; %bb.281:                              ;   in Loop: Header=BB30_14 Depth=1
	v_readlane_b32 s8, v254, 63
	v_accvgpr_read_b32 v0, a37
	v_mul_lo_u32 v5, s8, v1
	v_add_u32_e32 v0, 0, v0
	v_accvgpr_read_b32 v10, a36
	ds_read2_b32 v[2:3], v0 offset0:128 offset1:129
	ds_read2st64_b32 v[6:7], v0 offset0:35 offset1:68
	ds_read_b32 v4, v0 offset:25856
	ds_read2st64_b32 v[8:9], v10 offset1:1
	ds_read2st64_b32 v[0:1], v10 offset0:33 offset1:66
	ds_read_b32 v16, v10 offset:25344
	v_add_u32_e32 v10, v42, v5
	v_ashrrev_i32_e32 v11, 31, v10
	v_lshlrev_b64 v[10:11], 3, v[10:11]
	v_readlane_b32 s8, v255, 23
	v_readlane_b32 s33, v255, 24
	v_add_co_u32_e32 v10, vcc, s8, v10
	v_mov_b32_e32 v12, s33
	v_addc_co_u32_e32 v11, vcc, v12, v11, vcc
	s_waitcnt lgkmcnt(2)
	v_cvt_f32_f16_sdwa v13, v8 dst_sel:DWORD dst_unused:UNUSED_PAD src0_sel:WORD_1
	v_cvt_f32_f16_e32 v12, v8
	s_waitcnt lgkmcnt(1)
	v_cvt_f32_f16_sdwa v15, v0 dst_sel:DWORD dst_unused:UNUSED_PAD src0_sel:WORD_1
	v_cvt_f32_f16_e32 v14, v0
	v_mov_b32_e32 v8, v7
	v_pk_fma_f32 v[12:13], v[2:3], v[12:13], 0 op_sel_hi:[0,1,0]
	v_pk_fma_f32 v[12:13], v[6:7], v[14:15], v[12:13] op_sel_hi:[0,1,1]
	v_cvt_f32_f16_sdwa v15, v1 dst_sel:DWORD dst_unused:UNUSED_PAD src0_sel:WORD_1
	v_cvt_f32_f16_e32 v14, v1
	v_pk_fma_f32 v[0:1], v[8:9], v[14:15], v[12:13] op_sel_hi:[0,1,1]
	s_waitcnt lgkmcnt(0)
	v_cvt_f32_f16_sdwa v13, v16 dst_sel:DWORD dst_unused:UNUSED_PAD src0_sel:WORD_1
	v_cvt_f32_f16_e32 v12, v16
	v_pk_fma_f32 v[0:1], v[4:5], v[12:13], v[0:1] op_sel_hi:[0,1,1]
	v_div_scale_f32 v7, s[40:41], v3, v3, v1
	v_rcp_f32_e32 v12, v7
	v_fma_f32 v13, -v7, v12, 1.0
	v_fmac_f32_e32 v12, v13, v12
	v_div_scale_f32 v13, vcc, v1, v3, v1
	v_mul_f32_e32 v14, v13, v12
	v_fma_f32 v15, -v7, v14, v13
	v_fmac_f32_e32 v14, v15, v12
	v_fma_f32 v7, -v7, v14, v13
	v_div_fmas_f32 v7, v7, v12, v14
	v_div_fixup_f32 v1, v7, v3, v1
	v_div_scale_f32 v7, s[40:41], v3, v3, v0
	v_rcp_f32_e32 v12, v7
	v_fma_f32 v13, -v7, v12, 1.0
	v_fmac_f32_e32 v12, v13, v12
	v_div_scale_f32 v13, vcc, v0, v3, v0
	v_mul_f32_e32 v14, v13, v12
	v_fma_f32 v15, -v7, v14, v13
	v_fmac_f32_e32 v14, v15, v12
	v_fma_f32 v7, -v7, v14, v13
	v_div_fmas_f32 v7, v7, v12, v14
	v_div_fixup_f32 v0, v7, v3, v0
	global_store_dwordx2 v[10:11], v[0:1], off
	v_accvgpr_read_b32 v0, a38
	ds_read2st64_b32 v[10:11], v0 offset0:33 offset1:66
	ds_read_b32 v16, v0 offset:25344
	v_cvt_f32_f16_sdwa v13, v9 dst_sel:DWORD dst_unused:UNUSED_PAD src0_sel:WORD_1
	v_cvt_f32_f16_e32 v12, v9
	v_ashrrev_i32_e32 v1, 31, v5
	s_waitcnt lgkmcnt(1)
	v_cvt_f32_f16_sdwa v15, v10 dst_sel:DWORD dst_unused:UNUSED_PAD src0_sel:WORD_1
	v_cvt_f32_f16_e32 v14, v10
	v_pk_fma_f32 v[12:13], v[2:3], v[12:13], 0 op_sel_hi:[0,1,0]
	v_add_co_u32_e32 v0, vcc, v42, v5
	v_pk_fma_f32 v[6:7], v[6:7], v[14:15], v[12:13] op_sel_hi:[0,1,1]
	v_cvt_f32_f16_sdwa v13, v11 dst_sel:DWORD dst_unused:UNUSED_PAD src0_sel:WORD_1
	v_cvt_f32_f16_e32 v12, v11
	v_addc_co_u32_e32 v1, vcc, 0, v1, vcc
	v_lshlrev_b64 v[0:1], 3, v[0:1]
	v_pk_fma_f32 v[6:7], v[8:9], v[12:13], v[6:7] op_sel_hi:[0,1,1]
	s_waitcnt lgkmcnt(0)
	v_cvt_f32_f16_sdwa v9, v16 dst_sel:DWORD dst_unused:UNUSED_PAD src0_sel:WORD_1
	v_cvt_f32_f16_e32 v8, v16
	v_add_co_u32_e32 v0, vcc, s8, v0
	v_mov_b32_e32 v5, s33
	v_addc_co_u32_e32 v1, vcc, v5, v1, vcc
	v_pk_fma_f32 v[4:5], v[4:5], v[8:9], v[6:7] op_sel_hi:[0,1,1]
	v_div_scale_f32 v2, s[40:41], v3, v3, v5
	v_rcp_f32_e32 v6, v2
	v_fma_f32 v7, -v2, v6, 1.0
	v_fmac_f32_e32 v6, v7, v6
	v_div_scale_f32 v7, vcc, v5, v3, v5
	v_mul_f32_e32 v8, v7, v6
	v_fma_f32 v9, -v2, v8, v7
	v_fmac_f32_e32 v8, v9, v6
	v_fma_f32 v2, -v2, v8, v7
	v_div_fmas_f32 v2, v2, v6, v8
	v_div_fixup_f32 v5, v2, v3, v5
	v_div_scale_f32 v2, s[40:41], v3, v3, v4
	v_rcp_f32_e32 v6, v2
	v_fma_f32 v7, -v2, v6, 1.0
	v_fmac_f32_e32 v6, v7, v6
	v_div_scale_f32 v7, vcc, v4, v3, v4
	v_mul_f32_e32 v8, v7, v6
	v_fma_f32 v9, -v2, v8, v7
	v_fmac_f32_e32 v8, v9, v6
	v_fma_f32 v2, -v2, v8, v7
	v_div_fmas_f32 v2, v2, v6, v8
	v_div_fixup_f32 v4, v2, v3, v4
	global_store_dwordx2 v[0:1], v[4:5], off offset:512
	v_mov_b32_e32 v0, 0
.LBB30_282:                             ;   in Loop: Header=BB30_14 Depth=1
	s_or_b64 exec, exec, s[38:39]
	s_movk_i32 s8, 0x47
	v_cmp_gt_i32_e32 vcc, s8, v0
	s_mov_b64 s[38:39], -1
	s_and_saveexec_b64 s[40:41], vcc
; %bb.283:                              ;   in Loop: Header=BB30_14 Depth=1
	v_cmp_eq_u32_e32 vcc, 0, v0
	s_orn2_b64 s[38:39], vcc, exec
; %bb.284:                              ;   in Loop: Header=BB30_14 Depth=1
	s_or_b64 exec, exec, s[40:41]
	s_and_b64 exec, exec, s[38:39]
	s_cbranch_execz .LBB30_12
; %bb.285:                              ;   in Loop: Header=BB30_14 Depth=1
	v_accvgpr_read_b32 v0, a15
	v_add_u32_e32 v1, s72, v0
	v_cmp_gt_i32_e32 vcc, s52, v1
	v_mov_b32_e32 v0, 0x47
	s_and_saveexec_b64 s[38:39], vcc
	s_cbranch_execz .LBB30_287
; %bb.286:                              ;   in Loop: Header=BB30_14 Depth=1
	v_readlane_b32 s8, v254, 63
	v_accvgpr_read_b32 v0, a40
	v_mul_lo_u32 v5, s8, v1
	v_add_u32_e32 v0, 0, v0
	v_accvgpr_read_b32 v10, a39
	ds_read2_b32 v[2:3], v0 offset0:128 offset1:129
	ds_read2st64_b32 v[6:7], v0 offset0:35 offset1:68
	ds_read_b32 v4, v0 offset:25856
	ds_read2st64_b32 v[8:9], v10 offset1:1
	ds_read2st64_b32 v[0:1], v10 offset0:33 offset1:66
	ds_read_b32 v16, v10 offset:25344
	v_add_u32_e32 v10, v42, v5
	v_ashrrev_i32_e32 v11, 31, v10
	v_lshlrev_b64 v[10:11], 3, v[10:11]
	v_readlane_b32 s8, v255, 23
	v_readlane_b32 s33, v255, 24
	v_add_co_u32_e32 v10, vcc, s8, v10
	v_mov_b32_e32 v12, s33
	v_addc_co_u32_e32 v11, vcc, v12, v11, vcc
	s_waitcnt lgkmcnt(2)
	v_cvt_f32_f16_sdwa v13, v8 dst_sel:DWORD dst_unused:UNUSED_PAD src0_sel:WORD_1
	v_cvt_f32_f16_e32 v12, v8
	s_waitcnt lgkmcnt(1)
	v_cvt_f32_f16_sdwa v15, v0 dst_sel:DWORD dst_unused:UNUSED_PAD src0_sel:WORD_1
	v_cvt_f32_f16_e32 v14, v0
	v_mov_b32_e32 v8, v7
	v_pk_fma_f32 v[12:13], v[2:3], v[12:13], 0 op_sel_hi:[0,1,0]
	v_pk_fma_f32 v[12:13], v[6:7], v[14:15], v[12:13] op_sel_hi:[0,1,1]
	v_cvt_f32_f16_sdwa v15, v1 dst_sel:DWORD dst_unused:UNUSED_PAD src0_sel:WORD_1
	v_cvt_f32_f16_e32 v14, v1
	v_pk_fma_f32 v[0:1], v[8:9], v[14:15], v[12:13] op_sel_hi:[0,1,1]
	s_waitcnt lgkmcnt(0)
	v_cvt_f32_f16_sdwa v13, v16 dst_sel:DWORD dst_unused:UNUSED_PAD src0_sel:WORD_1
	v_cvt_f32_f16_e32 v12, v16
	v_pk_fma_f32 v[0:1], v[4:5], v[12:13], v[0:1] op_sel_hi:[0,1,1]
	v_div_scale_f32 v7, s[40:41], v3, v3, v1
	v_rcp_f32_e32 v12, v7
	v_fma_f32 v13, -v7, v12, 1.0
	v_fmac_f32_e32 v12, v13, v12
	v_div_scale_f32 v13, vcc, v1, v3, v1
	v_mul_f32_e32 v14, v13, v12
	v_fma_f32 v15, -v7, v14, v13
	v_fmac_f32_e32 v14, v15, v12
	v_fma_f32 v7, -v7, v14, v13
	v_div_fmas_f32 v7, v7, v12, v14
	v_div_fixup_f32 v1, v7, v3, v1
	v_div_scale_f32 v7, s[40:41], v3, v3, v0
	v_rcp_f32_e32 v12, v7
	v_fma_f32 v13, -v7, v12, 1.0
	v_fmac_f32_e32 v12, v13, v12
	v_div_scale_f32 v13, vcc, v0, v3, v0
	v_mul_f32_e32 v14, v13, v12
	v_fma_f32 v15, -v7, v14, v13
	v_fmac_f32_e32 v14, v15, v12
	v_fma_f32 v7, -v7, v14, v13
	v_div_fmas_f32 v7, v7, v12, v14
	v_div_fixup_f32 v0, v7, v3, v0
	global_store_dwordx2 v[10:11], v[0:1], off
	v_accvgpr_read_b32 v0, a41
	ds_read2st64_b32 v[10:11], v0 offset0:33 offset1:66
	ds_read_b32 v16, v0 offset:25344
	v_cvt_f32_f16_sdwa v13, v9 dst_sel:DWORD dst_unused:UNUSED_PAD src0_sel:WORD_1
	v_cvt_f32_f16_e32 v12, v9
	v_ashrrev_i32_e32 v1, 31, v5
	s_waitcnt lgkmcnt(1)
	v_cvt_f32_f16_sdwa v15, v10 dst_sel:DWORD dst_unused:UNUSED_PAD src0_sel:WORD_1
	v_cvt_f32_f16_e32 v14, v10
	v_pk_fma_f32 v[12:13], v[2:3], v[12:13], 0 op_sel_hi:[0,1,0]
	v_add_co_u32_e32 v0, vcc, v42, v5
	v_pk_fma_f32 v[6:7], v[6:7], v[14:15], v[12:13] op_sel_hi:[0,1,1]
	v_cvt_f32_f16_sdwa v13, v11 dst_sel:DWORD dst_unused:UNUSED_PAD src0_sel:WORD_1
	v_cvt_f32_f16_e32 v12, v11
	v_addc_co_u32_e32 v1, vcc, 0, v1, vcc
	v_lshlrev_b64 v[0:1], 3, v[0:1]
	v_pk_fma_f32 v[6:7], v[8:9], v[12:13], v[6:7] op_sel_hi:[0,1,1]
	s_waitcnt lgkmcnt(0)
	v_cvt_f32_f16_sdwa v9, v16 dst_sel:DWORD dst_unused:UNUSED_PAD src0_sel:WORD_1
	v_cvt_f32_f16_e32 v8, v16
	v_add_co_u32_e32 v0, vcc, s8, v0
	v_mov_b32_e32 v5, s33
	v_addc_co_u32_e32 v1, vcc, v5, v1, vcc
	v_pk_fma_f32 v[4:5], v[4:5], v[8:9], v[6:7] op_sel_hi:[0,1,1]
	v_div_scale_f32 v2, s[40:41], v3, v3, v5
	v_rcp_f32_e32 v6, v2
	v_fma_f32 v7, -v2, v6, 1.0
	v_fmac_f32_e32 v6, v7, v6
	v_div_scale_f32 v7, vcc, v5, v3, v5
	v_mul_f32_e32 v8, v7, v6
	v_fma_f32 v9, -v2, v8, v7
	v_fmac_f32_e32 v8, v9, v6
	v_fma_f32 v2, -v2, v8, v7
	v_div_fmas_f32 v2, v2, v6, v8
	v_div_fixup_f32 v5, v2, v3, v5
	v_div_scale_f32 v2, s[40:41], v3, v3, v4
	v_rcp_f32_e32 v6, v2
	v_fma_f32 v7, -v2, v6, 1.0
	v_fmac_f32_e32 v6, v7, v6
	v_div_scale_f32 v7, vcc, v4, v3, v4
	v_mul_f32_e32 v8, v7, v6
	v_fma_f32 v9, -v2, v8, v7
	v_fmac_f32_e32 v8, v9, v6
	v_fma_f32 v2, -v2, v8, v7
	v_div_fmas_f32 v2, v2, v6, v8
	v_div_fixup_f32 v4, v2, v3, v4
	global_store_dwordx2 v[0:1], v[4:5], off offset:512
	v_mov_b32_e32 v0, 0
.LBB30_287:                             ;   in Loop: Header=BB30_14 Depth=1
	s_or_b64 exec, exec, s[38:39]
	s_movk_i32 s8, 0x47
	v_cmp_gt_i32_e32 vcc, s8, v0
	s_mov_b64 s[38:39], -1
	s_and_saveexec_b64 s[40:41], vcc
; %bb.288:                              ;   in Loop: Header=BB30_14 Depth=1
	v_cmp_eq_u32_e32 vcc, 0, v0
	s_orn2_b64 s[38:39], vcc, exec
; %bb.289:                              ;   in Loop: Header=BB30_14 Depth=1
	s_or_b64 exec, exec, s[40:41]
	s_and_b64 exec, exec, s[38:39]
	s_cbranch_execz .LBB30_12
; %bb.290:                              ;   in Loop: Header=BB30_14 Depth=1
	v_accvgpr_read_b32 v0, a16
	v_add_u32_e32 v1, s72, v0
	v_cmp_gt_i32_e32 vcc, s52, v1
	v_mov_b32_e32 v0, 0x47
	s_and_saveexec_b64 s[38:39], vcc
	s_cbranch_execz .LBB30_292
; %bb.291:                              ;   in Loop: Header=BB30_14 Depth=1
	v_readlane_b32 s8, v254, 63
	v_accvgpr_read_b32 v0, a43
	v_mul_lo_u32 v5, s8, v1
	v_add_u32_e32 v0, 0, v0
	v_accvgpr_read_b32 v10, a42
	ds_read2_b32 v[2:3], v0 offset0:128 offset1:129
	ds_read2st64_b32 v[6:7], v0 offset0:35 offset1:68
	ds_read_b32 v4, v0 offset:25856
	ds_read2st64_b32 v[8:9], v10 offset1:1
	ds_read2st64_b32 v[0:1], v10 offset0:33 offset1:66
	ds_read_b32 v16, v10 offset:25344
	v_add_u32_e32 v10, v42, v5
	v_ashrrev_i32_e32 v11, 31, v10
	v_lshlrev_b64 v[10:11], 3, v[10:11]
	v_readlane_b32 s8, v255, 23
	v_readlane_b32 s33, v255, 24
	v_add_co_u32_e32 v10, vcc, s8, v10
	v_mov_b32_e32 v12, s33
	v_addc_co_u32_e32 v11, vcc, v12, v11, vcc
	s_waitcnt lgkmcnt(2)
	v_cvt_f32_f16_sdwa v13, v8 dst_sel:DWORD dst_unused:UNUSED_PAD src0_sel:WORD_1
	v_cvt_f32_f16_e32 v12, v8
	s_waitcnt lgkmcnt(1)
	v_cvt_f32_f16_sdwa v15, v0 dst_sel:DWORD dst_unused:UNUSED_PAD src0_sel:WORD_1
	v_cvt_f32_f16_e32 v14, v0
	v_mov_b32_e32 v8, v7
	v_pk_fma_f32 v[12:13], v[2:3], v[12:13], 0 op_sel_hi:[0,1,0]
	v_pk_fma_f32 v[12:13], v[6:7], v[14:15], v[12:13] op_sel_hi:[0,1,1]
	v_cvt_f32_f16_sdwa v15, v1 dst_sel:DWORD dst_unused:UNUSED_PAD src0_sel:WORD_1
	v_cvt_f32_f16_e32 v14, v1
	v_pk_fma_f32 v[0:1], v[8:9], v[14:15], v[12:13] op_sel_hi:[0,1,1]
	s_waitcnt lgkmcnt(0)
	v_cvt_f32_f16_sdwa v13, v16 dst_sel:DWORD dst_unused:UNUSED_PAD src0_sel:WORD_1
	v_cvt_f32_f16_e32 v12, v16
	v_pk_fma_f32 v[0:1], v[4:5], v[12:13], v[0:1] op_sel_hi:[0,1,1]
	v_div_scale_f32 v7, s[40:41], v3, v3, v1
	v_rcp_f32_e32 v12, v7
	v_fma_f32 v13, -v7, v12, 1.0
	v_fmac_f32_e32 v12, v13, v12
	v_div_scale_f32 v13, vcc, v1, v3, v1
	v_mul_f32_e32 v14, v13, v12
	v_fma_f32 v15, -v7, v14, v13
	v_fmac_f32_e32 v14, v15, v12
	v_fma_f32 v7, -v7, v14, v13
	v_div_fmas_f32 v7, v7, v12, v14
	v_div_fixup_f32 v1, v7, v3, v1
	v_div_scale_f32 v7, s[40:41], v3, v3, v0
	v_rcp_f32_e32 v12, v7
	v_fma_f32 v13, -v7, v12, 1.0
	v_fmac_f32_e32 v12, v13, v12
	v_div_scale_f32 v13, vcc, v0, v3, v0
	v_mul_f32_e32 v14, v13, v12
	v_fma_f32 v15, -v7, v14, v13
	v_fmac_f32_e32 v14, v15, v12
	v_fma_f32 v7, -v7, v14, v13
	v_div_fmas_f32 v7, v7, v12, v14
	v_div_fixup_f32 v0, v7, v3, v0
	global_store_dwordx2 v[10:11], v[0:1], off
	v_accvgpr_read_b32 v0, a44
	ds_read2st64_b32 v[10:11], v0 offset0:33 offset1:66
	ds_read_b32 v16, v0 offset:25344
	v_cvt_f32_f16_sdwa v13, v9 dst_sel:DWORD dst_unused:UNUSED_PAD src0_sel:WORD_1
	v_cvt_f32_f16_e32 v12, v9
	v_ashrrev_i32_e32 v1, 31, v5
	s_waitcnt lgkmcnt(1)
	v_cvt_f32_f16_sdwa v15, v10 dst_sel:DWORD dst_unused:UNUSED_PAD src0_sel:WORD_1
	v_cvt_f32_f16_e32 v14, v10
	v_pk_fma_f32 v[12:13], v[2:3], v[12:13], 0 op_sel_hi:[0,1,0]
	v_add_co_u32_e32 v0, vcc, v42, v5
	v_pk_fma_f32 v[6:7], v[6:7], v[14:15], v[12:13] op_sel_hi:[0,1,1]
	v_cvt_f32_f16_sdwa v13, v11 dst_sel:DWORD dst_unused:UNUSED_PAD src0_sel:WORD_1
	v_cvt_f32_f16_e32 v12, v11
	v_addc_co_u32_e32 v1, vcc, 0, v1, vcc
	v_lshlrev_b64 v[0:1], 3, v[0:1]
	v_pk_fma_f32 v[6:7], v[8:9], v[12:13], v[6:7] op_sel_hi:[0,1,1]
	s_waitcnt lgkmcnt(0)
	v_cvt_f32_f16_sdwa v9, v16 dst_sel:DWORD dst_unused:UNUSED_PAD src0_sel:WORD_1
	v_cvt_f32_f16_e32 v8, v16
	v_add_co_u32_e32 v0, vcc, s8, v0
	v_mov_b32_e32 v5, s33
	v_addc_co_u32_e32 v1, vcc, v5, v1, vcc
	v_pk_fma_f32 v[4:5], v[4:5], v[8:9], v[6:7] op_sel_hi:[0,1,1]
	v_div_scale_f32 v2, s[40:41], v3, v3, v5
	v_rcp_f32_e32 v6, v2
	v_fma_f32 v7, -v2, v6, 1.0
	v_fmac_f32_e32 v6, v7, v6
	v_div_scale_f32 v7, vcc, v5, v3, v5
	v_mul_f32_e32 v8, v7, v6
	v_fma_f32 v9, -v2, v8, v7
	v_fmac_f32_e32 v8, v9, v6
	v_fma_f32 v2, -v2, v8, v7
	v_div_fmas_f32 v2, v2, v6, v8
	v_div_fixup_f32 v5, v2, v3, v5
	v_div_scale_f32 v2, s[40:41], v3, v3, v4
	v_rcp_f32_e32 v6, v2
	v_fma_f32 v7, -v2, v6, 1.0
	v_fmac_f32_e32 v6, v7, v6
	v_div_scale_f32 v7, vcc, v4, v3, v4
	v_mul_f32_e32 v8, v7, v6
	v_fma_f32 v9, -v2, v8, v7
	v_fmac_f32_e32 v8, v9, v6
	v_fma_f32 v2, -v2, v8, v7
	v_div_fmas_f32 v2, v2, v6, v8
	v_div_fixup_f32 v4, v2, v3, v4
	global_store_dwordx2 v[0:1], v[4:5], off offset:512
	v_mov_b32_e32 v0, 0
.LBB30_292:                             ;   in Loop: Header=BB30_14 Depth=1
	s_or_b64 exec, exec, s[38:39]
	s_movk_i32 s8, 0x47
	v_cmp_gt_i32_e32 vcc, s8, v0
	s_mov_b64 s[38:39], -1
	s_and_saveexec_b64 s[40:41], vcc
; %bb.293:                              ;   in Loop: Header=BB30_14 Depth=1
	v_cmp_eq_u32_e32 vcc, 0, v0
	s_orn2_b64 s[38:39], vcc, exec
; %bb.294:                              ;   in Loop: Header=BB30_14 Depth=1
	s_or_b64 exec, exec, s[40:41]
	s_and_b64 exec, exec, s[38:39]
	s_cbranch_execz .LBB30_12
; %bb.295:                              ;   in Loop: Header=BB30_14 Depth=1
	v_accvgpr_read_b32 v0, a17
	v_add_u32_e32 v1, s72, v0
	v_cmp_gt_i32_e32 vcc, s52, v1
	v_mov_b32_e32 v0, 0x47
	s_and_saveexec_b64 s[38:39], vcc
	s_cbranch_execz .LBB30_297
; %bb.296:                              ;   in Loop: Header=BB30_14 Depth=1
	v_readlane_b32 s8, v254, 63
	v_accvgpr_read_b32 v0, a46
	v_mul_lo_u32 v5, s8, v1
	v_add_u32_e32 v0, 0, v0
	v_accvgpr_read_b32 v10, a45
	ds_read2_b32 v[2:3], v0 offset0:128 offset1:129
	ds_read2st64_b32 v[6:7], v0 offset0:35 offset1:68
	ds_read_b32 v4, v0 offset:25856
	ds_read2st64_b32 v[8:9], v10 offset1:1
	ds_read2st64_b32 v[0:1], v10 offset0:33 offset1:66
	ds_read_b32 v16, v10 offset:25344
	v_add_u32_e32 v10, v42, v5
	v_ashrrev_i32_e32 v11, 31, v10
	v_lshlrev_b64 v[10:11], 3, v[10:11]
	v_readlane_b32 s8, v255, 23
	v_readlane_b32 s33, v255, 24
	v_add_co_u32_e32 v10, vcc, s8, v10
	v_mov_b32_e32 v12, s33
	v_addc_co_u32_e32 v11, vcc, v12, v11, vcc
	s_waitcnt lgkmcnt(2)
	v_cvt_f32_f16_sdwa v13, v8 dst_sel:DWORD dst_unused:UNUSED_PAD src0_sel:WORD_1
	v_cvt_f32_f16_e32 v12, v8
	s_waitcnt lgkmcnt(1)
	v_cvt_f32_f16_sdwa v15, v0 dst_sel:DWORD dst_unused:UNUSED_PAD src0_sel:WORD_1
	v_cvt_f32_f16_e32 v14, v0
	v_mov_b32_e32 v8, v7
	v_pk_fma_f32 v[12:13], v[2:3], v[12:13], 0 op_sel_hi:[0,1,0]
	v_pk_fma_f32 v[12:13], v[6:7], v[14:15], v[12:13] op_sel_hi:[0,1,1]
	v_cvt_f32_f16_sdwa v15, v1 dst_sel:DWORD dst_unused:UNUSED_PAD src0_sel:WORD_1
	v_cvt_f32_f16_e32 v14, v1
	v_pk_fma_f32 v[0:1], v[8:9], v[14:15], v[12:13] op_sel_hi:[0,1,1]
	s_waitcnt lgkmcnt(0)
	v_cvt_f32_f16_sdwa v13, v16 dst_sel:DWORD dst_unused:UNUSED_PAD src0_sel:WORD_1
	v_cvt_f32_f16_e32 v12, v16
	v_pk_fma_f32 v[0:1], v[4:5], v[12:13], v[0:1] op_sel_hi:[0,1,1]
	v_div_scale_f32 v7, s[40:41], v3, v3, v1
	v_rcp_f32_e32 v12, v7
	v_fma_f32 v13, -v7, v12, 1.0
	v_fmac_f32_e32 v12, v13, v12
	v_div_scale_f32 v13, vcc, v1, v3, v1
	v_mul_f32_e32 v14, v13, v12
	v_fma_f32 v15, -v7, v14, v13
	v_fmac_f32_e32 v14, v15, v12
	v_fma_f32 v7, -v7, v14, v13
	v_div_fmas_f32 v7, v7, v12, v14
	v_div_fixup_f32 v1, v7, v3, v1
	v_div_scale_f32 v7, s[40:41], v3, v3, v0
	v_rcp_f32_e32 v12, v7
	v_fma_f32 v13, -v7, v12, 1.0
	v_fmac_f32_e32 v12, v13, v12
	v_div_scale_f32 v13, vcc, v0, v3, v0
	v_mul_f32_e32 v14, v13, v12
	v_fma_f32 v15, -v7, v14, v13
	v_fmac_f32_e32 v14, v15, v12
	v_fma_f32 v7, -v7, v14, v13
	v_div_fmas_f32 v7, v7, v12, v14
	v_div_fixup_f32 v0, v7, v3, v0
	global_store_dwordx2 v[10:11], v[0:1], off
	v_accvgpr_read_b32 v0, a47
	ds_read2st64_b32 v[10:11], v0 offset0:33 offset1:66
	ds_read_b32 v16, v0 offset:25344
	v_cvt_f32_f16_sdwa v13, v9 dst_sel:DWORD dst_unused:UNUSED_PAD src0_sel:WORD_1
	v_cvt_f32_f16_e32 v12, v9
	v_ashrrev_i32_e32 v1, 31, v5
	s_waitcnt lgkmcnt(1)
	v_cvt_f32_f16_sdwa v15, v10 dst_sel:DWORD dst_unused:UNUSED_PAD src0_sel:WORD_1
	v_cvt_f32_f16_e32 v14, v10
	v_pk_fma_f32 v[12:13], v[2:3], v[12:13], 0 op_sel_hi:[0,1,0]
	v_add_co_u32_e32 v0, vcc, v42, v5
	v_pk_fma_f32 v[6:7], v[6:7], v[14:15], v[12:13] op_sel_hi:[0,1,1]
	v_cvt_f32_f16_sdwa v13, v11 dst_sel:DWORD dst_unused:UNUSED_PAD src0_sel:WORD_1
	v_cvt_f32_f16_e32 v12, v11
	v_addc_co_u32_e32 v1, vcc, 0, v1, vcc
	v_lshlrev_b64 v[0:1], 3, v[0:1]
	v_pk_fma_f32 v[6:7], v[8:9], v[12:13], v[6:7] op_sel_hi:[0,1,1]
	s_waitcnt lgkmcnt(0)
	v_cvt_f32_f16_sdwa v9, v16 dst_sel:DWORD dst_unused:UNUSED_PAD src0_sel:WORD_1
	v_cvt_f32_f16_e32 v8, v16
	v_add_co_u32_e32 v0, vcc, s8, v0
	v_mov_b32_e32 v5, s33
	v_addc_co_u32_e32 v1, vcc, v5, v1, vcc
	v_pk_fma_f32 v[4:5], v[4:5], v[8:9], v[6:7] op_sel_hi:[0,1,1]
	v_div_scale_f32 v2, s[40:41], v3, v3, v5
	v_rcp_f32_e32 v6, v2
	v_fma_f32 v7, -v2, v6, 1.0
	v_fmac_f32_e32 v6, v7, v6
	v_div_scale_f32 v7, vcc, v5, v3, v5
	v_mul_f32_e32 v8, v7, v6
	v_fma_f32 v9, -v2, v8, v7
	v_fmac_f32_e32 v8, v9, v6
	v_fma_f32 v2, -v2, v8, v7
	v_div_fmas_f32 v2, v2, v6, v8
	v_div_fixup_f32 v5, v2, v3, v5
	v_div_scale_f32 v2, s[40:41], v3, v3, v4
	v_rcp_f32_e32 v6, v2
	v_fma_f32 v7, -v2, v6, 1.0
	v_fmac_f32_e32 v6, v7, v6
	v_div_scale_f32 v7, vcc, v4, v3, v4
	v_mul_f32_e32 v8, v7, v6
	v_fma_f32 v9, -v2, v8, v7
	v_fmac_f32_e32 v8, v9, v6
	v_fma_f32 v2, -v2, v8, v7
	v_div_fmas_f32 v2, v2, v6, v8
	v_div_fixup_f32 v4, v2, v3, v4
	global_store_dwordx2 v[0:1], v[4:5], off offset:512
	v_mov_b32_e32 v0, 0
.LBB30_297:                             ;   in Loop: Header=BB30_14 Depth=1
	s_or_b64 exec, exec, s[38:39]
	s_movk_i32 s8, 0x47
	v_cmp_gt_i32_e32 vcc, s8, v0
	s_mov_b64 s[38:39], -1
	s_and_saveexec_b64 s[40:41], vcc
; %bb.298:                              ;   in Loop: Header=BB30_14 Depth=1
	v_cmp_eq_u32_e32 vcc, 0, v0
	s_orn2_b64 s[38:39], vcc, exec
; %bb.299:                              ;   in Loop: Header=BB30_14 Depth=1
	s_or_b64 exec, exec, s[40:41]
	s_and_b64 exec, exec, s[38:39]
	s_cbranch_execz .LBB30_12
; %bb.300:                              ;   in Loop: Header=BB30_14 Depth=1
	v_accvgpr_read_b32 v0, a18
	v_add_u32_e32 v1, s72, v0
	v_cmp_gt_i32_e32 vcc, s52, v1
	v_mov_b32_e32 v0, 0x47
	s_and_saveexec_b64 s[38:39], vcc
	s_cbranch_execz .LBB30_302
; %bb.301:                              ;   in Loop: Header=BB30_14 Depth=1
	v_readlane_b32 s8, v254, 63
	v_accvgpr_read_b32 v0, a49
	v_mul_lo_u32 v5, s8, v1
	v_add_u32_e32 v0, 0, v0
	v_accvgpr_read_b32 v10, a48
	ds_read2_b32 v[2:3], v0 offset0:128 offset1:129
	ds_read2st64_b32 v[6:7], v0 offset0:35 offset1:68
	ds_read_b32 v4, v0 offset:25856
	ds_read2st64_b32 v[8:9], v10 offset1:1
	ds_read2st64_b32 v[0:1], v10 offset0:33 offset1:66
	ds_read_b32 v16, v10 offset:25344
	v_add_u32_e32 v10, v42, v5
	v_ashrrev_i32_e32 v11, 31, v10
	v_lshlrev_b64 v[10:11], 3, v[10:11]
	v_readlane_b32 s8, v255, 23
	v_readlane_b32 s33, v255, 24
	v_add_co_u32_e32 v10, vcc, s8, v10
	v_mov_b32_e32 v12, s33
	v_addc_co_u32_e32 v11, vcc, v12, v11, vcc
	s_waitcnt lgkmcnt(2)
	v_cvt_f32_f16_sdwa v13, v8 dst_sel:DWORD dst_unused:UNUSED_PAD src0_sel:WORD_1
	v_cvt_f32_f16_e32 v12, v8
	s_waitcnt lgkmcnt(1)
	v_cvt_f32_f16_sdwa v15, v0 dst_sel:DWORD dst_unused:UNUSED_PAD src0_sel:WORD_1
	v_cvt_f32_f16_e32 v14, v0
	v_mov_b32_e32 v8, v7
	v_pk_fma_f32 v[12:13], v[2:3], v[12:13], 0 op_sel_hi:[0,1,0]
	v_pk_fma_f32 v[12:13], v[6:7], v[14:15], v[12:13] op_sel_hi:[0,1,1]
	v_cvt_f32_f16_sdwa v15, v1 dst_sel:DWORD dst_unused:UNUSED_PAD src0_sel:WORD_1
	v_cvt_f32_f16_e32 v14, v1
	v_pk_fma_f32 v[0:1], v[8:9], v[14:15], v[12:13] op_sel_hi:[0,1,1]
	s_waitcnt lgkmcnt(0)
	v_cvt_f32_f16_sdwa v13, v16 dst_sel:DWORD dst_unused:UNUSED_PAD src0_sel:WORD_1
	v_cvt_f32_f16_e32 v12, v16
	v_pk_fma_f32 v[0:1], v[4:5], v[12:13], v[0:1] op_sel_hi:[0,1,1]
	v_div_scale_f32 v7, s[40:41], v3, v3, v1
	v_rcp_f32_e32 v12, v7
	v_fma_f32 v13, -v7, v12, 1.0
	v_fmac_f32_e32 v12, v13, v12
	v_div_scale_f32 v13, vcc, v1, v3, v1
	v_mul_f32_e32 v14, v13, v12
	v_fma_f32 v15, -v7, v14, v13
	v_fmac_f32_e32 v14, v15, v12
	v_fma_f32 v7, -v7, v14, v13
	v_div_fmas_f32 v7, v7, v12, v14
	v_div_fixup_f32 v1, v7, v3, v1
	v_div_scale_f32 v7, s[40:41], v3, v3, v0
	v_rcp_f32_e32 v12, v7
	v_fma_f32 v13, -v7, v12, 1.0
	v_fmac_f32_e32 v12, v13, v12
	v_div_scale_f32 v13, vcc, v0, v3, v0
	v_mul_f32_e32 v14, v13, v12
	v_fma_f32 v15, -v7, v14, v13
	v_fmac_f32_e32 v14, v15, v12
	v_fma_f32 v7, -v7, v14, v13
	v_div_fmas_f32 v7, v7, v12, v14
	v_div_fixup_f32 v0, v7, v3, v0
	global_store_dwordx2 v[10:11], v[0:1], off
	v_accvgpr_read_b32 v0, a50
	ds_read2st64_b32 v[10:11], v0 offset0:33 offset1:66
	ds_read_b32 v16, v0 offset:25344
	v_cvt_f32_f16_sdwa v13, v9 dst_sel:DWORD dst_unused:UNUSED_PAD src0_sel:WORD_1
	v_cvt_f32_f16_e32 v12, v9
	v_ashrrev_i32_e32 v1, 31, v5
	s_waitcnt lgkmcnt(1)
	v_cvt_f32_f16_sdwa v15, v10 dst_sel:DWORD dst_unused:UNUSED_PAD src0_sel:WORD_1
	v_cvt_f32_f16_e32 v14, v10
	v_pk_fma_f32 v[12:13], v[2:3], v[12:13], 0 op_sel_hi:[0,1,0]
	v_add_co_u32_e32 v0, vcc, v42, v5
	v_pk_fma_f32 v[6:7], v[6:7], v[14:15], v[12:13] op_sel_hi:[0,1,1]
	v_cvt_f32_f16_sdwa v13, v11 dst_sel:DWORD dst_unused:UNUSED_PAD src0_sel:WORD_1
	v_cvt_f32_f16_e32 v12, v11
	v_addc_co_u32_e32 v1, vcc, 0, v1, vcc
	v_lshlrev_b64 v[0:1], 3, v[0:1]
	v_pk_fma_f32 v[6:7], v[8:9], v[12:13], v[6:7] op_sel_hi:[0,1,1]
	s_waitcnt lgkmcnt(0)
	v_cvt_f32_f16_sdwa v9, v16 dst_sel:DWORD dst_unused:UNUSED_PAD src0_sel:WORD_1
	v_cvt_f32_f16_e32 v8, v16
	v_add_co_u32_e32 v0, vcc, s8, v0
	v_mov_b32_e32 v5, s33
	v_addc_co_u32_e32 v1, vcc, v5, v1, vcc
	v_pk_fma_f32 v[4:5], v[4:5], v[8:9], v[6:7] op_sel_hi:[0,1,1]
	v_div_scale_f32 v2, s[40:41], v3, v3, v5
	v_rcp_f32_e32 v6, v2
	v_fma_f32 v7, -v2, v6, 1.0
	v_fmac_f32_e32 v6, v7, v6
	v_div_scale_f32 v7, vcc, v5, v3, v5
	v_mul_f32_e32 v8, v7, v6
	v_fma_f32 v9, -v2, v8, v7
	v_fmac_f32_e32 v8, v9, v6
	v_fma_f32 v2, -v2, v8, v7
	v_div_fmas_f32 v2, v2, v6, v8
	v_div_fixup_f32 v5, v2, v3, v5
	v_div_scale_f32 v2, s[40:41], v3, v3, v4
	v_rcp_f32_e32 v6, v2
	v_fma_f32 v7, -v2, v6, 1.0
	v_fmac_f32_e32 v6, v7, v6
	v_div_scale_f32 v7, vcc, v4, v3, v4
	v_mul_f32_e32 v8, v7, v6
	v_fma_f32 v9, -v2, v8, v7
	v_fmac_f32_e32 v8, v9, v6
	v_fma_f32 v2, -v2, v8, v7
	v_div_fmas_f32 v2, v2, v6, v8
	v_div_fixup_f32 v4, v2, v3, v4
	global_store_dwordx2 v[0:1], v[4:5], off offset:512
	v_mov_b32_e32 v0, 0
.LBB30_302:                             ;   in Loop: Header=BB30_14 Depth=1
	s_or_b64 exec, exec, s[38:39]
	s_movk_i32 s8, 0x47
	v_cmp_gt_i32_e32 vcc, s8, v0
	s_mov_b64 s[38:39], -1
	s_and_saveexec_b64 s[40:41], vcc
; %bb.303:                              ;   in Loop: Header=BB30_14 Depth=1
	v_cmp_eq_u32_e32 vcc, 0, v0
	s_orn2_b64 s[38:39], vcc, exec
; %bb.304:                              ;   in Loop: Header=BB30_14 Depth=1
	s_or_b64 exec, exec, s[40:41]
	s_and_b64 exec, exec, s[38:39]
	s_cbranch_execz .LBB30_12
; %bb.305:                              ;   in Loop: Header=BB30_14 Depth=1
	v_accvgpr_read_b32 v0, a19
	v_add_u32_e32 v1, s72, v0
	v_cmp_gt_i32_e32 vcc, s52, v1
	v_mov_b32_e32 v0, 0x47
	s_and_saveexec_b64 s[38:39], vcc
	s_cbranch_execz .LBB30_307
; %bb.306:                              ;   in Loop: Header=BB30_14 Depth=1
	v_readlane_b32 s8, v254, 63
	v_accvgpr_read_b32 v0, a52
	v_mul_lo_u32 v5, s8, v1
	v_add_u32_e32 v0, 0, v0
	v_accvgpr_read_b32 v10, a51
	ds_read2_b32 v[2:3], v0 offset0:128 offset1:129
	ds_read2st64_b32 v[6:7], v0 offset0:35 offset1:68
	ds_read_b32 v4, v0 offset:25856
	ds_read2st64_b32 v[8:9], v10 offset1:1
	ds_read2st64_b32 v[0:1], v10 offset0:33 offset1:66
	ds_read_b32 v16, v10 offset:25344
	v_add_u32_e32 v10, v42, v5
	v_ashrrev_i32_e32 v11, 31, v10
	v_lshlrev_b64 v[10:11], 3, v[10:11]
	v_readlane_b32 s8, v255, 23
	v_readlane_b32 s33, v255, 24
	v_add_co_u32_e32 v10, vcc, s8, v10
	v_mov_b32_e32 v12, s33
	v_addc_co_u32_e32 v11, vcc, v12, v11, vcc
	s_waitcnt lgkmcnt(2)
	v_cvt_f32_f16_sdwa v13, v8 dst_sel:DWORD dst_unused:UNUSED_PAD src0_sel:WORD_1
	v_cvt_f32_f16_e32 v12, v8
	s_waitcnt lgkmcnt(1)
	v_cvt_f32_f16_sdwa v15, v0 dst_sel:DWORD dst_unused:UNUSED_PAD src0_sel:WORD_1
	v_cvt_f32_f16_e32 v14, v0
	v_mov_b32_e32 v8, v7
	v_pk_fma_f32 v[12:13], v[2:3], v[12:13], 0 op_sel_hi:[0,1,0]
	v_pk_fma_f32 v[12:13], v[6:7], v[14:15], v[12:13] op_sel_hi:[0,1,1]
	v_cvt_f32_f16_sdwa v15, v1 dst_sel:DWORD dst_unused:UNUSED_PAD src0_sel:WORD_1
	v_cvt_f32_f16_e32 v14, v1
	v_pk_fma_f32 v[0:1], v[8:9], v[14:15], v[12:13] op_sel_hi:[0,1,1]
	s_waitcnt lgkmcnt(0)
	v_cvt_f32_f16_sdwa v13, v16 dst_sel:DWORD dst_unused:UNUSED_PAD src0_sel:WORD_1
	v_cvt_f32_f16_e32 v12, v16
	v_pk_fma_f32 v[0:1], v[4:5], v[12:13], v[0:1] op_sel_hi:[0,1,1]
	v_div_scale_f32 v7, s[40:41], v3, v3, v1
	v_rcp_f32_e32 v12, v7
	v_fma_f32 v13, -v7, v12, 1.0
	v_fmac_f32_e32 v12, v13, v12
	v_div_scale_f32 v13, vcc, v1, v3, v1
	v_mul_f32_e32 v14, v13, v12
	v_fma_f32 v15, -v7, v14, v13
	v_fmac_f32_e32 v14, v15, v12
	v_fma_f32 v7, -v7, v14, v13
	v_div_fmas_f32 v7, v7, v12, v14
	v_div_fixup_f32 v1, v7, v3, v1
	v_div_scale_f32 v7, s[40:41], v3, v3, v0
	v_rcp_f32_e32 v12, v7
	v_fma_f32 v13, -v7, v12, 1.0
	v_fmac_f32_e32 v12, v13, v12
	v_div_scale_f32 v13, vcc, v0, v3, v0
	v_mul_f32_e32 v14, v13, v12
	v_fma_f32 v15, -v7, v14, v13
	v_fmac_f32_e32 v14, v15, v12
	v_fma_f32 v7, -v7, v14, v13
	v_div_fmas_f32 v7, v7, v12, v14
	v_div_fixup_f32 v0, v7, v3, v0
	global_store_dwordx2 v[10:11], v[0:1], off
	v_accvgpr_read_b32 v0, a53
	ds_read2st64_b32 v[10:11], v0 offset0:33 offset1:66
	ds_read_b32 v16, v0 offset:25344
	v_cvt_f32_f16_sdwa v13, v9 dst_sel:DWORD dst_unused:UNUSED_PAD src0_sel:WORD_1
	v_cvt_f32_f16_e32 v12, v9
	v_ashrrev_i32_e32 v1, 31, v5
	s_waitcnt lgkmcnt(1)
	v_cvt_f32_f16_sdwa v15, v10 dst_sel:DWORD dst_unused:UNUSED_PAD src0_sel:WORD_1
	v_cvt_f32_f16_e32 v14, v10
	v_pk_fma_f32 v[12:13], v[2:3], v[12:13], 0 op_sel_hi:[0,1,0]
	v_add_co_u32_e32 v0, vcc, v42, v5
	v_pk_fma_f32 v[6:7], v[6:7], v[14:15], v[12:13] op_sel_hi:[0,1,1]
	v_cvt_f32_f16_sdwa v13, v11 dst_sel:DWORD dst_unused:UNUSED_PAD src0_sel:WORD_1
	v_cvt_f32_f16_e32 v12, v11
	v_addc_co_u32_e32 v1, vcc, 0, v1, vcc
	v_lshlrev_b64 v[0:1], 3, v[0:1]
	v_pk_fma_f32 v[6:7], v[8:9], v[12:13], v[6:7] op_sel_hi:[0,1,1]
	s_waitcnt lgkmcnt(0)
	v_cvt_f32_f16_sdwa v9, v16 dst_sel:DWORD dst_unused:UNUSED_PAD src0_sel:WORD_1
	v_cvt_f32_f16_e32 v8, v16
	v_add_co_u32_e32 v0, vcc, s8, v0
	v_mov_b32_e32 v5, s33
	v_addc_co_u32_e32 v1, vcc, v5, v1, vcc
	v_pk_fma_f32 v[4:5], v[4:5], v[8:9], v[6:7] op_sel_hi:[0,1,1]
	v_div_scale_f32 v2, s[40:41], v3, v3, v5
	v_rcp_f32_e32 v6, v2
	v_fma_f32 v7, -v2, v6, 1.0
	v_fmac_f32_e32 v6, v7, v6
	v_div_scale_f32 v7, vcc, v5, v3, v5
	v_mul_f32_e32 v8, v7, v6
	v_fma_f32 v9, -v2, v8, v7
	v_fmac_f32_e32 v8, v9, v6
	v_fma_f32 v2, -v2, v8, v7
	v_div_fmas_f32 v2, v2, v6, v8
	v_div_fixup_f32 v5, v2, v3, v5
	v_div_scale_f32 v2, s[40:41], v3, v3, v4
	v_rcp_f32_e32 v6, v2
	v_fma_f32 v7, -v2, v6, 1.0
	v_fmac_f32_e32 v6, v7, v6
	v_div_scale_f32 v7, vcc, v4, v3, v4
	v_mul_f32_e32 v8, v7, v6
	v_fma_f32 v9, -v2, v8, v7
	v_fmac_f32_e32 v8, v9, v6
	v_fma_f32 v2, -v2, v8, v7
	v_div_fmas_f32 v2, v2, v6, v8
	v_div_fixup_f32 v4, v2, v3, v4
	global_store_dwordx2 v[0:1], v[4:5], off offset:512
	v_mov_b32_e32 v0, 0
.LBB30_307:                             ;   in Loop: Header=BB30_14 Depth=1
	s_or_b64 exec, exec, s[38:39]
	s_movk_i32 s8, 0x47
	v_cmp_gt_i32_e32 vcc, s8, v0
	s_mov_b64 s[38:39], -1
	s_and_saveexec_b64 s[40:41], vcc
; %bb.308:                              ;   in Loop: Header=BB30_14 Depth=1
	v_cmp_eq_u32_e32 vcc, 0, v0
	s_orn2_b64 s[38:39], vcc, exec
; %bb.309:                              ;   in Loop: Header=BB30_14 Depth=1
	s_or_b64 exec, exec, s[40:41]
	s_and_b64 exec, exec, s[38:39]
	s_cbranch_execz .LBB30_12
; %bb.310:                              ;   in Loop: Header=BB30_14 Depth=1
	v_accvgpr_read_b32 v0, a20
	v_add_u32_e32 v1, s72, v0
	v_cmp_gt_i32_e32 vcc, s52, v1
	v_mov_b32_e32 v0, 0x47
	s_and_saveexec_b64 s[38:39], vcc
	s_cbranch_execz .LBB30_312
; %bb.311:                              ;   in Loop: Header=BB30_14 Depth=1
	v_readlane_b32 s8, v254, 63
	v_accvgpr_read_b32 v0, a55
	v_mul_lo_u32 v5, s8, v1
	v_add_u32_e32 v0, 0, v0
	v_accvgpr_read_b32 v10, a54
	ds_read2_b32 v[2:3], v0 offset0:128 offset1:129
	ds_read2st64_b32 v[6:7], v0 offset0:35 offset1:68
	ds_read_b32 v4, v0 offset:25856
	ds_read2st64_b32 v[8:9], v10 offset1:1
	ds_read2st64_b32 v[0:1], v10 offset0:33 offset1:66
	ds_read_b32 v16, v10 offset:25344
	v_add_u32_e32 v10, v42, v5
	v_ashrrev_i32_e32 v11, 31, v10
	v_lshlrev_b64 v[10:11], 3, v[10:11]
	v_readlane_b32 s8, v255, 23
	v_readlane_b32 s33, v255, 24
	v_add_co_u32_e32 v10, vcc, s8, v10
	v_mov_b32_e32 v12, s33
	v_addc_co_u32_e32 v11, vcc, v12, v11, vcc
	s_waitcnt lgkmcnt(2)
	v_cvt_f32_f16_sdwa v13, v8 dst_sel:DWORD dst_unused:UNUSED_PAD src0_sel:WORD_1
	v_cvt_f32_f16_e32 v12, v8
	s_waitcnt lgkmcnt(1)
	v_cvt_f32_f16_sdwa v15, v0 dst_sel:DWORD dst_unused:UNUSED_PAD src0_sel:WORD_1
	v_cvt_f32_f16_e32 v14, v0
	v_mov_b32_e32 v8, v7
	v_pk_fma_f32 v[12:13], v[2:3], v[12:13], 0 op_sel_hi:[0,1,0]
	v_pk_fma_f32 v[12:13], v[6:7], v[14:15], v[12:13] op_sel_hi:[0,1,1]
	v_cvt_f32_f16_sdwa v15, v1 dst_sel:DWORD dst_unused:UNUSED_PAD src0_sel:WORD_1
	v_cvt_f32_f16_e32 v14, v1
	v_pk_fma_f32 v[0:1], v[8:9], v[14:15], v[12:13] op_sel_hi:[0,1,1]
	s_waitcnt lgkmcnt(0)
	v_cvt_f32_f16_sdwa v13, v16 dst_sel:DWORD dst_unused:UNUSED_PAD src0_sel:WORD_1
	v_cvt_f32_f16_e32 v12, v16
	v_pk_fma_f32 v[0:1], v[4:5], v[12:13], v[0:1] op_sel_hi:[0,1,1]
	v_div_scale_f32 v7, s[40:41], v3, v3, v1
	v_rcp_f32_e32 v12, v7
	v_fma_f32 v13, -v7, v12, 1.0
	v_fmac_f32_e32 v12, v13, v12
	v_div_scale_f32 v13, vcc, v1, v3, v1
	v_mul_f32_e32 v14, v13, v12
	v_fma_f32 v15, -v7, v14, v13
	v_fmac_f32_e32 v14, v15, v12
	v_fma_f32 v7, -v7, v14, v13
	v_div_fmas_f32 v7, v7, v12, v14
	v_div_fixup_f32 v1, v7, v3, v1
	v_div_scale_f32 v7, s[40:41], v3, v3, v0
	v_rcp_f32_e32 v12, v7
	v_fma_f32 v13, -v7, v12, 1.0
	v_fmac_f32_e32 v12, v13, v12
	v_div_scale_f32 v13, vcc, v0, v3, v0
	v_mul_f32_e32 v14, v13, v12
	v_fma_f32 v15, -v7, v14, v13
	v_fmac_f32_e32 v14, v15, v12
	v_fma_f32 v7, -v7, v14, v13
	v_div_fmas_f32 v7, v7, v12, v14
	v_div_fixup_f32 v0, v7, v3, v0
	global_store_dwordx2 v[10:11], v[0:1], off
	v_accvgpr_read_b32 v0, a56
	ds_read2st64_b32 v[10:11], v0 offset0:33 offset1:66
	ds_read_b32 v16, v0 offset:25344
	v_cvt_f32_f16_sdwa v13, v9 dst_sel:DWORD dst_unused:UNUSED_PAD src0_sel:WORD_1
	v_cvt_f32_f16_e32 v12, v9
	v_ashrrev_i32_e32 v1, 31, v5
	s_waitcnt lgkmcnt(1)
	v_cvt_f32_f16_sdwa v15, v10 dst_sel:DWORD dst_unused:UNUSED_PAD src0_sel:WORD_1
	v_cvt_f32_f16_e32 v14, v10
	v_pk_fma_f32 v[12:13], v[2:3], v[12:13], 0 op_sel_hi:[0,1,0]
	v_add_co_u32_e32 v0, vcc, v42, v5
	v_pk_fma_f32 v[6:7], v[6:7], v[14:15], v[12:13] op_sel_hi:[0,1,1]
	v_cvt_f32_f16_sdwa v13, v11 dst_sel:DWORD dst_unused:UNUSED_PAD src0_sel:WORD_1
	v_cvt_f32_f16_e32 v12, v11
	v_addc_co_u32_e32 v1, vcc, 0, v1, vcc
	v_lshlrev_b64 v[0:1], 3, v[0:1]
	v_pk_fma_f32 v[6:7], v[8:9], v[12:13], v[6:7] op_sel_hi:[0,1,1]
	s_waitcnt lgkmcnt(0)
	v_cvt_f32_f16_sdwa v9, v16 dst_sel:DWORD dst_unused:UNUSED_PAD src0_sel:WORD_1
	v_cvt_f32_f16_e32 v8, v16
	v_add_co_u32_e32 v0, vcc, s8, v0
	v_mov_b32_e32 v5, s33
	v_addc_co_u32_e32 v1, vcc, v5, v1, vcc
	v_pk_fma_f32 v[4:5], v[4:5], v[8:9], v[6:7] op_sel_hi:[0,1,1]
	v_div_scale_f32 v2, s[40:41], v3, v3, v5
	v_rcp_f32_e32 v6, v2
	v_fma_f32 v7, -v2, v6, 1.0
	v_fmac_f32_e32 v6, v7, v6
	v_div_scale_f32 v7, vcc, v5, v3, v5
	v_mul_f32_e32 v8, v7, v6
	v_fma_f32 v9, -v2, v8, v7
	v_fmac_f32_e32 v8, v9, v6
	v_fma_f32 v2, -v2, v8, v7
	v_div_fmas_f32 v2, v2, v6, v8
	v_div_fixup_f32 v5, v2, v3, v5
	v_div_scale_f32 v2, s[40:41], v3, v3, v4
	v_rcp_f32_e32 v6, v2
	v_fma_f32 v7, -v2, v6, 1.0
	v_fmac_f32_e32 v6, v7, v6
	v_div_scale_f32 v7, vcc, v4, v3, v4
	v_mul_f32_e32 v8, v7, v6
	v_fma_f32 v9, -v2, v8, v7
	v_fmac_f32_e32 v8, v9, v6
	v_fma_f32 v2, -v2, v8, v7
	v_div_fmas_f32 v2, v2, v6, v8
	v_div_fixup_f32 v4, v2, v3, v4
	global_store_dwordx2 v[0:1], v[4:5], off offset:512
	v_mov_b32_e32 v0, 0
.LBB30_312:                             ;   in Loop: Header=BB30_14 Depth=1
	s_or_b64 exec, exec, s[38:39]
	s_movk_i32 s8, 0x47
	v_cmp_gt_i32_e32 vcc, s8, v0
	s_mov_b64 s[38:39], -1
	s_and_saveexec_b64 s[40:41], vcc
; %bb.313:                              ;   in Loop: Header=BB30_14 Depth=1
	v_cmp_eq_u32_e32 vcc, 0, v0
	s_orn2_b64 s[38:39], vcc, exec
; %bb.314:                              ;   in Loop: Header=BB30_14 Depth=1
	s_or_b64 exec, exec, s[40:41]
	s_and_b64 exec, exec, s[38:39]
	s_cbranch_execz .LBB30_12
; %bb.315:                              ;   in Loop: Header=BB30_14 Depth=1
	v_accvgpr_read_b32 v0, a21
	v_add_u32_e32 v1, s72, v0
	v_cmp_gt_i32_e32 vcc, s52, v1
	v_mov_b32_e32 v0, 0x47
	s_and_saveexec_b64 s[38:39], vcc
	s_cbranch_execz .LBB30_317
; %bb.316:                              ;   in Loop: Header=BB30_14 Depth=1
	v_readlane_b32 s8, v254, 63
	v_accvgpr_read_b32 v0, a58
	v_mul_lo_u32 v5, s8, v1
	v_add_u32_e32 v0, 0, v0
	v_accvgpr_read_b32 v10, a57
	ds_read2_b32 v[2:3], v0 offset0:128 offset1:129
	ds_read2st64_b32 v[6:7], v0 offset0:35 offset1:68
	ds_read_b32 v4, v0 offset:25856
	ds_read2st64_b32 v[8:9], v10 offset1:1
	ds_read2st64_b32 v[0:1], v10 offset0:33 offset1:66
	ds_read_b32 v16, v10 offset:25344
	v_add_u32_e32 v10, v42, v5
	v_ashrrev_i32_e32 v11, 31, v10
	v_lshlrev_b64 v[10:11], 3, v[10:11]
	v_readlane_b32 s8, v255, 23
	v_readlane_b32 s33, v255, 24
	v_add_co_u32_e32 v10, vcc, s8, v10
	v_mov_b32_e32 v12, s33
	v_addc_co_u32_e32 v11, vcc, v12, v11, vcc
	s_waitcnt lgkmcnt(2)
	v_cvt_f32_f16_sdwa v13, v8 dst_sel:DWORD dst_unused:UNUSED_PAD src0_sel:WORD_1
	v_cvt_f32_f16_e32 v12, v8
	s_waitcnt lgkmcnt(1)
	v_cvt_f32_f16_sdwa v15, v0 dst_sel:DWORD dst_unused:UNUSED_PAD src0_sel:WORD_1
	v_cvt_f32_f16_e32 v14, v0
	v_mov_b32_e32 v8, v7
	v_pk_fma_f32 v[12:13], v[2:3], v[12:13], 0 op_sel_hi:[0,1,0]
	v_pk_fma_f32 v[12:13], v[6:7], v[14:15], v[12:13] op_sel_hi:[0,1,1]
	v_cvt_f32_f16_sdwa v15, v1 dst_sel:DWORD dst_unused:UNUSED_PAD src0_sel:WORD_1
	v_cvt_f32_f16_e32 v14, v1
	v_pk_fma_f32 v[0:1], v[8:9], v[14:15], v[12:13] op_sel_hi:[0,1,1]
	s_waitcnt lgkmcnt(0)
	v_cvt_f32_f16_sdwa v13, v16 dst_sel:DWORD dst_unused:UNUSED_PAD src0_sel:WORD_1
	v_cvt_f32_f16_e32 v12, v16
	v_pk_fma_f32 v[0:1], v[4:5], v[12:13], v[0:1] op_sel_hi:[0,1,1]
	v_div_scale_f32 v7, s[40:41], v3, v3, v1
	v_rcp_f32_e32 v12, v7
	v_fma_f32 v13, -v7, v12, 1.0
	v_fmac_f32_e32 v12, v13, v12
	v_div_scale_f32 v13, vcc, v1, v3, v1
	v_mul_f32_e32 v14, v13, v12
	v_fma_f32 v15, -v7, v14, v13
	v_fmac_f32_e32 v14, v15, v12
	v_fma_f32 v7, -v7, v14, v13
	v_div_fmas_f32 v7, v7, v12, v14
	v_div_fixup_f32 v1, v7, v3, v1
	v_div_scale_f32 v7, s[40:41], v3, v3, v0
	v_rcp_f32_e32 v12, v7
	v_fma_f32 v13, -v7, v12, 1.0
	v_fmac_f32_e32 v12, v13, v12
	v_div_scale_f32 v13, vcc, v0, v3, v0
	v_mul_f32_e32 v14, v13, v12
	v_fma_f32 v15, -v7, v14, v13
	v_fmac_f32_e32 v14, v15, v12
	v_fma_f32 v7, -v7, v14, v13
	v_div_fmas_f32 v7, v7, v12, v14
	v_div_fixup_f32 v0, v7, v3, v0
	global_store_dwordx2 v[10:11], v[0:1], off
	v_accvgpr_read_b32 v0, a59
	ds_read2st64_b32 v[10:11], v0 offset0:33 offset1:66
	ds_read_b32 v16, v0 offset:25344
	v_cvt_f32_f16_sdwa v13, v9 dst_sel:DWORD dst_unused:UNUSED_PAD src0_sel:WORD_1
	v_cvt_f32_f16_e32 v12, v9
	v_ashrrev_i32_e32 v1, 31, v5
	s_waitcnt lgkmcnt(1)
	v_cvt_f32_f16_sdwa v15, v10 dst_sel:DWORD dst_unused:UNUSED_PAD src0_sel:WORD_1
	v_cvt_f32_f16_e32 v14, v10
	v_pk_fma_f32 v[12:13], v[2:3], v[12:13], 0 op_sel_hi:[0,1,0]
	v_add_co_u32_e32 v0, vcc, v42, v5
	v_pk_fma_f32 v[6:7], v[6:7], v[14:15], v[12:13] op_sel_hi:[0,1,1]
	v_cvt_f32_f16_sdwa v13, v11 dst_sel:DWORD dst_unused:UNUSED_PAD src0_sel:WORD_1
	v_cvt_f32_f16_e32 v12, v11
	v_addc_co_u32_e32 v1, vcc, 0, v1, vcc
	v_lshlrev_b64 v[0:1], 3, v[0:1]
	v_pk_fma_f32 v[6:7], v[8:9], v[12:13], v[6:7] op_sel_hi:[0,1,1]
	s_waitcnt lgkmcnt(0)
	v_cvt_f32_f16_sdwa v9, v16 dst_sel:DWORD dst_unused:UNUSED_PAD src0_sel:WORD_1
	v_cvt_f32_f16_e32 v8, v16
	v_add_co_u32_e32 v0, vcc, s8, v0
	v_mov_b32_e32 v5, s33
	v_addc_co_u32_e32 v1, vcc, v5, v1, vcc
	v_pk_fma_f32 v[4:5], v[4:5], v[8:9], v[6:7] op_sel_hi:[0,1,1]
	v_div_scale_f32 v2, s[40:41], v3, v3, v5
	v_rcp_f32_e32 v6, v2
	v_fma_f32 v7, -v2, v6, 1.0
	v_fmac_f32_e32 v6, v7, v6
	v_div_scale_f32 v7, vcc, v5, v3, v5
	v_mul_f32_e32 v8, v7, v6
	v_fma_f32 v9, -v2, v8, v7
	v_fmac_f32_e32 v8, v9, v6
	v_fma_f32 v2, -v2, v8, v7
	v_div_fmas_f32 v2, v2, v6, v8
	v_div_fixup_f32 v5, v2, v3, v5
	v_div_scale_f32 v2, s[40:41], v3, v3, v4
	v_rcp_f32_e32 v6, v2
	v_fma_f32 v7, -v2, v6, 1.0
	v_fmac_f32_e32 v6, v7, v6
	v_div_scale_f32 v7, vcc, v4, v3, v4
	v_mul_f32_e32 v8, v7, v6
	v_fma_f32 v9, -v2, v8, v7
	v_fmac_f32_e32 v8, v9, v6
	v_fma_f32 v2, -v2, v8, v7
	v_div_fmas_f32 v2, v2, v6, v8
	v_div_fixup_f32 v4, v2, v3, v4
	global_store_dwordx2 v[0:1], v[4:5], off offset:512
	v_mov_b32_e32 v0, 0
.LBB30_317:                             ;   in Loop: Header=BB30_14 Depth=1
	s_or_b64 exec, exec, s[38:39]
	s_movk_i32 s8, 0x47
	v_cmp_gt_i32_e32 vcc, s8, v0
	s_mov_b64 s[38:39], -1
	s_and_saveexec_b64 s[40:41], vcc
; %bb.318:                              ;   in Loop: Header=BB30_14 Depth=1
	v_cmp_eq_u32_e32 vcc, 0, v0
	s_orn2_b64 s[38:39], vcc, exec
; %bb.319:                              ;   in Loop: Header=BB30_14 Depth=1
	s_or_b64 exec, exec, s[40:41]
	s_and_b64 exec, exec, s[38:39]
	s_cbranch_execz .LBB30_12
; %bb.320:                              ;   in Loop: Header=BB30_14 Depth=1
	v_accvgpr_read_b32 v0, a22
	v_add_u32_e32 v1, s72, v0
	v_cmp_gt_i32_e32 vcc, s52, v1
	v_mov_b32_e32 v0, 0x47
	s_and_saveexec_b64 s[38:39], vcc
	s_cbranch_execz .LBB30_322
; %bb.321:                              ;   in Loop: Header=BB30_14 Depth=1
	v_readlane_b32 s8, v254, 63
	v_accvgpr_read_b32 v0, a61
	v_mul_lo_u32 v5, s8, v1
	v_add_u32_e32 v0, 0, v0
	v_accvgpr_read_b32 v10, a60
	ds_read2_b32 v[2:3], v0 offset0:128 offset1:129
	ds_read2st64_b32 v[6:7], v0 offset0:35 offset1:68
	ds_read_b32 v4, v0 offset:25856
	ds_read2st64_b32 v[8:9], v10 offset1:1
	ds_read2st64_b32 v[0:1], v10 offset0:33 offset1:66
	ds_read_b32 v16, v10 offset:25344
	v_add_u32_e32 v10, v42, v5
	v_ashrrev_i32_e32 v11, 31, v10
	v_lshlrev_b64 v[10:11], 3, v[10:11]
	v_readlane_b32 s8, v255, 23
	v_readlane_b32 s33, v255, 24
	v_add_co_u32_e32 v10, vcc, s8, v10
	v_mov_b32_e32 v12, s33
	v_addc_co_u32_e32 v11, vcc, v12, v11, vcc
	s_waitcnt lgkmcnt(2)
	v_cvt_f32_f16_sdwa v13, v8 dst_sel:DWORD dst_unused:UNUSED_PAD src0_sel:WORD_1
	v_cvt_f32_f16_e32 v12, v8
	s_waitcnt lgkmcnt(1)
	v_cvt_f32_f16_sdwa v15, v0 dst_sel:DWORD dst_unused:UNUSED_PAD src0_sel:WORD_1
	v_cvt_f32_f16_e32 v14, v0
	v_mov_b32_e32 v8, v7
	v_pk_fma_f32 v[12:13], v[2:3], v[12:13], 0 op_sel_hi:[0,1,0]
	v_pk_fma_f32 v[12:13], v[6:7], v[14:15], v[12:13] op_sel_hi:[0,1,1]
	v_cvt_f32_f16_sdwa v15, v1 dst_sel:DWORD dst_unused:UNUSED_PAD src0_sel:WORD_1
	v_cvt_f32_f16_e32 v14, v1
	v_pk_fma_f32 v[0:1], v[8:9], v[14:15], v[12:13] op_sel_hi:[0,1,1]
	s_waitcnt lgkmcnt(0)
	v_cvt_f32_f16_sdwa v13, v16 dst_sel:DWORD dst_unused:UNUSED_PAD src0_sel:WORD_1
	v_cvt_f32_f16_e32 v12, v16
	v_pk_fma_f32 v[0:1], v[4:5], v[12:13], v[0:1] op_sel_hi:[0,1,1]
	v_div_scale_f32 v7, s[40:41], v3, v3, v1
	v_rcp_f32_e32 v12, v7
	v_fma_f32 v13, -v7, v12, 1.0
	v_fmac_f32_e32 v12, v13, v12
	v_div_scale_f32 v13, vcc, v1, v3, v1
	v_mul_f32_e32 v14, v13, v12
	v_fma_f32 v15, -v7, v14, v13
	v_fmac_f32_e32 v14, v15, v12
	v_fma_f32 v7, -v7, v14, v13
	v_div_fmas_f32 v7, v7, v12, v14
	v_div_fixup_f32 v1, v7, v3, v1
	v_div_scale_f32 v7, s[40:41], v3, v3, v0
	v_rcp_f32_e32 v12, v7
	v_fma_f32 v13, -v7, v12, 1.0
	v_fmac_f32_e32 v12, v13, v12
	v_div_scale_f32 v13, vcc, v0, v3, v0
	v_mul_f32_e32 v14, v13, v12
	v_fma_f32 v15, -v7, v14, v13
	v_fmac_f32_e32 v14, v15, v12
	v_fma_f32 v7, -v7, v14, v13
	v_div_fmas_f32 v7, v7, v12, v14
	v_div_fixup_f32 v0, v7, v3, v0
	global_store_dwordx2 v[10:11], v[0:1], off
	v_accvgpr_read_b32 v0, a62
	ds_read2st64_b32 v[10:11], v0 offset0:33 offset1:66
	ds_read_b32 v16, v0 offset:25344
	v_cvt_f32_f16_sdwa v13, v9 dst_sel:DWORD dst_unused:UNUSED_PAD src0_sel:WORD_1
	v_cvt_f32_f16_e32 v12, v9
	v_ashrrev_i32_e32 v1, 31, v5
	s_waitcnt lgkmcnt(1)
	v_cvt_f32_f16_sdwa v15, v10 dst_sel:DWORD dst_unused:UNUSED_PAD src0_sel:WORD_1
	v_cvt_f32_f16_e32 v14, v10
	v_pk_fma_f32 v[12:13], v[2:3], v[12:13], 0 op_sel_hi:[0,1,0]
	v_add_co_u32_e32 v0, vcc, v42, v5
	v_pk_fma_f32 v[6:7], v[6:7], v[14:15], v[12:13] op_sel_hi:[0,1,1]
	v_cvt_f32_f16_sdwa v13, v11 dst_sel:DWORD dst_unused:UNUSED_PAD src0_sel:WORD_1
	v_cvt_f32_f16_e32 v12, v11
	v_addc_co_u32_e32 v1, vcc, 0, v1, vcc
	v_lshlrev_b64 v[0:1], 3, v[0:1]
	v_pk_fma_f32 v[6:7], v[8:9], v[12:13], v[6:7] op_sel_hi:[0,1,1]
	s_waitcnt lgkmcnt(0)
	v_cvt_f32_f16_sdwa v9, v16 dst_sel:DWORD dst_unused:UNUSED_PAD src0_sel:WORD_1
	v_cvt_f32_f16_e32 v8, v16
	v_add_co_u32_e32 v0, vcc, s8, v0
	v_mov_b32_e32 v5, s33
	v_addc_co_u32_e32 v1, vcc, v5, v1, vcc
	v_pk_fma_f32 v[4:5], v[4:5], v[8:9], v[6:7] op_sel_hi:[0,1,1]
	v_div_scale_f32 v2, s[40:41], v3, v3, v5
	v_rcp_f32_e32 v6, v2
	v_fma_f32 v7, -v2, v6, 1.0
	v_fmac_f32_e32 v6, v7, v6
	v_div_scale_f32 v7, vcc, v5, v3, v5
	v_mul_f32_e32 v8, v7, v6
	v_fma_f32 v9, -v2, v8, v7
	v_fmac_f32_e32 v8, v9, v6
	v_fma_f32 v2, -v2, v8, v7
	v_div_fmas_f32 v2, v2, v6, v8
	v_div_fixup_f32 v5, v2, v3, v5
	v_div_scale_f32 v2, s[40:41], v3, v3, v4
	v_rcp_f32_e32 v6, v2
	v_fma_f32 v7, -v2, v6, 1.0
	v_fmac_f32_e32 v6, v7, v6
	v_div_scale_f32 v7, vcc, v4, v3, v4
	v_mul_f32_e32 v8, v7, v6
	v_fma_f32 v9, -v2, v8, v7
	v_fmac_f32_e32 v8, v9, v6
	v_fma_f32 v2, -v2, v8, v7
	v_div_fmas_f32 v2, v2, v6, v8
	v_div_fixup_f32 v4, v2, v3, v4
	global_store_dwordx2 v[0:1], v[4:5], off offset:512
	v_mov_b32_e32 v0, 0
.LBB30_322:                             ;   in Loop: Header=BB30_14 Depth=1
	s_or_b64 exec, exec, s[38:39]
	s_movk_i32 s8, 0x47
	v_cmp_gt_i32_e32 vcc, s8, v0
	s_mov_b64 s[38:39], -1
	s_and_saveexec_b64 s[40:41], vcc
; %bb.323:                              ;   in Loop: Header=BB30_14 Depth=1
	v_cmp_eq_u32_e32 vcc, 0, v0
	s_orn2_b64 s[38:39], vcc, exec
; %bb.324:                              ;   in Loop: Header=BB30_14 Depth=1
	s_or_b64 exec, exec, s[40:41]
	s_and_b64 exec, exec, s[38:39]
	s_cbranch_execz .LBB30_12
; %bb.325:                              ;   in Loop: Header=BB30_14 Depth=1
	v_accvgpr_read_b32 v0, a23
	v_add_u32_e32 v1, s72, v0
	v_cmp_gt_i32_e32 vcc, s52, v1
	v_mov_b32_e32 v0, 0x47
	s_and_saveexec_b64 s[38:39], vcc
	s_cbranch_execz .LBB30_327
; %bb.326:                              ;   in Loop: Header=BB30_14 Depth=1
	v_readlane_b32 s8, v254, 63
	v_accvgpr_read_b32 v0, a64
	v_mul_lo_u32 v5, s8, v1
	v_add_u32_e32 v0, 0, v0
	v_accvgpr_read_b32 v10, a63
	ds_read2_b32 v[2:3], v0 offset0:128 offset1:129
	ds_read2st64_b32 v[6:7], v0 offset0:35 offset1:68
	ds_read_b32 v4, v0 offset:25856
	ds_read2st64_b32 v[8:9], v10 offset1:1
	ds_read2st64_b32 v[0:1], v10 offset0:33 offset1:66
	ds_read_b32 v16, v10 offset:25344
	v_add_u32_e32 v10, v42, v5
	v_ashrrev_i32_e32 v11, 31, v10
	v_lshlrev_b64 v[10:11], 3, v[10:11]
	v_readlane_b32 s8, v255, 23
	v_readlane_b32 s33, v255, 24
	v_add_co_u32_e32 v10, vcc, s8, v10
	v_mov_b32_e32 v12, s33
	v_addc_co_u32_e32 v11, vcc, v12, v11, vcc
	s_waitcnt lgkmcnt(2)
	v_cvt_f32_f16_sdwa v13, v8 dst_sel:DWORD dst_unused:UNUSED_PAD src0_sel:WORD_1
	v_cvt_f32_f16_e32 v12, v8
	s_waitcnt lgkmcnt(1)
	v_cvt_f32_f16_sdwa v15, v0 dst_sel:DWORD dst_unused:UNUSED_PAD src0_sel:WORD_1
	v_cvt_f32_f16_e32 v14, v0
	v_mov_b32_e32 v8, v7
	v_pk_fma_f32 v[12:13], v[2:3], v[12:13], 0 op_sel_hi:[0,1,0]
	v_pk_fma_f32 v[12:13], v[6:7], v[14:15], v[12:13] op_sel_hi:[0,1,1]
	v_cvt_f32_f16_sdwa v15, v1 dst_sel:DWORD dst_unused:UNUSED_PAD src0_sel:WORD_1
	v_cvt_f32_f16_e32 v14, v1
	v_pk_fma_f32 v[0:1], v[8:9], v[14:15], v[12:13] op_sel_hi:[0,1,1]
	s_waitcnt lgkmcnt(0)
	v_cvt_f32_f16_sdwa v13, v16 dst_sel:DWORD dst_unused:UNUSED_PAD src0_sel:WORD_1
	v_cvt_f32_f16_e32 v12, v16
	v_pk_fma_f32 v[0:1], v[4:5], v[12:13], v[0:1] op_sel_hi:[0,1,1]
	v_div_scale_f32 v7, s[40:41], v3, v3, v1
	v_rcp_f32_e32 v12, v7
	v_fma_f32 v13, -v7, v12, 1.0
	v_fmac_f32_e32 v12, v13, v12
	v_div_scale_f32 v13, vcc, v1, v3, v1
	v_mul_f32_e32 v14, v13, v12
	v_fma_f32 v15, -v7, v14, v13
	v_fmac_f32_e32 v14, v15, v12
	v_fma_f32 v7, -v7, v14, v13
	v_div_fmas_f32 v7, v7, v12, v14
	v_div_fixup_f32 v1, v7, v3, v1
	v_div_scale_f32 v7, s[40:41], v3, v3, v0
	v_rcp_f32_e32 v12, v7
	v_fma_f32 v13, -v7, v12, 1.0
	v_fmac_f32_e32 v12, v13, v12
	v_div_scale_f32 v13, vcc, v0, v3, v0
	v_mul_f32_e32 v14, v13, v12
	v_fma_f32 v15, -v7, v14, v13
	v_fmac_f32_e32 v14, v15, v12
	v_fma_f32 v7, -v7, v14, v13
	v_div_fmas_f32 v7, v7, v12, v14
	v_div_fixup_f32 v0, v7, v3, v0
	global_store_dwordx2 v[10:11], v[0:1], off
	v_accvgpr_read_b32 v0, a65
	ds_read2st64_b32 v[10:11], v0 offset0:33 offset1:66
	ds_read_b32 v16, v0 offset:25344
	v_cvt_f32_f16_sdwa v13, v9 dst_sel:DWORD dst_unused:UNUSED_PAD src0_sel:WORD_1
	v_cvt_f32_f16_e32 v12, v9
	v_ashrrev_i32_e32 v1, 31, v5
	s_waitcnt lgkmcnt(1)
	v_cvt_f32_f16_sdwa v15, v10 dst_sel:DWORD dst_unused:UNUSED_PAD src0_sel:WORD_1
	v_cvt_f32_f16_e32 v14, v10
	v_pk_fma_f32 v[12:13], v[2:3], v[12:13], 0 op_sel_hi:[0,1,0]
	v_add_co_u32_e32 v0, vcc, v42, v5
	v_pk_fma_f32 v[6:7], v[6:7], v[14:15], v[12:13] op_sel_hi:[0,1,1]
	v_cvt_f32_f16_sdwa v13, v11 dst_sel:DWORD dst_unused:UNUSED_PAD src0_sel:WORD_1
	v_cvt_f32_f16_e32 v12, v11
	v_addc_co_u32_e32 v1, vcc, 0, v1, vcc
	v_lshlrev_b64 v[0:1], 3, v[0:1]
	v_pk_fma_f32 v[6:7], v[8:9], v[12:13], v[6:7] op_sel_hi:[0,1,1]
	s_waitcnt lgkmcnt(0)
	v_cvt_f32_f16_sdwa v9, v16 dst_sel:DWORD dst_unused:UNUSED_PAD src0_sel:WORD_1
	v_cvt_f32_f16_e32 v8, v16
	v_add_co_u32_e32 v0, vcc, s8, v0
	v_mov_b32_e32 v5, s33
	v_addc_co_u32_e32 v1, vcc, v5, v1, vcc
	v_pk_fma_f32 v[4:5], v[4:5], v[8:9], v[6:7] op_sel_hi:[0,1,1]
	v_div_scale_f32 v2, s[40:41], v3, v3, v5
	v_rcp_f32_e32 v6, v2
	v_fma_f32 v7, -v2, v6, 1.0
	v_fmac_f32_e32 v6, v7, v6
	v_div_scale_f32 v7, vcc, v5, v3, v5
	v_mul_f32_e32 v8, v7, v6
	v_fma_f32 v9, -v2, v8, v7
	v_fmac_f32_e32 v8, v9, v6
	v_fma_f32 v2, -v2, v8, v7
	v_div_fmas_f32 v2, v2, v6, v8
	v_div_fixup_f32 v5, v2, v3, v5
	v_div_scale_f32 v2, s[40:41], v3, v3, v4
	v_rcp_f32_e32 v6, v2
	v_fma_f32 v7, -v2, v6, 1.0
	v_fmac_f32_e32 v6, v7, v6
	v_div_scale_f32 v7, vcc, v4, v3, v4
	v_mul_f32_e32 v8, v7, v6
	v_fma_f32 v9, -v2, v8, v7
	v_fmac_f32_e32 v8, v9, v6
	v_fma_f32 v2, -v2, v8, v7
	v_div_fmas_f32 v2, v2, v6, v8
	v_div_fixup_f32 v4, v2, v3, v4
	global_store_dwordx2 v[0:1], v[4:5], off offset:512
	v_mov_b32_e32 v0, 0
.LBB30_327:                             ;   in Loop: Header=BB30_14 Depth=1
	s_or_b64 exec, exec, s[38:39]
	s_movk_i32 s8, 0x47
	v_cmp_gt_i32_e32 vcc, s8, v0
	s_mov_b64 s[38:39], -1
	s_and_saveexec_b64 s[40:41], vcc
; %bb.328:                              ;   in Loop: Header=BB30_14 Depth=1
	v_cmp_eq_u32_e32 vcc, 0, v0
	s_orn2_b64 s[38:39], vcc, exec
; %bb.329:                              ;   in Loop: Header=BB30_14 Depth=1
	s_or_b64 exec, exec, s[40:41]
	s_and_b64 exec, exec, s[38:39]
	s_cbranch_execz .LBB30_12
; %bb.330:                              ;   in Loop: Header=BB30_14 Depth=1
	v_accvgpr_read_b32 v0, a24
	v_add_u32_e32 v1, s72, v0
	v_cmp_gt_i32_e32 vcc, s52, v1
	v_mov_b32_e32 v0, 0x47
	s_and_saveexec_b64 s[38:39], vcc
	s_cbranch_execz .LBB30_332
; %bb.331:                              ;   in Loop: Header=BB30_14 Depth=1
	v_readlane_b32 s8, v254, 63
	v_accvgpr_read_b32 v0, a67
	v_mul_lo_u32 v5, s8, v1
	v_add_u32_e32 v0, 0, v0
	v_accvgpr_read_b32 v10, a66
	ds_read2_b32 v[2:3], v0 offset0:128 offset1:129
	ds_read2st64_b32 v[6:7], v0 offset0:35 offset1:68
	ds_read_b32 v4, v0 offset:25856
	ds_read2st64_b32 v[8:9], v10 offset1:1
	ds_read2st64_b32 v[0:1], v10 offset0:33 offset1:66
	ds_read_b32 v16, v10 offset:25344
	v_add_u32_e32 v10, v42, v5
	v_ashrrev_i32_e32 v11, 31, v10
	v_lshlrev_b64 v[10:11], 3, v[10:11]
	v_readlane_b32 s8, v255, 23
	v_readlane_b32 s33, v255, 24
	v_add_co_u32_e32 v10, vcc, s8, v10
	v_mov_b32_e32 v12, s33
	v_addc_co_u32_e32 v11, vcc, v12, v11, vcc
	s_waitcnt lgkmcnt(2)
	v_cvt_f32_f16_sdwa v13, v8 dst_sel:DWORD dst_unused:UNUSED_PAD src0_sel:WORD_1
	v_cvt_f32_f16_e32 v12, v8
	s_waitcnt lgkmcnt(1)
	v_cvt_f32_f16_sdwa v15, v0 dst_sel:DWORD dst_unused:UNUSED_PAD src0_sel:WORD_1
	v_cvt_f32_f16_e32 v14, v0
	v_mov_b32_e32 v8, v7
	v_pk_fma_f32 v[12:13], v[2:3], v[12:13], 0 op_sel_hi:[0,1,0]
	v_pk_fma_f32 v[12:13], v[6:7], v[14:15], v[12:13] op_sel_hi:[0,1,1]
	v_cvt_f32_f16_sdwa v15, v1 dst_sel:DWORD dst_unused:UNUSED_PAD src0_sel:WORD_1
	v_cvt_f32_f16_e32 v14, v1
	v_pk_fma_f32 v[0:1], v[8:9], v[14:15], v[12:13] op_sel_hi:[0,1,1]
	s_waitcnt lgkmcnt(0)
	v_cvt_f32_f16_sdwa v13, v16 dst_sel:DWORD dst_unused:UNUSED_PAD src0_sel:WORD_1
	v_cvt_f32_f16_e32 v12, v16
	v_pk_fma_f32 v[0:1], v[4:5], v[12:13], v[0:1] op_sel_hi:[0,1,1]
	v_div_scale_f32 v7, s[40:41], v3, v3, v1
	v_rcp_f32_e32 v12, v7
	v_fma_f32 v13, -v7, v12, 1.0
	v_fmac_f32_e32 v12, v13, v12
	v_div_scale_f32 v13, vcc, v1, v3, v1
	v_mul_f32_e32 v14, v13, v12
	v_fma_f32 v15, -v7, v14, v13
	v_fmac_f32_e32 v14, v15, v12
	v_fma_f32 v7, -v7, v14, v13
	v_div_fmas_f32 v7, v7, v12, v14
	v_div_fixup_f32 v1, v7, v3, v1
	v_div_scale_f32 v7, s[40:41], v3, v3, v0
	v_rcp_f32_e32 v12, v7
	v_fma_f32 v13, -v7, v12, 1.0
	v_fmac_f32_e32 v12, v13, v12
	v_div_scale_f32 v13, vcc, v0, v3, v0
	v_mul_f32_e32 v14, v13, v12
	v_fma_f32 v15, -v7, v14, v13
	v_fmac_f32_e32 v14, v15, v12
	v_fma_f32 v7, -v7, v14, v13
	v_div_fmas_f32 v7, v7, v12, v14
	v_div_fixup_f32 v0, v7, v3, v0
	global_store_dwordx2 v[10:11], v[0:1], off
	v_accvgpr_read_b32 v0, a68
	ds_read2st64_b32 v[10:11], v0 offset0:33 offset1:66
	ds_read_b32 v16, v0 offset:25344
	v_cvt_f32_f16_sdwa v13, v9 dst_sel:DWORD dst_unused:UNUSED_PAD src0_sel:WORD_1
	v_cvt_f32_f16_e32 v12, v9
	v_ashrrev_i32_e32 v1, 31, v5
	s_waitcnt lgkmcnt(1)
	v_cvt_f32_f16_sdwa v15, v10 dst_sel:DWORD dst_unused:UNUSED_PAD src0_sel:WORD_1
	v_cvt_f32_f16_e32 v14, v10
	v_pk_fma_f32 v[12:13], v[2:3], v[12:13], 0 op_sel_hi:[0,1,0]
	v_add_co_u32_e32 v0, vcc, v42, v5
	v_pk_fma_f32 v[6:7], v[6:7], v[14:15], v[12:13] op_sel_hi:[0,1,1]
	v_cvt_f32_f16_sdwa v13, v11 dst_sel:DWORD dst_unused:UNUSED_PAD src0_sel:WORD_1
	v_cvt_f32_f16_e32 v12, v11
	v_addc_co_u32_e32 v1, vcc, 0, v1, vcc
	v_lshlrev_b64 v[0:1], 3, v[0:1]
	v_pk_fma_f32 v[6:7], v[8:9], v[12:13], v[6:7] op_sel_hi:[0,1,1]
	s_waitcnt lgkmcnt(0)
	v_cvt_f32_f16_sdwa v9, v16 dst_sel:DWORD dst_unused:UNUSED_PAD src0_sel:WORD_1
	v_cvt_f32_f16_e32 v8, v16
	v_add_co_u32_e32 v0, vcc, s8, v0
	v_mov_b32_e32 v5, s33
	v_addc_co_u32_e32 v1, vcc, v5, v1, vcc
	v_pk_fma_f32 v[4:5], v[4:5], v[8:9], v[6:7] op_sel_hi:[0,1,1]
	v_div_scale_f32 v2, s[40:41], v3, v3, v5
	v_rcp_f32_e32 v6, v2
	v_fma_f32 v7, -v2, v6, 1.0
	v_fmac_f32_e32 v6, v7, v6
	v_div_scale_f32 v7, vcc, v5, v3, v5
	v_mul_f32_e32 v8, v7, v6
	v_fma_f32 v9, -v2, v8, v7
	v_fmac_f32_e32 v8, v9, v6
	v_fma_f32 v2, -v2, v8, v7
	v_div_fmas_f32 v2, v2, v6, v8
	v_div_fixup_f32 v5, v2, v3, v5
	v_div_scale_f32 v2, s[40:41], v3, v3, v4
	v_rcp_f32_e32 v6, v2
	v_fma_f32 v7, -v2, v6, 1.0
	v_fmac_f32_e32 v6, v7, v6
	v_div_scale_f32 v7, vcc, v4, v3, v4
	v_mul_f32_e32 v8, v7, v6
	v_fma_f32 v9, -v2, v8, v7
	v_fmac_f32_e32 v8, v9, v6
	v_fma_f32 v2, -v2, v8, v7
	v_div_fmas_f32 v2, v2, v6, v8
	v_div_fixup_f32 v4, v2, v3, v4
	global_store_dwordx2 v[0:1], v[4:5], off offset:512
	v_mov_b32_e32 v0, 0
.LBB30_332:                             ;   in Loop: Header=BB30_14 Depth=1
	s_or_b64 exec, exec, s[38:39]
	s_movk_i32 s8, 0x47
	v_cmp_gt_i32_e32 vcc, s8, v0
	s_mov_b64 s[38:39], -1
	s_and_saveexec_b64 s[40:41], vcc
; %bb.333:                              ;   in Loop: Header=BB30_14 Depth=1
	v_cmp_eq_u32_e32 vcc, 0, v0
	s_orn2_b64 s[38:39], vcc, exec
; %bb.334:                              ;   in Loop: Header=BB30_14 Depth=1
	s_or_b64 exec, exec, s[40:41]
	s_and_b64 exec, exec, s[38:39]
	s_cbranch_execz .LBB30_12
; %bb.335:                              ;   in Loop: Header=BB30_14 Depth=1
	v_accvgpr_read_b32 v0, a25
	v_add_u32_e32 v0, s72, v0
	v_cmp_gt_i32_e32 vcc, s52, v0
	s_and_b64 exec, exec, vcc
	s_cbranch_execz .LBB30_12
; %bb.336:                              ;   in Loop: Header=BB30_14 Depth=1
	v_readlane_b32 s8, v254, 63
	v_mul_lo_u32 v5, s8, v0
	v_accvgpr_read_b32 v0, a69
	v_add_u32_e32 v0, 0, v0
	v_accvgpr_read_b32 v10, a70
	ds_read2_b32 v[2:3], v0 offset0:128 offset1:129
	ds_read2st64_b32 v[6:7], v0 offset0:35 offset1:68
	ds_read_b32 v4, v0 offset:25856
	ds_read2st64_b32 v[8:9], v10 offset1:1
	ds_read2st64_b32 v[0:1], v10 offset0:33 offset1:66
	ds_read_b32 v16, v10 offset:25344
	v_add_u32_e32 v10, v42, v5
	v_ashrrev_i32_e32 v11, 31, v10
	v_lshlrev_b64 v[10:11], 3, v[10:11]
	v_readlane_b32 s8, v255, 23
	v_readlane_b32 s33, v255, 24
	v_add_co_u32_e32 v10, vcc, s8, v10
	v_mov_b32_e32 v12, s33
	v_addc_co_u32_e32 v11, vcc, v12, v11, vcc
	s_waitcnt lgkmcnt(2)
	v_cvt_f32_f16_sdwa v13, v8 dst_sel:DWORD dst_unused:UNUSED_PAD src0_sel:WORD_1
	v_cvt_f32_f16_e32 v12, v8
	s_waitcnt lgkmcnt(1)
	v_cvt_f32_f16_sdwa v15, v0 dst_sel:DWORD dst_unused:UNUSED_PAD src0_sel:WORD_1
	v_cvt_f32_f16_e32 v14, v0
	v_mov_b32_e32 v8, v7
	v_pk_fma_f32 v[12:13], v[2:3], v[12:13], 0 op_sel_hi:[0,1,0]
	v_pk_fma_f32 v[12:13], v[6:7], v[14:15], v[12:13] op_sel_hi:[0,1,1]
	v_cvt_f32_f16_sdwa v15, v1 dst_sel:DWORD dst_unused:UNUSED_PAD src0_sel:WORD_1
	v_cvt_f32_f16_e32 v14, v1
	v_pk_fma_f32 v[0:1], v[8:9], v[14:15], v[12:13] op_sel_hi:[0,1,1]
	s_waitcnt lgkmcnt(0)
	v_cvt_f32_f16_sdwa v13, v16 dst_sel:DWORD dst_unused:UNUSED_PAD src0_sel:WORD_1
	v_cvt_f32_f16_e32 v12, v16
	v_pk_fma_f32 v[0:1], v[4:5], v[12:13], v[0:1] op_sel_hi:[0,1,1]
	v_div_scale_f32 v7, s[38:39], v3, v3, v1
	v_rcp_f32_e32 v12, v7
	v_fma_f32 v13, -v7, v12, 1.0
	v_fmac_f32_e32 v12, v13, v12
	v_div_scale_f32 v13, vcc, v1, v3, v1
	v_mul_f32_e32 v14, v13, v12
	v_fma_f32 v15, -v7, v14, v13
	v_fmac_f32_e32 v14, v15, v12
	v_fma_f32 v7, -v7, v14, v13
	v_div_fmas_f32 v7, v7, v12, v14
	v_div_fixup_f32 v1, v7, v3, v1
	v_div_scale_f32 v7, s[38:39], v3, v3, v0
	v_rcp_f32_e32 v12, v7
	v_fma_f32 v13, -v7, v12, 1.0
	v_fmac_f32_e32 v12, v13, v12
	v_div_scale_f32 v13, vcc, v0, v3, v0
	v_mul_f32_e32 v14, v13, v12
	v_fma_f32 v15, -v7, v14, v13
	v_fmac_f32_e32 v14, v15, v12
	v_fma_f32 v7, -v7, v14, v13
	v_div_fmas_f32 v7, v7, v12, v14
	v_div_fixup_f32 v0, v7, v3, v0
	global_store_dwordx2 v[10:11], v[0:1], off
	v_accvgpr_read_b32 v0, a71
	ds_read2st64_b32 v[10:11], v0 offset0:33 offset1:66
	ds_read_b32 v16, v0 offset:25344
	v_cvt_f32_f16_sdwa v13, v9 dst_sel:DWORD dst_unused:UNUSED_PAD src0_sel:WORD_1
	v_cvt_f32_f16_e32 v12, v9
	v_ashrrev_i32_e32 v1, 31, v5
	s_waitcnt lgkmcnt(1)
	v_cvt_f32_f16_sdwa v15, v10 dst_sel:DWORD dst_unused:UNUSED_PAD src0_sel:WORD_1
	v_cvt_f32_f16_e32 v14, v10
	v_pk_fma_f32 v[12:13], v[2:3], v[12:13], 0 op_sel_hi:[0,1,0]
	v_add_co_u32_e32 v0, vcc, v42, v5
	v_pk_fma_f32 v[6:7], v[6:7], v[14:15], v[12:13] op_sel_hi:[0,1,1]
	v_cvt_f32_f16_sdwa v13, v11 dst_sel:DWORD dst_unused:UNUSED_PAD src0_sel:WORD_1
	v_cvt_f32_f16_e32 v12, v11
	v_addc_co_u32_e32 v1, vcc, 0, v1, vcc
	v_lshlrev_b64 v[0:1], 3, v[0:1]
	v_pk_fma_f32 v[6:7], v[8:9], v[12:13], v[6:7] op_sel_hi:[0,1,1]
	s_waitcnt lgkmcnt(0)
	v_cvt_f32_f16_sdwa v9, v16 dst_sel:DWORD dst_unused:UNUSED_PAD src0_sel:WORD_1
	v_cvt_f32_f16_e32 v8, v16
	v_add_co_u32_e32 v0, vcc, s8, v0
	v_mov_b32_e32 v5, s33
	v_addc_co_u32_e32 v1, vcc, v5, v1, vcc
	v_pk_fma_f32 v[4:5], v[4:5], v[8:9], v[6:7] op_sel_hi:[0,1,1]
	v_div_scale_f32 v2, s[38:39], v3, v3, v5
	v_rcp_f32_e32 v6, v2
	v_fma_f32 v7, -v2, v6, 1.0
	v_fmac_f32_e32 v6, v7, v6
	v_div_scale_f32 v7, vcc, v5, v3, v5
	v_mul_f32_e32 v8, v7, v6
	v_fma_f32 v9, -v2, v8, v7
	v_fmac_f32_e32 v8, v9, v6
	v_fma_f32 v2, -v2, v8, v7
	v_div_fmas_f32 v2, v2, v6, v8
	v_div_fixup_f32 v5, v2, v3, v5
	v_div_scale_f32 v2, s[38:39], v3, v3, v4
	v_rcp_f32_e32 v6, v2
	v_fma_f32 v7, -v2, v6, 1.0
	v_fmac_f32_e32 v6, v7, v6
	v_div_scale_f32 v7, vcc, v4, v3, v4
	v_mul_f32_e32 v8, v7, v6
	v_fma_f32 v9, -v2, v8, v7
	v_fmac_f32_e32 v8, v9, v6
	v_fma_f32 v2, -v2, v8, v7
	v_div_fmas_f32 v2, v2, v6, v8
	v_div_fixup_f32 v4, v2, v3, v4
	global_store_dwordx2 v[0:1], v[4:5], off offset:512
	s_branch .LBB30_12
.LBB30_337:                             ;   in Loop: Header=BB30_14 Depth=1
                                        ; implicit-def: $vgpr2_vgpr3_vgpr4_vgpr5
	s_branch .LBB30_91
.LBB30_338:                             ;   in Loop: Header=BB30_14 Depth=1
                                        ; implicit-def: $vgpr2_vgpr3_vgpr4_vgpr5
	s_branch .LBB30_250
.LBB30_339:
	s_mov_b32 s50, s38
	s_andn2_b64 vcc, exec, s[30:31]
	s_cbranch_vccz .LBB30_342
.LBB30_340:
	s_endpgm
.LBB30_341:
	v_readlane_b32 s20, v254, 52
	v_readlane_b32 s72, v254, 60
	;; [unrolled: 1-line block ×8, first 2 shown]
	v_accvgpr_read_b32 v219, a4
	v_accvgpr_read_b32 v220, a5
	;; [unrolled: 1-line block ×4, first 2 shown]
	v_readlane_b32 s75, v255, 18
	v_readlane_b32 s19, v254, 62
	s_andn2_b64 vcc, exec, s[30:31]
	s_cbranch_vccnz .LBB30_340
.LBB30_342:
	v_readlane_b32 s10, v254, 7
	s_abs_i32 s4, s10
	v_cvt_f32_u32_e32 v0, s4
	s_sub_i32 s7, 0, s4
	s_abs_i32 s6, s50
	s_xor_b32 s5, s50, s10
	v_rcp_iflag_f32_e32 v0, v0
	s_ashr_i32 s5, s5, 31
	v_readlane_b32 s14, v254, 6
	v_readlane_b32 s11, v254, 3
	v_mul_f32_e32 v0, 0x4f7ffffe, v0
	v_cvt_u32_f32_e32 v0, v0
	v_readfirstlane_b32 s8, v0
	s_mul_i32 s7, s7, s8
	s_mul_hi_u32 s7, s8, s7
	s_add_i32 s8, s8, s7
	s_mul_hi_u32 s7, s6, s8
	s_mul_i32 s8, s7, s4
	s_sub_i32 s6, s6, s8
	s_add_i32 s9, s7, 1
	s_sub_i32 s8, s6, s4
	s_cmp_ge_u32 s6, s4
	s_cselect_b32 s7, s9, s7
	s_cselect_b32 s6, s8, s6
	s_add_i32 s8, s7, 1
	s_cmp_ge_u32 s6, s4
	s_cselect_b32 s4, s8, s7
	s_abs_i32 s6, s14
	v_cvt_f32_u32_e32 v0, s6
	s_xor_b32 s4, s4, s5
	s_sub_i32 s7, 0, s6
	s_sub_i32 s12, s4, s5
	v_rcp_iflag_f32_e32 v0, v0
	s_mul_i32 s4, s12, s10
	s_sub_i32 s4, s50, s4
	s_abs_i32 s8, s4
	v_mul_f32_e32 v0, 0x4f7ffffe, v0
	v_cvt_u32_f32_e32 v0, v0
	s_xor_b32 s5, s4, s14
	s_ashr_i32 s5, s5, 31
	v_readlane_b32 s48, v254, 30
	v_readfirstlane_b32 s9, v0
	s_mul_i32 s7, s7, s9
	s_mul_hi_u32 s7, s9, s7
	s_add_i32 s9, s9, s7
	s_mul_hi_u32 s7, s8, s9
	s_mul_i32 s9, s7, s6
	s_sub_i32 s8, s8, s9
	s_add_i32 s10, s7, 1
	s_sub_i32 s9, s8, s6
	s_cmp_ge_u32 s8, s6
	s_cselect_b32 s7, s10, s7
	s_cselect_b32 s8, s9, s8
	s_add_i32 s9, s7, 1
	s_cmp_ge_u32 s8, s6
	s_cselect_b32 s6, s9, s7
	s_abs_i32 s7, s11
	v_cvt_f32_u32_e32 v0, s7
	s_xor_b32 s6, s6, s5
	s_sub_i32 s8, 0, s7
	s_sub_i32 s13, s6, s5
	v_rcp_iflag_f32_e32 v0, v0
	s_mul_i32 s5, s13, s14
	s_sub_i32 s5, s4, s5
	s_abs_i32 s6, s5
	v_mul_f32_e32 v0, 0x4f7ffffe, v0
	v_cvt_u32_f32_e32 v0, v0
	s_xor_b32 s4, s5, s11
	s_ashr_i32 s4, s4, 31
	v_readlane_b32 s54, v254, 36
	v_readfirstlane_b32 s9, v0
	s_mul_i32 s8, s8, s9
	s_mul_hi_u32 s8, s9, s8
	s_add_i32 s9, s9, s8
	s_mul_hi_u32 s8, s6, s9
	s_mul_i32 s9, s8, s7
	s_sub_i32 s6, s6, s9
	s_add_i32 s10, s8, 1
	s_sub_i32 s9, s6, s7
	s_cmp_ge_u32 s6, s7
	s_cselect_b32 s8, s10, s8
	s_cselect_b32 s6, s9, s6
	s_add_i32 s9, s8, 1
	s_cmp_ge_u32 s6, s7
	s_cselect_b32 s6, s9, s8
	s_xor_b32 s6, s6, s4
	s_sub_i32 s4, s6, s4
	s_mul_i32 s6, s4, s11
	s_sub_i32 s5, s5, s6
	s_abs_i32 s16, s5
	v_readlane_b32 s6, v254, 29
	s_ashr_i32 s14, s12, 31
	v_readlane_b32 s55, v254, 37
	s_mul_hi_u32 s15, s16, s6
	s_cmp_eq_u64 s[54:55], 0
	s_mov_b64 s[8:9], 0
	v_readlane_b32 s49, v254, 31
	v_readlane_b32 s50, v254, 32
	;; [unrolled: 1-line block ×13, first 2 shown]
	s_cbranch_scc1 .LBB30_344
; %bb.343:
	s_abs_i32 s6, s18
	v_cvt_f32_u32_e32 v0, s6
	s_sub_i32 s8, 0, s6
	s_abs_i32 s7, s12
	v_readlane_b32 s10, v254, 20
	v_rcp_iflag_f32_e32 v0, v0
	v_readlane_b32 s11, v254, 21
	v_mul_f32_e32 v0, 0x4f7ffffe, v0
	v_cvt_u32_f32_e32 v0, v0
	v_readfirstlane_b32 s9, v0
	s_mul_i32 s8, s8, s9
	s_mul_hi_u32 s8, s9, s8
	s_add_i32 s9, s9, s8
	s_mul_hi_u32 s8, s7, s9
	s_mul_i32 s8, s8, s6
	s_sub_i32 s7, s7, s8
	s_sub_i32 s8, s7, s6
	s_cmp_ge_u32 s7, s6
	s_cselect_b32 s7, s8, s7
	s_sub_i32 s8, s7, s6
	s_cmp_ge_u32 s7, s6
	s_cselect_b32 s6, s8, s7
	s_xor_b32 s6, s6, s14
	s_sub_i32 s6, s6, s14
	s_ashr_i32 s7, s6, 31
	s_mul_i32 s8, s6, s11
	s_mul_hi_u32 s9, s6, s10
	s_add_i32 s8, s9, s8
	s_mul_i32 s7, s7, s10
	s_add_i32 s7, s8, s7
	s_mul_i32 s6, s6, s10
	s_add_u32 s8, s54, s6
	s_addc_u32 s9, s55, s7
.LBB30_344:
	s_ashr_i32 s18, s5, 31
	v_readlane_b32 s5, v254, 2
	s_mul_i32 s17, s13, s5
	s_add_i32 s17, s17, s4
	v_cmp_le_f32_e64 s[4:5], s21, 0
	s_and_b64 vcc, exec, s[4:5]
	v_mov_b32_e32 v42, 1.0
	s_cbranch_vccnz .LBB30_346
; %bb.345:
	s_sub_i32 s4, s17, s92
	s_lshl_b32 s4, s4, 1
	s_add_i32 s6, s17, 1
	s_or_b32 s7, s4, 1
	s_cmp_lt_u32 s17, s92
	s_cselect_b64 vcc, -1, 0
	s_and_b64 s[4:5], vcc, exec
	v_mov_b32_e32 v0, s23
	v_mov_b32_e32 v1, s22
	s_cselect_b32 s4, s6, s7
	v_cndmask_b32_e32 v16, v0, v1, vcc
	v_cvt_f32_i32_e32 v0, s4
	v_cmp_neq_f32_e32 vcc, 1.0, v16
	s_mov_b32 s4, 0x3f2aaaab
	s_movk_i32 s6, 0x204
	v_cndmask_b32_e32 v17, 1.0, v0, vcc
	v_cmp_eq_f32_e32 vcc, 0, v17
	v_cndmask_b32_e64 v18, |v16|, 1.0, vcc
	v_frexp_mant_f32_e32 v0, v18
	v_cmp_gt_f32_e64 s[4:5], s4, v0
	v_cndmask_b32_e64 v1, 1.0, 2.0, s[4:5]
	v_mul_f32_e32 v0, v0, v1
	v_add_f32_e32 v3, 1.0, v0
	v_rcp_f32_e32 v8, v3
	v_add_f32_e32 v1, -1.0, v3
	v_sub_f32_e32 v5, v0, v1
	v_add_f32_e32 v1, -1.0, v0
	v_mul_f32_e32 v9, v1, v8
	v_mul_f32_e32 v2, v3, v9
	v_fma_f32 v4, v9, v3, -v2
	v_fmac_f32_e32 v4, v9, v5
	v_add_f32_e32 v0, v2, v4
	v_sub_f32_e32 v3, v1, v0
	v_pk_add_f32 v[6:7], v[0:1], v[2:3] neg_lo:[0,1] neg_hi:[0,1]
	v_mov_b32_e32 v5, v0
	v_pk_add_f32 v[0:1], v[6:7], v[4:5] neg_lo:[0,1] neg_hi:[0,1]
	v_add_f32_e32 v0, v0, v1
	v_add_f32_e32 v0, v3, v0
	v_mul_f32_e32 v1, v8, v0
	v_add_f32_e32 v0, v9, v1
	v_sub_f32_e32 v2, v0, v9
	v_sub_f32_e32 v10, v1, v2
	v_mul_f32_e32 v1, v0, v0
	v_fma_f32 v3, v0, v0, -v1
	v_add_f32_e32 v2, v10, v10
	v_fmac_f32_e32 v3, v0, v2
	v_add_f32_e32 v2, v1, v3
	v_mov_b32_e32 v4, 0x3e91f4c4
	v_fmac_f32_e32 v4, 0x3e76c4e1, v2
	v_mov_b32_e32 v5, 0x3ecccdef
	v_fmac_f32_e32 v5, v2, v4
	v_sub_f32_e32 v1, v2, v1
	v_sub_f32_e32 v11, v3, v1
	v_mul_f32_e32 v1, v2, v5
	v_fma_f32 v3, v2, v5, -v1
	v_fmac_f32_e32 v3, v11, v5
	v_add_f32_e32 v4, v1, v3
	v_add_f32_e32 v5, 0x3f2aaaaa, v4
	v_sub_f32_e32 v1, v4, v1
	v_sub_f32_e32 v1, v3, v1
	v_add_f32_e32 v3, 0xbf2aaaaa, v5
	v_add_f32_e32 v1, 0x31739010, v1
	v_sub_f32_e32 v3, v4, v3
	v_pk_mul_f32 v[6:7], v[0:1], v[2:3]
	v_fma_f32 v4, v2, v0, -v6
	v_pk_add_f32 v[8:9], v[0:1], v[2:3]
	v_fmac_f32_e32 v4, v2, v10
	v_mov_b32_e32 v7, v9
	v_fmac_f32_e32 v4, v11, v0
	v_pk_add_f32 v[2:3], v[6:7], v[4:5]
	v_sub_f32_e32 v1, v2, v6
	v_sub_f32_e32 v1, v4, v1
	;; [unrolled: 1-line block ×3, first 2 shown]
	v_add_f32_e32 v7, v9, v4
	v_mov_b32_e32 v4, v3
	v_pk_mul_f32 v[4:5], v[2:3], v[4:5]
	v_cvt_f64_f32_e32 v[8:9], v18
	v_frexp_exp_i32_f64_e32 v5, v[8:9]
	v_subbrev_co_u32_e64 v5, s[4:5], 0, v5, s[4:5]
	v_cvt_f32_i32_e32 v5, v5
	v_fma_f32 v6, v2, v3, -v4
	v_fmac_f32_e32 v6, v2, v7
	s_mov_b32 s4, 0x3f317218
	v_mul_f32_e32 v2, 0x3f317218, v5
	v_fmac_f32_e32 v6, v1, v3
	v_fma_f32 v8, v5, s4, -v2
	v_fmac_f32_e32 v8, 0xb102e308, v5
	v_ldexp_f32 v9, v0, 1
	v_add_f32_e32 v3, v4, v6
	v_pk_add_f32 v[0:1], v[2:3], v[8:9]
	v_ldexp_f32 v12, v10, 1
	v_mov_b32_e32 v10, v3
	v_mov_b32_e32 v11, v1
	;; [unrolled: 1-line block ×3, first 2 shown]
	v_pk_add_f32 v[4:5], v[10:11], v[4:5] neg_lo:[0,1] neg_hi:[0,1]
	v_mov_b32_e32 v7, v3
	v_pk_add_f32 v[4:5], v[6:7], v[4:5] neg_lo:[0,1] neg_hi:[0,1]
	v_add_f32_e32 v3, v12, v4
	v_add_f32_e32 v3, v3, v5
	v_pk_add_f32 v[4:5], v[0:1], v[2:3] neg_lo:[0,1] neg_hi:[0,1]
	v_pk_add_f32 v[6:7], v[0:1], v[2:3]
	v_mov_b32_e32 v10, v4
	v_mov_b32_e32 v11, v7
	;; [unrolled: 1-line block ×3, first 2 shown]
	v_pk_add_f32 v[10:11], v[8:9], v[10:11]
	v_mov_b32_e32 v2, v11
	v_pk_add_f32 v[12:13], v[2:3], v[0:1] neg_lo:[0,1] neg_hi:[0,1]
	v_mov_b32_e32 v13, v12
	v_mov_b32_e32 v10, v7
	;; [unrolled: 1-line block ×4, first 2 shown]
	v_pk_add_f32 v[4:5], v[8:9], v[4:5] neg_lo:[0,1] neg_hi:[0,1]
	v_pk_add_f32 v[14:15], v[6:7], v[12:13] neg_lo:[0,1] neg_hi:[0,1]
	;; [unrolled: 1-line block ×3, first 2 shown]
	v_mov_b32_e32 v8, v3
	v_pk_add_f32 v[0:1], v[8:9], v[0:1] neg_lo:[0,1] neg_hi:[0,1]
	v_mov_b32_e32 v14, v4
	v_pk_add_f32 v[6:7], v[14:15], v[0:1]
	v_mov_b32_e32 v8, v7
	v_pk_add_f32 v[8:9], v[6:7], v[8:9]
	v_pk_add_f32 v[2:3], v[2:3], v[8:9]
	v_mov_b32_e32 v5, v11
	v_mov_b32_e32 v7, v2
	v_pk_add_f32 v[10:11], v[6:7], v[4:5] neg_lo:[0,1] neg_hi:[0,1]
	v_mov_b32_e32 v1, v8
	v_sub_f32_e32 v3, v6, v10
	v_pk_add_f32 v[0:1], v[0:1], v[10:11] neg_lo:[0,1] neg_hi:[0,1]
	v_sub_f32_e32 v3, v4, v3
	v_add_f32_e32 v0, v0, v3
	v_add_f32_e32 v0, v0, v1
	;; [unrolled: 1-line block ×3, first 2 shown]
	v_sub_f32_e32 v2, v1, v2
	v_sub_f32_e32 v0, v0, v2
	v_mul_f32_e32 v2, v17, v1
	v_fma_f32 v1, v17, v1, -v2
	v_fmac_f32_e32 v1, v17, v0
	v_add_f32_e32 v0, v2, v1
	v_cmp_class_f32_e64 s[4:5], v2, s6
	v_sub_f32_e32 v3, v0, v2
	v_cndmask_b32_e64 v0, v0, v2, s[4:5]
	s_mov_b32 s10, 0x42b17218
	v_mov_b32_e32 v2, 0x37000000
	v_cmp_eq_f32_e64 s[4:5], s10, v0
	v_cndmask_b32_e64 v2, 0, v2, s[4:5]
	v_sub_f32_e32 v1, v1, v3
	v_sub_f32_e32 v3, v0, v2
	s_mov_b32 s4, 0x3fb8aa3b
	v_mul_f32_e32 v4, 0x3fb8aa3b, v3
	v_fma_f32 v5, v3, s4, -v4
	v_rndne_f32_e32 v6, v4
	v_fmac_f32_e32 v5, 0x32a5705f, v3
	v_sub_f32_e32 v4, v4, v6
	v_add_f32_e32 v4, v4, v5
	v_exp_f32_e32 v4, v4
	v_cvt_i32_f32_e32 v5, v6
	s_mov_b32 s7, 0x7f800000
	v_cmp_neq_f32_e64 s[4:5], |v0|, s7
	v_cndmask_b32_e64 v0, 0, v1, s[4:5]
	s_mov_b32 s4, 0xc2ce8ed0
	v_ldexp_f32 v1, v4, v5
	v_cmp_ngt_f32_e64 s[4:5], s4, v3
	v_add_f32_e32 v0, v2, v0
	v_cndmask_b32_e64 v1, 0, v1, s[4:5]
	v_mov_b32_e32 v2, 0x7f800000
	v_cmp_nlt_f32_e64 s[4:5], s10, v3
	v_cndmask_b32_e64 v1, v2, v1, s[4:5]
	v_fma_f32 v0, v1, v0, v1
	v_cmp_class_f32_e64 s[4:5], v1, s6
	v_trunc_f32_e32 v3, v17
	v_cndmask_b32_e64 v0, v0, v1, s[4:5]
	v_cndmask_b32_e64 v1, v16, 1.0, vcc
	v_cmp_eq_f32_e32 vcc, v3, v17
	v_mul_f32_e32 v3, 0.5, v17
	v_trunc_f32_e32 v5, v3
	v_cmp_neq_f32_e64 s[4:5], v5, v3
	s_and_b64 s[4:5], vcc, s[4:5]
	v_cndmask_b32_e64 v3, 1.0, v1, s[4:5]
	s_brev_b32 s19, -2
	v_mov_b32_e32 v4, 0x7fc00000
	v_bfi_b32 v0, s19, v0, v3
	v_cndmask_b32_e32 v3, v4, v0, vcc
	v_cmp_gt_f32_e32 vcc, 0, v1
	v_cndmask_b32_e32 v0, v0, v3, vcc
	v_cmp_eq_f32_e32 vcc, s7, v18
	v_cmp_eq_f32_e64 s[6:7], 0, v1
	v_cmp_gt_f32_e64 s[10:11], 0, v17
	s_xor_b64 s[10:11], s[10:11], s[6:7]
	v_cndmask_b32_e64 v2, v2, 0, s[10:11]
	v_cndmask_b32_e64 v3, 0, v1, s[4:5]
	v_bfi_b32 v2, s19, v2, v3
	s_or_b64 vcc, vcc, s[6:7]
	v_cndmask_b32_e32 v0, v0, v2, vcc
	v_cmp_o_f32_e32 vcc, v1, v1
	v_cndmask_b32_e32 v42, v4, v0, vcc
.LBB30_346:
	s_mul_i32 s5, s15, s87
	v_readlane_b32 s4, v254, 28
	s_sub_i32 s5, s16, s5
	s_xor_b32 s4, s18, s4
	s_add_i32 s6, s15, 1
	s_sub_i32 s7, s5, s87
	s_cmp_ge_u32 s5, s87
	s_cselect_b32 s6, s6, s15
	s_cselect_b32 s5, s7, s5
	s_add_i32 s7, s6, 1
	s_cmp_ge_u32 s5, s87
	s_cselect_b32 s5, s7, s6
	s_xor_b32 s5, s5, s4
	v_readlane_b32 s48, v254, 30
	s_sub_i32 s4, s5, s4
	v_readlane_b32 s58, v254, 40
	v_readlane_b32 s59, v254, 41
	;; [unrolled: 1-line block ×9, first 2 shown]
	s_cmp_eq_u64 s[58:59], 0
	v_mov_b32_e32 v32, s33
	v_readlane_b32 s54, v254, 36
	v_readlane_b32 s55, v254, 37
	;; [unrolled: 1-line block ×6, first 2 shown]
	s_cbranch_scc1 .LBB30_348
; %bb.347:
	v_readlane_b32 s5, v254, 0
	s_mul_i32 s5, s12, s5
	s_add_i32 s6, s4, s5
	s_ashr_i32 s7, s6, 31
	s_lshl_b64 s[6:7], s[6:7], 2
	s_add_u32 s6, s58, s6
	s_addc_u32 s7, s59, s7
	v_mov_b32_e32 v0, 0
	global_load_dword v0, v0, s[6:7]
	s_waitcnt vmcnt(0)
	v_ashrrev_i32_e32 v1, 31, v0
	v_lshrrev_b32_e32 v1, 26, v1
	v_add_u32_e32 v0, v0, v1
	v_ashrrev_i32_e32 v0, 6, v0
	v_min_i32_e32 v32, s33, v0
.LBB30_348:
	v_readlane_b32 s10, v254, 8
	v_readlane_b32 s11, v254, 9
	s_mul_i32 s5, s12, s11
	s_ashr_i32 s6, s5, 31
	s_add_u32 s5, s48, s5
	s_mul_i32 s17, s17, s10
	s_addc_u32 s7, s49, s6
	s_ashr_i32 s10, s17, 31
	s_add_u32 s6, s5, s17
	s_addc_u32 s7, s7, s10
	s_lshl_b32 s10, s4, 4
	v_add_u32_e32 v131, s10, v119
	v_readlane_b32 s16, v254, 10
	v_and_b32_e32 v64, 0x3ff, v19
	v_cmp_le_i32_e32 vcc, s16, v131
	v_readlane_b32 s17, v254, 11
	v_readlane_b32 s18, v254, 12
	;; [unrolled: 1-line block ×3, first 2 shown]
	s_and_saveexec_b64 s[4:5], vcc
	s_xor_b64 s[4:5], exec, s[4:5]
	s_cbranch_execz .LBB30_350
; %bb.349:
	s_movk_i32 s11, 0x84
	v_mad_u32_u24 v0, v119, s11, v64
	v_lshl_add_u32 v0, v0, 2, 0
	v_mov_b32_e32 v1, 0
	ds_write2st64_b32 v0, v1, v1 offset1:1
.LBB30_350:
	s_andn2_saveexec_b64 s[4:5], s[4:5]
	s_cbranch_execz .LBB30_352
; %bb.351:
	v_mad_u64_u32 v[0:1], s[16:17], v131, s86, v[64:65]
	v_ashrrev_i32_e32 v1, 31, v0
	v_lshlrev_b64 v[0:1], 3, v[0:1]
	v_mov_b32_e32 v2, s7
	v_add_co_u32_e32 v0, vcc, s6, v0
	v_addc_co_u32_e32 v1, vcc, v2, v1, vcc
	global_load_dwordx2 v[2:3], v[0:1], off
	global_load_dwordx2 v[4:5], v[0:1], off offset:512
	s_movk_i32 s11, 0x84
	s_waitcnt vmcnt(1)
	v_cvt_f16_f32_e32 v0, v2
	v_cvt_f16_f32_e32 v1, v3
	s_waitcnt vmcnt(0)
	v_cvt_f16_f32_e32 v2, v4
	v_cvt_f16_f32_e32 v3, v5
	v_mad_u32_u24 v4, v119, s11, v64
	v_pack_b32_f16 v0, v0, v1
	v_lshl_add_u32 v4, v4, 2, 0
	v_pack_b32_f16 v1, v2, v3
	v_pk_mul_f16 v0, v127, v0
	v_pk_mul_f16 v1, v127, v1
	ds_write2st64_b32 v4, v0, v1 offset1:1
.LBB30_352:
	s_or_b64 exec, exec, s[4:5]
	v_add_u32_e32 v132, s10, v130
	v_readlane_b32 s16, v254, 10
	v_cmp_le_i32_e32 vcc, s16, v132
	v_readlane_b32 s17, v254, 11
	v_readlane_b32 s18, v254, 12
	;; [unrolled: 1-line block ×3, first 2 shown]
	s_and_saveexec_b64 s[4:5], vcc
	s_xor_b64 s[4:5], exec, s[4:5]
	s_cbranch_execz .LBB30_354
; %bb.353:
	s_movk_i32 s11, 0x84
	v_mad_u32_u24 v0, v130, s11, v64
	v_lshl_add_u32 v0, v0, 2, 0
	v_mov_b32_e32 v1, 0
	ds_write2st64_b32 v0, v1, v1 offset1:1
                                        ; implicit-def: $vgpr130
.LBB30_354:
	s_andn2_saveexec_b64 s[4:5], s[4:5]
	s_cbranch_execz .LBB30_356
; %bb.355:
	v_mad_u64_u32 v[0:1], s[16:17], v132, s86, v[64:65]
	v_ashrrev_i32_e32 v1, 31, v0
	v_lshlrev_b64 v[0:1], 3, v[0:1]
	v_mov_b32_e32 v2, s7
	v_add_co_u32_e32 v0, vcc, s6, v0
	v_addc_co_u32_e32 v1, vcc, v2, v1, vcc
	global_load_dwordx2 v[2:3], v[0:1], off
	global_load_dwordx2 v[4:5], v[0:1], off offset:512
	s_movk_i32 s11, 0x84
	s_waitcnt vmcnt(1)
	v_cvt_f16_f32_e32 v0, v2
	v_cvt_f16_f32_e32 v1, v3
	s_waitcnt vmcnt(0)
	v_cvt_f16_f32_e32 v2, v4
	v_cvt_f16_f32_e32 v3, v5
	v_mad_u32_u24 v4, v130, s11, v64
	v_pack_b32_f16 v0, v0, v1
	v_lshl_add_u32 v4, v4, 2, 0
	v_pack_b32_f16 v1, v2, v3
	v_pk_mul_f16 v0, v127, v0
	v_pk_mul_f16 v1, v127, v1
	ds_write2st64_b32 v4, v0, v1 offset1:1
.LBB30_356:
	s_or_b64 exec, exec, s[4:5]
	v_add_u32_e32 v130, s10, v129
	v_readlane_b32 s16, v254, 10
	v_cmp_le_i32_e32 vcc, s16, v130
	v_readlane_b32 s17, v254, 11
	v_readlane_b32 s18, v254, 12
	;; [unrolled: 1-line block ×3, first 2 shown]
	s_and_saveexec_b64 s[4:5], vcc
	s_xor_b64 s[4:5], exec, s[4:5]
	s_cbranch_execz .LBB30_358
; %bb.357:
	s_movk_i32 s11, 0x84
	v_mad_u32_u24 v0, v129, s11, v64
	v_lshl_add_u32 v0, v0, 2, 0
	v_mov_b32_e32 v1, 0
	ds_write2st64_b32 v0, v1, v1 offset1:1
                                        ; implicit-def: $vgpr129
.LBB30_358:
	s_andn2_saveexec_b64 s[4:5], s[4:5]
	s_cbranch_execz .LBB30_360
; %bb.359:
	v_mad_u64_u32 v[0:1], s[16:17], v130, s86, v[64:65]
	v_ashrrev_i32_e32 v1, 31, v0
	v_lshlrev_b64 v[0:1], 3, v[0:1]
	v_mov_b32_e32 v2, s7
	v_add_co_u32_e32 v0, vcc, s6, v0
	v_addc_co_u32_e32 v1, vcc, v2, v1, vcc
	global_load_dwordx2 v[2:3], v[0:1], off
	global_load_dwordx2 v[4:5], v[0:1], off offset:512
	s_movk_i32 s11, 0x84
	s_waitcnt vmcnt(1)
	v_cvt_f16_f32_e32 v0, v2
	v_cvt_f16_f32_e32 v1, v3
	s_waitcnt vmcnt(0)
	v_cvt_f16_f32_e32 v2, v4
	v_cvt_f16_f32_e32 v3, v5
	v_mad_u32_u24 v4, v129, s11, v64
	v_pack_b32_f16 v0, v0, v1
	v_lshl_add_u32 v4, v4, 2, 0
	v_pack_b32_f16 v1, v2, v3
	v_pk_mul_f16 v0, v127, v0
	v_pk_mul_f16 v1, v127, v1
	ds_write2st64_b32 v4, v0, v1 offset1:1
.LBB30_360:
	s_or_b64 exec, exec, s[4:5]
	v_add_u32_e32 v129, s10, v128
	v_readlane_b32 s16, v254, 10
	v_cmp_le_i32_e32 vcc, s16, v129
	v_readlane_b32 s17, v254, 11
	v_readlane_b32 s18, v254, 12
	;; [unrolled: 1-line block ×3, first 2 shown]
	s_and_saveexec_b64 s[4:5], vcc
	s_xor_b64 s[4:5], exec, s[4:5]
	s_cbranch_execz .LBB30_362
; %bb.361:
	s_movk_i32 s10, 0x84
	v_mad_u32_u24 v0, v128, s10, v64
	v_lshl_add_u32 v0, v0, 2, 0
	v_mov_b32_e32 v1, 0
	ds_write2st64_b32 v0, v1, v1 offset1:1
                                        ; implicit-def: $vgpr127
                                        ; implicit-def: $vgpr128
.LBB30_362:
	s_andn2_saveexec_b64 s[4:5], s[4:5]
	s_cbranch_execz .LBB30_364
; %bb.363:
	v_mad_u64_u32 v[0:1], s[10:11], v129, s86, v[64:65]
	v_ashrrev_i32_e32 v1, 31, v0
	v_lshlrev_b64 v[0:1], 3, v[0:1]
	v_mov_b32_e32 v2, s7
	v_add_co_u32_e32 v0, vcc, s6, v0
	v_addc_co_u32_e32 v1, vcc, v2, v1, vcc
	global_load_dwordx2 v[2:3], v[0:1], off
	global_load_dwordx2 v[4:5], v[0:1], off offset:512
	s_movk_i32 s6, 0x84
	s_waitcnt vmcnt(1)
	v_cvt_f16_f32_e32 v0, v2
	v_cvt_f16_f32_e32 v1, v3
	s_waitcnt vmcnt(0)
	v_cvt_f16_f32_e32 v2, v4
	v_cvt_f16_f32_e32 v3, v5
	v_mad_u32_u24 v4, v128, s6, v64
	v_pack_b32_f16 v0, v0, v1
	v_lshl_add_u32 v4, v4, 2, 0
	v_pack_b32_f16 v1, v2, v3
	v_pk_mul_f16 v0, v127, v0
	v_pk_mul_f16 v1, v127, v1
	ds_write2st64_b32 v4, v0, v1 offset1:1
.LBB30_364:
	s_or_b64 exec, exec, s[4:5]
	v_readlane_b32 s6, v254, 18
	v_lshrrev_b32_e32 v1, 3, v64
	v_readlane_b32 s7, v254, 19
	v_and_b32_e32 v33, 0xff0, v220
	s_movk_i32 s22, 0x210
	v_and_b32_e32 v88, 15, v64
	v_and_b32_e32 v89, 0x7e, v1
	s_mul_i32 s4, s12, s7
	s_mul_hi_u32 s5, s12, s6
	v_mad_u32_u24 v0, v33, s22, 0
	v_mul_u32_u24_e32 v126, 0x210, v88
	v_lshlrev_b32_e32 v127, 2, v89
	s_add_i32 s4, s5, s4
	s_mul_i32 s5, s14, s6
	v_readlane_b32 s16, v254, 24
	v_add3_u32 v0, v0, v126, v127
	s_add_i32 s4, s4, s5
	s_mul_i32 s5, s12, s6
	v_readlane_b32 s19, v254, 27
	s_waitcnt lgkmcnt(0)
	s_barrier
	ds_read2_b64 v[28:31], v0 offset1:4
	ds_read2_b64 v[24:27], v0 offset0:8 offset1:12
	ds_read2_b64 v[20:23], v0 offset0:16 offset1:20
	;; [unrolled: 1-line block ×7, first 2 shown]
	s_add_u32 s5, s52, s5
	s_mul_i32 s6, s13, s19
	s_addc_u32 s4, s53, s4
	s_ashr_i32 s7, s6, 31
	v_readlane_b32 s17, v254, 25
	s_add_u32 s33, s5, s6
	s_addc_u32 s42, s4, s7
	s_mul_i32 s4, s12, s17
	s_mul_hi_u32 s5, s12, s16
	s_add_i32 s4, s5, s4
	s_mul_i32 s14, s14, s16
	v_readlane_b32 s6, v254, 22
	s_add_i32 s4, s4, s14
	s_mul_i32 s12, s12, s16
	v_readlane_b32 s7, v254, 23
	s_add_u32 s5, s50, s12
	s_mul_i32 s13, s13, s7
	s_addc_u32 s4, s51, s4
	s_ashr_i32 s6, s13, 31
	v_add_u32_e32 v134, -1, v32
	s_add_u32 s43, s5, s13
	v_cmp_ge_i32_e32 vcc, s46, v134
	s_addc_u32 s44, s4, s6
	s_mov_b32 s45, 0
	s_and_b64 vcc, exec, vcc
	v_mov_b32_e32 v112, 0
	v_or_b32_e32 v109, v33, v88
	v_lshlrev_b32_e32 v133, 1, v64
	v_mbcnt_lo_u32_b32 v90, -1, 0
	v_lshrrev_b32_e32 v128, 5, v64
	v_lshlrev_b32_e32 v65, 2, v64
	v_lshrrev_b32_e32 v91, 2, v64
	v_readlane_b32 s18, v254, 26
	s_waitcnt lgkmcnt(0)
	s_barrier
	s_cbranch_vccnz .LBB30_391
; %bb.365:
	v_mbcnt_hi_u32_b32 v40, -1, v90
	v_mov_b32_e32 v32, s9
	v_add_co_u32_e32 v136, vcc, s8, v133
	v_and_b32_e32 v41, 64, v40
	v_addc_co_u32_e32 v137, vcc, 0, v32, vcc
	v_add_u32_e32 v41, 64, v41
	v_xor_b32_e32 v43, 32, v40
	v_cmp_lt_i32_e32 vcc, v43, v41
	v_cndmask_b32_e32 v43, v40, v43, vcc
	v_lshlrev_b32_e32 v142, 2, v43
	v_xor_b32_e32 v43, 16, v40
	v_cmp_lt_i32_e32 vcc, v43, v41
	v_cndmask_b32_e32 v40, v40, v43, vcc
	v_lshlrev_b32_e32 v143, 2, v40
	v_lshl_add_u32 v41, v119, 1, v128
	v_and_b32_e32 v40, 0x7c, v65
	v_mul_u32_u24_e32 v43, 0x210, v41
	v_lshlrev_b32_e32 v44, 2, v40
	s_cmp_lg_u64 s[8:9], 0
	v_add3_u32 v144, 0, v43, v44
	v_and_b32_e32 v43, 48, v219
	s_cselect_b64 s[36:37], -1, 0
	v_mad_u32_u24 v44, v43, s22, 0
	v_mul_lo_u32 v72, s84, v41
	s_lshl_b32 s22, s84, 3
	v_readlane_b32 s10, v254, 14
	v_mul_u32_u24_e32 v34, 0x90, v119
	v_add_u32_e32 v74, s22, v72
	v_mul_hi_u32 v32, s10, v131
	v_add3_u32 v138, 0, v34, v133
	v_mul_hi_u32 v34, s10, v132
	v_mul_hi_u32 v36, s10, v130
	;; [unrolled: 1-line block ×3, first 2 shown]
	v_mul_lo_u32 v54, s98, v41
	s_lshl_b32 s23, s98, 3
	v_add_u32_e32 v76, s22, v74
	v_readlane_b32 s11, v254, 15
	v_add_u32_e32 v32, v131, v32
	v_add_u32_e32 v34, v132, v34
	;; [unrolled: 1-line block ×6, first 2 shown]
	v_lshrrev_b32_e32 v32, s11, v32
	v_readlane_b32 s12, v254, 10
	v_lshrrev_b32_e32 v34, s11, v34
	v_lshrrev_b32_e32 v36, s11, v36
	v_lshrrev_b32_e32 v38, s11, v38
	v_add_u32_e32 v58, s23, v56
	v_add_u32_e32 v80, s22, v78
	v_mul_lo_u32 v32, v32, s12
	v_mul_lo_u32 v34, v34, s12
	v_mul_lo_u32 v36, v36, s12
	v_mul_lo_u32 v38, v38, s12
	v_add_u32_e32 v60, s23, v58
	v_lshrrev_b32_e32 v46, 2, v64
	v_add_u32_e32 v82, s22, v80
	v_sub_u32_e32 v32, v131, v32
	v_sub_u32_e32 v34, v132, v34
	;; [unrolled: 1-line block ×4, first 2 shown]
	v_add_u32_e32 v62, s23, v60
	v_and_b32_e32 v47, 0xfc, v46
	v_add_u32_e32 v84, s22, v82
	v_readlane_b32 s13, v254, 11
	v_readlane_b32 s14, v254, 12
	;; [unrolled: 1-line block ×3, first 2 shown]
	v_mad_i64_i32 v[32:33], s[6:7], v32, s74, 0
	v_mad_i64_i32 v[34:35], s[6:7], v34, s74, 0
	;; [unrolled: 1-line block ×4, first 2 shown]
	v_add_u32_e32 v66, s23, v62
	v_add_u32_e32 v45, v44, v126
	;; [unrolled: 1-line block ×3, first 2 shown]
	v_add_u16_e32 v43, v43, v47
	v_add_u32_e32 v86, s22, v84
	s_movk_i32 s22, 0xfdf2
	v_cmp_gt_u32_e64 s[6:7], 64, v41
	v_cmp_gt_u32_e64 s[30:31], 56, v41
	;; [unrolled: 1-line block ×7, first 2 shown]
	v_add_u32_e32 v68, s23, v66
	v_cmp_gt_u32_e64 s[20:21], 8, v41
	v_lshl_add_u32 v152, v89, 2, v45
	v_lshrrev_b16_e32 v43, 1, v43
	v_mad_i32_i24 v41, v88, s22, v45
	v_mul_u32_u24_e32 v45, 0x108, v47
	v_add_u32_e32 v70, s23, v68
	v_mul_u32_u24_e32 v49, 0x90, v109
	v_lshlrev_b32_e32 v43, 2, v43
	v_cmp_gt_u32_e64 s[22:23], 64, v48
	v_cmp_gt_u32_e64 s[24:25], 63, v48
	;; [unrolled: 1-line block ×4, first 2 shown]
	v_or_b32_e32 v48, v45, v88
	v_or_b32_e32 v46, 3, v46
	s_mov_b64 s[38:39], src_private_base
	v_ashrrev_i32_e32 v55, 31, v54
	v_ashrrev_i32_e32 v57, 31, v56
	;; [unrolled: 1-line block ×8, first 2 shown]
	v_add3_u32 v43, 0, v49, v43
	v_ashrrev_i32_e32 v73, 31, v72
	v_ashrrev_i32_e32 v75, 31, v74
	;; [unrolled: 1-line block ×8, first 2 shown]
	v_mul_u32_u24_e32 v92, 0x210, v47
	v_mul_u32_u24_e32 v93, 0x210, v46
	v_lshl_add_u32 v153, v48, 1, v44
	v_cmp_gt_u32_e64 s[4:5], 64, v64
	v_mov_b32_e32 v135, 0
	v_add_u32_e32 v139, 0x240, v138
	v_add_u32_e32 v140, 0x480, v138
	;; [unrolled: 1-line block ×3, first 2 shown]
	s_mov_b32 s38, 0
	v_add_u32_e32 v145, 0x1080, v144
	v_add_u32_e32 v146, 0x2100, v144
	;; [unrolled: 1-line block ×7, first 2 shown]
	v_lshl_add_u32 v154, v45, 1, v41
	v_add_u32_e32 v155, 32, v153
	v_add_u32_e32 v156, 64, v153
	;; [unrolled: 1-line block ×15, first 2 shown]
	v_mov_b32_e32 v44, v42
	v_mov_b32_e32 v45, v42
	s_lshl_b32 s40, s46, 6
	v_mov_b32_e32 v179, 0xfeffffff
	v_lshlrev_b64 v[46:47], 1, v[32:33]
	v_lshlrev_b64 v[48:49], 1, v[34:35]
	;; [unrolled: 1-line block ×5, first 2 shown]
	v_lshlrev_b32_e32 v170, 2, v40
	v_lshlrev_b64 v[56:57], 2, v[56:57]
	v_lshlrev_b64 v[58:59], 2, v[58:59]
	v_lshlrev_b64 v[60:61], 2, v[60:61]
	v_lshlrev_b64 v[62:63], 2, v[62:63]
	v_lshlrev_b64 v[66:67], 2, v[66:67]
	v_lshlrev_b64 v[68:69], 2, v[68:69]
	v_lshlrev_b64 v[70:71], 2, v[70:71]
	s_mov_b32 s47, 0x3f200000
	s_mov_b32 s48, 0x3fb8aa3b
	;; [unrolled: 1-line block ×4, first 2 shown]
	v_mov_b32_e32 v171, 0xbd5c1c4e
	v_mov_b32_e32 v172, 0x3e088382
	;; [unrolled: 1-line block ×3, first 2 shown]
	s_brev_b32 s51, -2
	v_add_u32_e32 v174, 0x8400, v43
	s_mov_b32 s52, 0xc1a00000
	v_lshlrev_b64 v[72:73], 2, v[72:73]
	v_lshlrev_b64 v[74:75], 2, v[74:75]
	;; [unrolled: 1-line block ×8, first 2 shown]
	v_add_u32_e32 v175, v41, v92
	v_add_u32_e32 v176, v41, v93
	s_mov_b32 s53, 0x5040100
	v_mov_b32_e32 v177, 0x7f800000
	v_mov_b32_e32 v178, 0
	;; [unrolled: 1-line block ×34, first 2 shown]
	s_andn2_b64 vcc, exec, s[36:37]
	s_ashr_i32 s41, s40, 31
	s_cbranch_vccnz .LBB30_369
.LBB30_366:
	v_mov_b32_e32 v32, 0
	v_mov_b32_e32 v33, 0
	;; [unrolled: 1-line block ×4, first 2 shown]
	s_and_saveexec_b64 s[34:35], s[4:5]
	s_cbranch_execz .LBB30_368
; %bb.367:
	s_lshl_b64 s[54:55], s[40:41], 1
	v_mov_b32_e32 v32, s55
	v_add_co_u32_e32 v38, vcc, s54, v136
	v_addc_co_u32_e32 v39, vcc, v137, v32, vcc
	v_add_co_u32_e32 v32, vcc, v38, v46
	v_addc_co_u32_e32 v33, vcc, v39, v47, vcc
	;; [unrolled: 2-line block ×5, first 2 shown]
	flat_load_ushort v32, v[32:33]
	s_nop 0
	flat_load_ushort v33, v[34:35]
	s_nop 0
	flat_load_ushort v34, v[36:37]
	flat_load_ushort v35, v[38:39]
.LBB30_368:
	s_or_b64 exec, exec, s[34:35]
	s_waitcnt vmcnt(0) lgkmcnt(0)
	ds_write_b16 v138, v32 offset:33792
	ds_write_b16 v139, v33 offset:33792
	;; [unrolled: 1-line block ×4, first 2 shown]
.LBB30_369:                             ; =>This Inner Loop Header: Depth=1
	s_mul_hi_i32 s35, s40, s98
	s_mul_i32 s34, s40, s98
	s_lshl_b64 s[34:35], s[34:35], 2
	s_add_u32 s34, s43, s34
	s_addc_u32 s35, s44, s35
	v_mov_b32_e32 v32, s35
	v_add_co_u32_e32 v33, vcc, s34, v54
	v_addc_co_u32_e32 v32, vcc, v32, v55, vcc
	v_add_co_u32_e32 v34, vcc, v33, v170
	v_addc_co_u32_e32 v32, vcc, 0, v32, vcc
	v_mov_b32_e32 v38, s39
	v_mov_b32_e32 v39, s38
	buffer_store_dword v135, off, s[0:3], 0
	buffer_store_dword v135, off, s[0:3], 0 offset:4
	buffer_store_dword v135, off, s[0:3], 0 offset:8
	;; [unrolled: 1-line block ×3, first 2 shown]
	v_cndmask_b32_e64 v33, v38, v32, s[6:7]
	v_cndmask_b32_e64 v32, v39, v34, s[6:7]
	flat_load_dwordx4 v[32:35], v[32:33]
	v_mov_b32_e32 v36, s35
	v_add_co_u32_e32 v37, vcc, s34, v56
	v_addc_co_u32_e32 v36, vcc, v36, v57, vcc
	v_add_co_u32_e32 v37, vcc, v37, v170
	v_addc_co_u32_e32 v40, vcc, 0, v36, vcc
	v_cndmask_b32_e64 v36, v39, v37, s[30:31]
	v_cndmask_b32_e64 v37, v38, v40, s[30:31]
	s_waitcnt vmcnt(0) lgkmcnt(0)
	ds_write_b128 v144, v[32:35]
	flat_load_dwordx4 v[32:35], v[36:37]
	v_mov_b32_e32 v36, s35
	v_add_co_u32_e32 v37, vcc, s34, v58
	v_addc_co_u32_e32 v36, vcc, v36, v59, vcc
	v_add_co_u32_e32 v37, vcc, v37, v170
	v_addc_co_u32_e32 v40, vcc, 0, v36, vcc
	v_cndmask_b32_e64 v36, v39, v37, s[10:11]
	v_cndmask_b32_e64 v37, v38, v40, s[10:11]
	s_waitcnt vmcnt(0) lgkmcnt(0)
	ds_write_b128 v145, v[32:35]
	;; [unrolled: 10-line block ×7, first 2 shown]
	flat_load_dwordx4 v[32:35], v[36:37]
                                        ; implicit-def: $vgpr37
	s_waitcnt vmcnt(0) lgkmcnt(0)
	ds_write_b128 v151, v[32:35]
	s_waitcnt lgkmcnt(0)
	s_barrier
	ds_read2_b64 v[32:35], v152 offset1:4
	s_waitcnt lgkmcnt(0)
	v_mfma_f32_16x16x16f16 a[0:3], v[32:33], v[28:29], 0
	v_mfma_f32_16x16x16f16 a[0:3], v[34:35], v[30:31], a[0:3]
	ds_read2_b64 v[32:35], v152 offset0:8 offset1:12
	s_waitcnt lgkmcnt(0)
	v_mfma_f32_16x16x16f16 a[0:3], v[32:33], v[24:25], a[0:3]
	v_mfma_f32_16x16x16f16 a[0:3], v[34:35], v[26:27], a[0:3]
	ds_read2_b64 v[32:35], v152 offset0:16 offset1:20
	;; [unrolled: 4-line block ×7, first 2 shown]
	s_waitcnt lgkmcnt(0)
	s_barrier
	v_mfma_f32_16x16x16f16 a[0:3], v[32:33], v[0:1], a[0:3]
	v_mfma_f32_16x16x16f16 a[0:3], v[34:35], v[2:3], a[0:3]
	s_nop 7
	s_nop 2
	v_accvgpr_read_b32 v36, a0
	v_cmp_nlt_f32_e64 s[34:35], |v36|, s47
	s_and_saveexec_b64 s[54:55], s[34:35]
	s_xor_b64 s[34:35], exec, s[54:55]
	s_cbranch_execz .LBB30_371
; %bb.370:                              ;   in Loop: Header=BB30_369 Depth=1
	v_add_f32_e64 v32, |v36|, |v36|
	v_mul_f32_e32 v33, 0x3fb8aa3b, v32
	v_rndne_f32_e32 v34, v33
	v_sub_f32_e32 v35, v33, v34
	v_fma_f32 v33, v32, s48, -v33
	v_fmac_f32_e32 v33, 0x32a5705f, v32
	v_add_f32_e32 v33, v35, v33
	v_cvt_i32_f32_e32 v34, v34
	v_exp_f32_e32 v33, v33
	v_cmp_ngt_f32_e32 vcc, s49, v32
	v_ldexp_f32 v33, v33, v34
	v_cndmask_b32_e32 v33, 0, v33, vcc
	v_cmp_nlt_f32_e32 vcc, s50, v32
	v_cndmask_b32_e32 v32, v177, v33, vcc
	v_add_f32_e32 v32, 1.0, v32
	v_rcp_f32_e32 v32, v32
	v_fma_f32 v37, v32, -2.0, 1.0
.LBB30_371:                             ;   in Loop: Header=BB30_369 Depth=1
	s_andn2_saveexec_b64 s[34:35], s[34:35]
; %bb.372:                              ;   in Loop: Header=BB30_369 Depth=1
	v_mul_f32_e32 v32, v36, v36
	v_mov_b32_e32 v33, 0x3ca908c9
	v_fmac_f32_e32 v33, 0xbbbac73d, v32
	v_fma_f32 v33, v32, v33, v171
	v_fma_f32 v33, v32, v33, v172
	v_fma_f32 v33, v32, v33, v173
	v_mul_f32_e64 v33, |v36|, v33
	v_fma_f32 v37, v32, v33, |v36|
; %bb.373:                              ;   in Loop: Header=BB30_369 Depth=1
	s_or_b64 exec, exec, s[34:35]
	v_accvgpr_read_b32 v35, a3
	v_accvgpr_read_b32 v33, a1
	;; [unrolled: 1-line block ×4, first 2 shown]
	v_cmp_nlt_f32_e64 s[34:35], |v33|, s47
                                        ; implicit-def: $vgpr32
	s_and_saveexec_b64 s[54:55], s[34:35]
	s_xor_b64 s[34:35], exec, s[54:55]
	s_cbranch_execz .LBB30_375
; %bb.374:                              ;   in Loop: Header=BB30_369 Depth=1
	v_add_f32_e64 v32, |v33|, |v33|
	v_mul_f32_e32 v38, 0x3fb8aa3b, v32
	v_rndne_f32_e32 v39, v38
	v_sub_f32_e32 v40, v38, v39
	v_fma_f32 v38, v32, s48, -v38
	v_fmac_f32_e32 v38, 0x32a5705f, v32
	v_add_f32_e32 v38, v40, v38
	v_cvt_i32_f32_e32 v39, v39
	v_exp_f32_e32 v38, v38
	v_cmp_ngt_f32_e32 vcc, s49, v32
	v_ldexp_f32 v38, v38, v39
	v_cndmask_b32_e32 v38, 0, v38, vcc
	v_cmp_nlt_f32_e32 vcc, s50, v32
	v_cndmask_b32_e32 v32, v177, v38, vcc
	v_add_f32_e32 v32, 1.0, v32
	v_rcp_f32_e32 v32, v32
	v_fma_f32 v32, v32, -2.0, 1.0
.LBB30_375:                             ;   in Loop: Header=BB30_369 Depth=1
	s_andn2_saveexec_b64 s[34:35], s[34:35]
; %bb.376:                              ;   in Loop: Header=BB30_369 Depth=1
	v_mul_f32_e32 v32, v33, v33
	v_mov_b32_e32 v38, 0x3ca908c9
	v_fmac_f32_e32 v38, 0xbbbac73d, v32
	v_fma_f32 v38, v32, v38, v171
	v_fma_f32 v38, v32, v38, v172
	;; [unrolled: 1-line block ×3, first 2 shown]
	v_mul_f32_e64 v38, |v33|, v38
	v_fma_f32 v32, v32, v38, |v33|
; %bb.377:                              ;   in Loop: Header=BB30_369 Depth=1
	s_or_b64 exec, exec, s[34:35]
	v_cmp_nlt_f32_e64 s[34:35], |v34|, s47
                                        ; implicit-def: $vgpr38
	s_and_saveexec_b64 s[54:55], s[34:35]
	s_xor_b64 s[34:35], exec, s[54:55]
	s_cbranch_execz .LBB30_379
; %bb.378:                              ;   in Loop: Header=BB30_369 Depth=1
	v_add_f32_e64 v38, |v34|, |v34|
	v_mul_f32_e32 v39, 0x3fb8aa3b, v38
	v_rndne_f32_e32 v40, v39
	v_sub_f32_e32 v41, v39, v40
	v_fma_f32 v39, v38, s48, -v39
	v_fmac_f32_e32 v39, 0x32a5705f, v38
	v_add_f32_e32 v39, v41, v39
	v_cvt_i32_f32_e32 v40, v40
	v_exp_f32_e32 v39, v39
	v_cmp_ngt_f32_e32 vcc, s49, v38
	v_ldexp_f32 v39, v39, v40
	v_cndmask_b32_e32 v39, 0, v39, vcc
	v_cmp_nlt_f32_e32 vcc, s50, v38
	v_cndmask_b32_e32 v38, v177, v39, vcc
	v_add_f32_e32 v38, 1.0, v38
	v_rcp_f32_e32 v38, v38
	v_fma_f32 v38, v38, -2.0, 1.0
.LBB30_379:                             ;   in Loop: Header=BB30_369 Depth=1
	s_andn2_saveexec_b64 s[34:35], s[34:35]
; %bb.380:                              ;   in Loop: Header=BB30_369 Depth=1
	v_mul_f32_e32 v38, v34, v34
	v_mov_b32_e32 v39, 0x3ca908c9
	v_fmac_f32_e32 v39, 0xbbbac73d, v38
	v_fma_f32 v39, v38, v39, v171
	v_fma_f32 v39, v38, v39, v172
	v_fma_f32 v39, v38, v39, v173
	v_mul_f32_e64 v39, |v34|, v39
	v_fma_f32 v38, v38, v39, |v34|
; %bb.381:                              ;   in Loop: Header=BB30_369 Depth=1
	s_or_b64 exec, exec, s[34:35]
	v_cmp_nlt_f32_e64 s[34:35], |v35|, s47
                                        ; implicit-def: $vgpr39
	s_and_saveexec_b64 s[54:55], s[34:35]
	s_xor_b64 s[34:35], exec, s[54:55]
	s_cbranch_execz .LBB30_383
; %bb.382:                              ;   in Loop: Header=BB30_369 Depth=1
	v_add_f32_e64 v39, |v35|, |v35|
	v_mul_f32_e32 v40, 0x3fb8aa3b, v39
	v_rndne_f32_e32 v41, v40
	v_sub_f32_e32 v43, v40, v41
	v_fma_f32 v40, v39, s48, -v40
	v_fmac_f32_e32 v40, 0x32a5705f, v39
	v_add_f32_e32 v40, v43, v40
	v_cvt_i32_f32_e32 v41, v41
	v_exp_f32_e32 v40, v40
	v_cmp_ngt_f32_e32 vcc, s49, v39
	v_ldexp_f32 v40, v40, v41
	v_cndmask_b32_e32 v40, 0, v40, vcc
	v_cmp_nlt_f32_e32 vcc, s50, v39
	v_cndmask_b32_e32 v39, v177, v40, vcc
	v_add_f32_e32 v39, 1.0, v39
	v_rcp_f32_e32 v39, v39
	v_fma_f32 v39, v39, -2.0, 1.0
.LBB30_383:                             ;   in Loop: Header=BB30_369 Depth=1
	s_andn2_saveexec_b64 s[34:35], s[34:35]
; %bb.384:                              ;   in Loop: Header=BB30_369 Depth=1
	v_mul_f32_e32 v39, v35, v35
	v_mov_b32_e32 v40, 0x3ca908c9
	v_fmac_f32_e32 v40, 0xbbbac73d, v39
	v_fma_f32 v40, v39, v40, v171
	v_fma_f32 v40, v39, v40, v172
	;; [unrolled: 1-line block ×3, first 2 shown]
	v_mul_f32_e64 v40, |v35|, v40
	v_fma_f32 v39, v39, v40, |v35|
; %bb.385:                              ;   in Loop: Header=BB30_369 Depth=1
	s_or_b64 exec, exec, s[34:35]
	v_bfi_b32 v32, s51, v32, v33
	v_bfi_b32 v36, s51, v37, v36
	v_mul_f32_e32 v37, s93, v32
	v_bfi_b32 v32, s51, v38, v34
	v_mul_f32_e32 v38, s93, v32
	;; [unrolled: 2-line block ×3, first 2 shown]
	v_mul_f32_e32 v39, s93, v32
	s_and_b64 vcc, exec, s[36:37]
	s_cbranch_vccz .LBB30_390
; %bb.386:                              ;   in Loop: Header=BB30_369 Depth=1
	ds_read2_b32 v[32:33], v174 offset1:1
	v_mov_b32_e32 v43, v42
	s_waitcnt lgkmcnt(0)
	v_cvt_f32_f16_e32 v40, v32
	v_cvt_f32_f16_e32 v34, v33
	v_cvt_f32_f16_sdwa v35, v33 dst_sel:DWORD dst_unused:UNUSED_PAD src0_sel:WORD_1
	v_cvt_f32_f16_sdwa v41, v32 dst_sel:DWORD dst_unused:UNUSED_PAD src0_sel:WORD_1
	v_pk_fma_f32 v[34:35], v[42:43], v[34:35], v[38:39]
	v_pk_fma_f32 v[32:33], v[44:45], v[40:41], v[36:37]
	s_cbranch_execnz .LBB30_388
.LBB30_387:                             ;   in Loop: Header=BB30_369 Depth=1
	v_pk_mov_b32 v[32:33], v[36:37], v[36:37] op_sel:[0,1]
	v_pk_mov_b32 v[34:35], v[38:39], v[38:39] op_sel:[0,1]
.LBB30_388:                             ;   in Loop: Header=BB30_369 Depth=1
	s_mul_hi_i32 s35, s40, s84
	s_mul_i32 s34, s40, s84
	s_lshl_b64 s[34:35], s[34:35], 2
	s_add_u32 s41, s33, s34
	s_addc_u32 s34, s42, s35
	v_mov_b32_e32 v36, s34
	v_add_co_u32_e32 v37, vcc, s41, v72
	v_addc_co_u32_e32 v36, vcc, v36, v73, vcc
	v_add_co_u32_e32 v37, vcc, v37, v170
	v_addc_co_u32_e32 v38, vcc, 0, v36, vcc
	v_mov_b32_e32 v36, s39
	v_mov_b32_e32 v43, s38
	buffer_store_dword v135, off, s[0:3], 0
	buffer_store_dword v135, off, s[0:3], 0 offset:4
	buffer_store_dword v135, off, s[0:3], 0 offset:8
	;; [unrolled: 1-line block ×3, first 2 shown]
	v_cndmask_b32_e64 v39, v36, v38, s[6:7]
	v_cndmask_b32_e64 v38, v43, v37, s[6:7]
	flat_load_dwordx4 v[38:41], v[38:39]
	v_mov_b32_e32 v37, s34
	v_add_co_u32_e32 v180, vcc, s41, v74
	v_addc_co_u32_e32 v37, vcc, v37, v75, vcc
	v_add_co_u32_e32 v180, vcc, v180, v170
	v_addc_co_u32_e32 v37, vcc, 0, v37, vcc
	v_cndmask_b32_e64 v180, v43, v180, s[30:31]
	v_cndmask_b32_e64 v181, v36, v37, s[30:31]
	v_mov_b32_e32 v37, s34
	v_add_f32_e32 v182, 0x40051340, v32
	v_max_f32_e32 v183, v179, v179
	v_max_f32_e32 v182, v183, v182
	v_cndmask_b32_e64 v182, v179, v182, s[22:23]
	v_add_f32_e32 v184, 0x40051340, v33
	v_max_f32_e32 v183, v182, v182
	v_max_f32_e32 v183, v183, v184
	v_mov_b32_e32 v184, s34
	v_mov_b32_e32 v187, s34
	v_cndmask_b32_e64 v188, v182, v183, s[24:25]
	v_add_f32_e32 v185, 0x40051340, v34
	v_add_f32_e32 v186, 0x40051340, v35
	s_add_i32 s46, s46, 1
	s_add_i32 s40, s40, 64
	s_waitcnt vmcnt(0) lgkmcnt(0)
	ds_write_b128 v144, v[38:41]
	flat_load_dwordx4 v[38:41], v[180:181]
	v_add_co_u32_e32 v180, vcc, s41, v76
	v_addc_co_u32_e32 v37, vcc, v37, v77, vcc
	v_add_co_u32_e32 v180, vcc, v180, v170
	v_addc_co_u32_e32 v37, vcc, 0, v37, vcc
	v_cndmask_b32_e64 v180, v43, v180, s[10:11]
	v_cndmask_b32_e64 v181, v36, v37, s[10:11]
	v_mov_b32_e32 v37, s34
	s_waitcnt vmcnt(0) lgkmcnt(0)
	ds_write_b128 v145, v[38:41]
	flat_load_dwordx4 v[38:41], v[180:181]
	v_add_co_u32_e32 v180, vcc, s41, v78
	v_addc_co_u32_e32 v37, vcc, v37, v79, vcc
	v_add_co_u32_e32 v180, vcc, v180, v170
	v_addc_co_u32_e32 v37, vcc, 0, v37, vcc
	v_cndmask_b32_e64 v180, v43, v180, s[12:13]
	v_cndmask_b32_e64 v181, v36, v37, s[12:13]
	v_mov_b32_e32 v37, s34
	;; [unrolled: 10-line block ×3, first 2 shown]
	v_add_co_u32_e64 v182, s[34:35], s41, v84
	v_addc_co_u32_e64 v183, s[34:35], v184, v85, s[34:35]
	v_add_co_u32_e64 v182, s[34:35], v182, v170
	v_addc_co_u32_e64 v183, s[34:35], 0, v183, s[34:35]
	v_cndmask_b32_e64 v182, v43, v182, s[18:19]
	v_cndmask_b32_e64 v183, v36, v183, s[18:19]
	v_max_f32_e32 v184, v188, v188
	v_max_f32_e32 v184, v184, v185
	v_cndmask_b32_e64 v184, v188, v184, s[26:27]
	v_max_f32_e32 v185, v184, v184
	v_max_f32_e32 v185, v185, v186
	v_cndmask_b32_e64 v184, v184, v185, s[28:29]
	ds_bpermute_b32 v185, v142, v184
	v_max_f32_e32 v184, v184, v184
	s_waitcnt lgkmcnt(0)
	v_max_f32_e32 v185, v185, v185
	v_max_f32_e32 v184, v184, v185
	ds_bpermute_b32 v185, v143, v184
	s_waitcnt vmcnt(0)
	ds_write_b128 v147, v[38:41]
	flat_load_dwordx4 v[38:41], v[180:181]
	v_add_co_u32_e32 v180, vcc, s41, v82
	v_addc_co_u32_e32 v37, vcc, v37, v83, vcc
	v_add_co_u32_e32 v180, vcc, v180, v170
	v_addc_co_u32_e32 v37, vcc, 0, v37, vcc
	v_cndmask_b32_e64 v180, v43, v180, s[16:17]
	v_cndmask_b32_e64 v181, v36, v37, s[16:17]
	v_mov_b32_e32 v37, s45
	v_cmp_lt_i32_e32 vcc, s46, v134
	s_and_b64 vcc, exec, vcc
	s_waitcnt vmcnt(0) lgkmcnt(0)
	ds_write_b128 v148, v[38:41]
	flat_load_dwordx4 v[38:41], v[180:181]
	v_cndmask_b32_e64 v181, v34, v34, s[24:25]
	v_cndmask_b32_e64 v180, v35, v35, s[24:25]
	v_mov_b32_e32 v34, s45
	v_mov_b32_e32 v35, s45
	s_waitcnt vmcnt(0) lgkmcnt(0)
	ds_write_b128 v149, v[38:41]
	flat_load_dwordx4 v[38:41], v[182:183]
	v_add_co_u32_e64 v182, s[34:35], s41, v86
	v_addc_co_u32_e64 v183, s[34:35], v187, v87, s[34:35]
	v_add_co_u32_e64 v182, s[34:35], v182, v170
	v_addc_co_u32_e64 v183, s[34:35], 0, v183, s[34:35]
	v_cndmask_b32_e64 v182, v43, v182, s[20:21]
	v_cndmask_b32_e64 v183, v36, v183, s[20:21]
	v_max_f32_e32 v36, v185, v185
	v_max_f32_e32 v36, v184, v36
	v_sub_f32_e32 v32, v32, v36
	v_sub_f32_e32 v33, v33, v36
	;; [unrolled: 1-line block ×3, first 2 shown]
	v_mul_f32_e32 v181, 0x3fb8aa3b, v32
	v_mul_f32_e32 v184, 0x3fb8aa3b, v33
	v_fma_f32 v188, v32, s48, -v181
	v_rndne_f32_e32 v189, v181
	v_sub_f32_e32 v180, v180, v36
	v_mul_f32_e32 v185, 0x3fb8aa3b, v43
	v_fma_f32 v190, v33, s48, -v184
	v_rndne_f32_e32 v191, v184
	v_fmac_f32_e32 v188, 0x32a5705f, v32
	v_sub_f32_e32 v181, v181, v189
	v_sub_f32_e32 v179, v179, v36
	v_mul_f32_e32 v186, 0x3fb8aa3b, v180
	v_fma_f32 v192, v43, s48, -v185
	v_rndne_f32_e32 v193, v185
	v_fmac_f32_e32 v190, 0x32a5705f, v33
	v_sub_f32_e32 v184, v184, v191
	v_add_f32_e32 v181, v181, v188
	v_mul_f32_e32 v187, 0x3fb8aa3b, v179
	v_fma_f32 v194, v180, s48, -v186
	v_rndne_f32_e32 v195, v186
	v_cvt_i32_f32_e32 v189, v189
	v_fmac_f32_e32 v192, 0x32a5705f, v43
	v_sub_f32_e32 v185, v185, v193
	v_add_f32_e32 v184, v184, v190
	v_exp_f32_e32 v181, v181
	v_fma_f32 v196, v179, s48, -v187
	v_rndne_f32_e32 v197, v187
	v_cvt_i32_f32_e32 v191, v191
	v_fmac_f32_e32 v194, 0x32a5705f, v180
	v_sub_f32_e32 v186, v186, v195
	v_add_f32_e32 v185, v185, v192
	v_exp_f32_e32 v184, v184
	v_cvt_i32_f32_e32 v193, v193
	v_fmac_f32_e32 v196, 0x32a5705f, v179
	v_sub_f32_e32 v187, v187, v197
	v_add_f32_e32 v186, v186, v194
	v_exp_f32_e32 v185, v185
	v_cvt_i32_f32_e32 v195, v195
	v_add_f32_e32 v187, v187, v196
	v_exp_f32_e32 v186, v186
	v_cvt_i32_f32_e32 v197, v197
	v_exp_f32_e32 v187, v187
	v_ldexp_f32 v181, v181, v189
	v_cmp_ngt_f32_e64 s[34:35], s49, v32
	v_ldexp_f32 v184, v184, v191
	v_cndmask_b32_e64 v181, 0, v181, s[34:35]
	v_cmp_ngt_f32_e64 s[34:35], s49, v33
	v_ldexp_f32 v185, v185, v193
	v_cndmask_b32_e64 v184, 0, v184, s[34:35]
	;; [unrolled: 3-line block ×4, first 2 shown]
	v_cmp_ngt_f32_e64 s[34:35], s49, v179
	v_cndmask_b32_e64 v187, 0, v187, s[34:35]
	v_cmp_nlt_f32_e64 s[34:35], s50, v32
	v_cndmask_b32_e64 v32, v177, v181, s[34:35]
	v_cmp_nlt_f32_e64 s[34:35], s50, v33
	;; [unrolled: 2-line block ×4, first 2 shown]
	s_waitcnt vmcnt(0) lgkmcnt(0)
	ds_write_b128 v150, v[38:41]
	flat_load_dwordx4 v[38:41], v[182:183]
	v_cndmask_b32_e64 v180, v177, v186, s[34:35]
	v_cmp_nlt_f32_e64 s[34:35], s50, v179
	v_cndmask_b32_e64 v181, v177, v187, s[34:35]
	v_cmp_le_f32_e64 s[34:35], s52, v179
	v_cndmask_b32_e64 v32, 0, v32, s[22:23]
	v_cndmask_b32_e64 v179, 0, v181, s[34:35]
	;; [unrolled: 1-line block ×5, first 2 shown]
	v_add_f32_e32 v33, v33, v32
	v_cvt_f16_f32_e32 v181, v179
	v_cvt_f16_f32_e32 v182, v32
	;; [unrolled: 1-line block ×5, first 2 shown]
	v_cndmask_b32_e64 v32, v32, v33, s[24:25]
	v_add_f32_e32 v33, v32, v43
	v_cndmask_b32_e64 v32, v32, v33, s[26:27]
	v_add_f32_e32 v33, v32, v180
	v_pk_mul_f16 v43, v181, v125 op_sel_hi:[0,1]
	v_pk_mul_f16 v124, v181, v124 op_sel_hi:[0,1]
	;; [unrolled: 1-line block ×32, first 2 shown]
	v_pack_b32_f16 v34, v182, v37
	v_pack_b32_f16 v35, v183, v35
	v_cndmask_b32_e64 v32, v32, v33, s[28:29]
	v_cvt_f32_f16_e32 v92, v43
	v_cvt_f32_f16_sdwa v93, v43 dst_sel:DWORD dst_unused:UNUSED_PAD src0_sel:WORD_1
	v_cvt_f32_f16_e32 v96, v124
	v_cvt_f32_f16_sdwa v97, v124 dst_sel:DWORD dst_unused:UNUSED_PAD src0_sel:WORD_1
	;; [unrolled: 2-line block ×8, first 2 shown]
	v_accvgpr_write_b32 a0, v92
	v_accvgpr_write_b32 a1, v93
	;; [unrolled: 1-line block ×4, first 2 shown]
	v_cvt_f32_f16_e32 v114, v115
	v_cvt_f32_f16_e32 v110, v117
	v_cvt_f32_f16_sdwa v111, v117 dst_sel:DWORD dst_unused:UNUSED_PAD src0_sel:WORD_1
	v_cvt_f32_f16_e32 v112, v116
	v_cvt_f32_f16_sdwa v113, v116 dst_sel:DWORD dst_unused:UNUSED_PAD src0_sel:WORD_1
	s_waitcnt vmcnt(0) lgkmcnt(0)
	ds_write_b128 v151, v[38:41]
	s_waitcnt lgkmcnt(0)
	s_barrier
	ds_read_u16 v33, v153
	ds_read_u16 v37, v153 offset:32
	ds_read_u16 v43, v153 offset:64
	;; [unrolled: 1-line block ×23, first 2 shown]
	ds_read_u16 v40, v176
	ds_read_u16 v212, v176 offset:32
	ds_read_u16 v213, v176 offset:64
	;; [unrolled: 1-line block ×7, first 2 shown]
	s_waitcnt lgkmcnt(7)
	v_perm_b32 v41, v40, v39, s53
	v_perm_b32 v40, v38, v33, s53
	v_cvt_f32_f16_e32 v38, v180
	v_cvt_f32_f16_sdwa v39, v180 dst_sel:DWORD dst_unused:UNUSED_PAD src0_sel:WORD_1
	v_mfma_f32_16x16x16f16 a[0:3], v[40:41], v[34:35], a[0:3]
	v_cvt_f32_f16_e32 v40, v184
	v_cvt_f32_f16_sdwa v41, v184 dst_sel:DWORD dst_unused:UNUSED_PAD src0_sel:WORD_1
	v_accvgpr_write_b32 a24, v38
	v_cvt_f32_f16_sdwa v115, v115 dst_sel:DWORD dst_unused:UNUSED_PAD src0_sel:WORD_1
	v_cvt_f32_f16_e32 v116, v125
	v_cvt_f32_f16_sdwa v117, v125 dst_sel:DWORD dst_unused:UNUSED_PAD src0_sel:WORD_1
	s_waitcnt lgkmcnt(6)
	v_perm_b32 v95, v212, v205, s53
	v_perm_b32 v94, v124, v37, s53
	v_accvgpr_write_b32 a25, v39
	v_accvgpr_write_b32 a26, v40
	;; [unrolled: 1-line block ×3, first 2 shown]
	s_waitcnt lgkmcnt(2)
	v_perm_b32 v39, v216, v209, s53
	v_perm_b32 v38, v202, v121, s53
	v_accvgpr_write_b32 a4, v96
	v_accvgpr_write_b32 a20, v114
	v_cvt_f32_f16_e32 v92, v185
	v_accvgpr_write_b32 a5, v97
	v_accvgpr_write_b32 a6, v98
	;; [unrolled: 1-line block ×7, first 2 shown]
	v_cvt_f32_f16_sdwa v93, v185 dst_sel:DWORD dst_unused:UNUSED_PAD src0_sel:WORD_1
	v_mfma_f32_16x16x16f16 a[4:7], v[94:95], v[34:35], a[4:7]
	v_cvt_f32_f16_e32 v94, v108
	v_cvt_f32_f16_sdwa v95, v108 dst_sel:DWORD dst_unused:UNUSED_PAD src0_sel:WORD_1
	v_accvgpr_write_b32 a9, v101
	v_accvgpr_write_b32 a10, v102
	;; [unrolled: 1-line block ×3, first 2 shown]
	v_perm_b32 v103, v214, v207, s53
	v_perm_b32 v102, v183, v118, s53
	s_waitcnt lgkmcnt(1)
	v_perm_b32 v41, v217, v210, s53
	v_perm_b32 v40, v203, v122, s53
	v_mfma_f32_16x16x16f16 a[20:23], v[38:39], v[34:35], a[20:23]
	s_waitcnt lgkmcnt(0)
	v_perm_b32 v39, v218, v211, s53
	v_perm_b32 v38, v204, v123, s53
	;; [unrolled: 1-line block ×4, first 2 shown]
	v_accvgpr_write_b32 a12, v104
	v_accvgpr_write_b32 a28, v92
	;; [unrolled: 1-line block ×9, first 2 shown]
	v_cvt_f32_f16_e32 v96, v186
	v_accvgpr_write_b32 a17, v111
	v_accvgpr_write_b32 a18, v112
	;; [unrolled: 1-line block ×3, first 2 shown]
	v_mfma_f32_16x16x16f16 a[12:15], v[102:103], v[34:35], a[12:15]
	v_perm_b32 v103, v215, v208, s53
	v_perm_b32 v102, v201, v120, s53
	ds_read_u16 v33, v153 offset:256
	ds_read_u16 v37, v153 offset:288
	;; [unrolled: 1-line block ×16, first 2 shown]
	v_cvt_f32_f16_sdwa v97, v186 dst_sel:DWORD dst_unused:UNUSED_PAD src0_sel:WORD_1
	v_cvt_f32_f16_e32 v100, v188
	v_cvt_f32_f16_sdwa v101, v188 dst_sel:DWORD dst_unused:UNUSED_PAD src0_sel:WORD_1
	v_mfma_f32_16x16x16f16 a[24:27], v[40:41], v[34:35], a[24:27]
	ds_read_u16 v40, v162 offset:1056
	ds_read_u16 v41, v163 offset:1056
	;; [unrolled: 1-line block ×8, first 2 shown]
	v_fmac_f32_e32 v32, v178, v179
	v_mfma_f32_16x16x16f16 a[28:31], v[38:39], v[34:35], a[28:31]
	ds_read_u16 v38, v176 offset:256
	ds_read_u16 v93, v176 offset:288
	;; [unrolled: 1-line block ×8, first 2 shown]
	s_waitcnt lgkmcnt(7)
	v_perm_b32 v39, v38, v40, s53
	v_perm_b32 v38, v92, v33, s53
	s_waitcnt lgkmcnt(6)
	v_perm_b32 v93, v93, v41, s53
	v_perm_b32 v92, v94, v37, s53
	v_cvt_f32_f16_sdwa v41, v191 dst_sel:DWORD dst_unused:UNUSED_PAD src0_sel:WORD_1
	v_cvt_f32_f16_e32 v40, v191
	v_mfma_f32_16x16x16f16 a[8:11], v[98:99], v[34:35], a[8:11]
	v_cvt_f32_f16_e32 v98, v187
	v_cvt_f32_f16_sdwa v99, v187 dst_sel:DWORD dst_unused:UNUSED_PAD src0_sel:WORD_1
	v_accvgpr_write_b32 a32, v96
	v_accvgpr_write_b32 a33, v97
	;; [unrolled: 1-line block ×4, first 2 shown]
	s_waitcnt lgkmcnt(5)
	v_perm_b32 v97, v122, v115, s53
	v_mfma_f32_16x16x16f16 a[16:19], v[102:103], v[34:35], a[16:19]
	v_cvt_f32_f16_e32 v102, v189
	v_cvt_f32_f16_sdwa v103, v189 dst_sel:DWORD dst_unused:UNUSED_PAD src0_sel:WORD_1
	v_perm_b32 v96, v95, v43, s53
	v_accvgpr_write_b32 a36, v100
	v_accvgpr_write_b32 a37, v101
	;; [unrolled: 1-line block ×4, first 2 shown]
	v_mfma_f32_16x16x16f16 a[32:35], v[38:39], v[34:35], a[32:35]
	v_cvt_f32_f16_e32 v38, v190
	v_cvt_f32_f16_sdwa v39, v190 dst_sel:DWORD dst_unused:UNUSED_PAD src0_sel:WORD_1
	v_accvgpr_write_b32 a43, v41
	v_accvgpr_write_b32 a42, v40
	;; [unrolled: 1-line block ×4, first 2 shown]
	v_cvt_f32_f16_e32 v94, v193
	v_mfma_f32_16x16x16f16 a[36:39], v[92:93], v[34:35], a[36:39]
	v_cvt_f32_f16_e32 v92, v192
	v_cvt_f32_f16_sdwa v93, v192 dst_sel:DWORD dst_unused:UNUSED_PAD src0_sel:WORD_1
	v_cvt_f32_f16_sdwa v95, v193 dst_sel:DWORD dst_unused:UNUSED_PAD src0_sel:WORD_1
	;; [unrolled: 1-line block ×3, first 2 shown]
	v_accvgpr_write_b32 a44, v92
	v_accvgpr_write_b32 a45, v93
	;; [unrolled: 1-line block ×3, first 2 shown]
	v_mfma_f32_16x16x16f16 a[40:43], v[96:97], v[34:35], a[40:43]
	s_waitcnt lgkmcnt(4)
	v_perm_b32 v97, v123, v116, s53
	v_perm_b32 v96, v110, v104, s53
	v_accvgpr_write_b32 a47, v95
	v_cvt_f32_f16_e32 v38, v194
	v_cvt_f32_f16_sdwa v39, v194 dst_sel:DWORD dst_unused:UNUSED_PAD src0_sel:WORD_1
	v_cvt_f32_f16_e32 v40, v195
	v_accvgpr_write_b32 a51, v41
	v_mfma_f32_16x16x16f16 a[44:47], v[96:97], v[34:35], a[44:47]
	s_waitcnt lgkmcnt(3)
	v_perm_b32 v97, v124, v117, s53
	v_perm_b32 v96, v111, v105, s53
	v_cvt_f32_f16_e32 v92, v196
	v_accvgpr_write_b32 a50, v40
	v_accvgpr_write_b32 a49, v39
	;; [unrolled: 1-line block ×3, first 2 shown]
	v_cvt_f32_f16_sdwa v93, v196 dst_sel:DWORD dst_unused:UNUSED_PAD src0_sel:WORD_1
	v_cvt_f32_f16_e32 v94, v197
	v_cvt_f32_f16_sdwa v95, v197 dst_sel:DWORD dst_unused:UNUSED_PAD src0_sel:WORD_1
	v_mfma_f32_16x16x16f16 a[48:51], v[96:97], v[34:35], a[48:51]
	s_waitcnt lgkmcnt(2)
	v_perm_b32 v97, v125, v118, s53
	v_perm_b32 v96, v112, v106, s53
	v_cvt_f32_f16_sdwa v41, v199 dst_sel:DWORD dst_unused:UNUSED_PAD src0_sel:WORD_1
	v_cvt_f32_f16_e32 v38, v198
	v_cvt_f32_f16_sdwa v39, v198 dst_sel:DWORD dst_unused:UNUSED_PAD src0_sel:WORD_1
	v_cvt_f32_f16_e32 v40, v199
	v_accvgpr_write_b32 a52, v92
	v_accvgpr_write_b32 a53, v93
	;; [unrolled: 1-line block ×4, first 2 shown]
	v_cvt_f32_f16_e32 v92, v200
	v_accvgpr_write_b32 a59, v41
	v_mfma_f32_16x16x16f16 a[52:55], v[96:97], v[34:35], a[52:55]
	s_waitcnt lgkmcnt(1)
	v_perm_b32 v97, v180, v120, s53
	v_perm_b32 v96, v113, v107, s53
	v_cvt_f32_f16_sdwa v93, v200 dst_sel:DWORD dst_unused:UNUSED_PAD src0_sel:WORD_1
	v_cvt_f32_f16_e32 v94, v181
	v_cvt_f32_f16_sdwa v95, v181 dst_sel:DWORD dst_unused:UNUSED_PAD src0_sel:WORD_1
	v_accvgpr_write_b32 a58, v40
	v_accvgpr_write_b32 a57, v39
	;; [unrolled: 1-line block ×3, first 2 shown]
	s_waitcnt lgkmcnt(0)
	v_perm_b32 v39, v182, v121, s53
	v_perm_b32 v38, v114, v108, s53
	v_accvgpr_write_b32 a60, v92
	v_accvgpr_write_b32 a61, v93
	;; [unrolled: 1-line block ×4, first 2 shown]
	v_mfma_f32_16x16x16f16 a[56:59], v[96:97], v[34:35], a[56:59]
	v_accvgpr_read_b32 v33, a0
	v_accvgpr_read_b32 v37, a3
	;; [unrolled: 1-line block ×7, first 2 shown]
	v_mfma_f32_16x16x16f16 a[60:63], v[38:39], v[34:35], a[60:63]
	v_accvgpr_read_b32 v34, a1
	v_accvgpr_read_b32 v35, a2
	;; [unrolled: 1-line block ×57, first 2 shown]
	v_cvt_f16_f32_e32 v33, v33
	v_cvt_f16_f32_e32 v34, v34
	;; [unrolled: 1-line block ×64, first 2 shown]
	v_pack_b32_f16 v125, v33, v34
	v_pack_b32_f16 v112, v35, v37
	;; [unrolled: 1-line block ×32, first 2 shown]
	s_barrier
	s_cbranch_vccz .LBB30_392
; %bb.389:                              ;   in Loop: Header=BB30_369 Depth=1
	v_mov_b32_e32 v178, v32
	v_mov_b32_e32 v179, v36
	s_andn2_b64 vcc, exec, s[36:37]
	s_ashr_i32 s41, s40, 31
	s_cbranch_vccz .LBB30_366
	s_branch .LBB30_369
.LBB30_390:                             ;   in Loop: Header=BB30_369 Depth=1
                                        ; implicit-def: $vgpr32_vgpr33_vgpr34_vgpr35
	s_branch .LBB30_387
.LBB30_391:
	v_mov_b32_e32 v32, 0
	v_mov_b32_e32 v36, 0xfeffffff
	v_mov_b32_e32 v125, 0
	v_mov_b32_e32 v123, 0
	v_mov_b32_e32 v124, 0
	v_mov_b32_e32 v121, 0
	v_mov_b32_e32 v122, 0
	v_mov_b32_e32 v118, 0
	v_mov_b32_e32 v120, 0
	v_mov_b32_e32 v116, 0
	v_mov_b32_e32 v117, 0
	v_mov_b32_e32 v114, 0
	v_mov_b32_e32 v115, 0
	v_mov_b32_e32 v111, 0
	v_mov_b32_e32 v113, 0
	v_mov_b32_e32 v108, 0
	v_mov_b32_e32 v110, 0
	v_mov_b32_e32 v106, 0
	v_mov_b32_e32 v107, 0
	v_mov_b32_e32 v104, 0
	v_mov_b32_e32 v105, 0
	v_mov_b32_e32 v102, 0
	v_mov_b32_e32 v103, 0
	v_mov_b32_e32 v100, 0
	v_mov_b32_e32 v101, 0
	v_mov_b32_e32 v98, 0
	v_mov_b32_e32 v99, 0
	v_mov_b32_e32 v96, 0
	v_mov_b32_e32 v97, 0
	v_mov_b32_e32 v94, 0
	v_mov_b32_e32 v95, 0
	v_mov_b32_e32 v92, 0
	v_mov_b32_e32 v93, 0
.LBB30_392:
	s_lshl_b32 s22, s46, 6
	v_readlane_b32 s4, v254, 4
	s_sub_i32 s26, s4, s22
	s_cmp_lg_u64 s[8:9], 0
	s_cselect_b64 s[24:25], -1, 0
	s_ashr_i32 s23, s22, 31
	s_cmp_eq_u64 s[8:9], 0
	v_readlane_b32 s5, v254, 5
	s_cbranch_scc1 .LBB30_402
; %bb.393:
	s_lshl_b64 s[4:5], s[22:23], 1
	s_add_u32 s4, s8, s4
	s_addc_u32 s5, s9, s5
	v_mov_b32_e32 v34, s5
	v_add_co_u32_e64 v33, s[4:5], s4, v133
	v_cmp_gt_i32_e32 vcc, s26, v64
	v_mov_b32_e32 v35, 0
	v_addc_co_u32_e64 v34, s[4:5], 0, v34, s[4:5]
	v_mov_b32_e32 v38, 0
	s_and_saveexec_b64 s[6:7], vcc
	s_cbranch_execz .LBB30_395
; %bb.394:
	v_readlane_b32 s4, v254, 14
	v_mul_hi_u32 v37, s4, v131
	v_readlane_b32 s5, v254, 15
	v_add_u32_e32 v37, v131, v37
	v_lshrrev_b32_e32 v37, s5, v37
	v_readlane_b32 s8, v254, 10
	v_mul_lo_u32 v37, v37, s8
	v_sub_u32_e32 v37, v131, v37
	v_mad_i64_i32 v[38:39], s[4:5], v37, s74, 0
	v_lshlrev_b64 v[38:39], 1, v[38:39]
	v_add_co_u32_e64 v38, s[4:5], v33, v38
	v_addc_co_u32_e64 v39, s[4:5], v34, v39, s[4:5]
	flat_load_ushort v38, v[38:39]
	v_readlane_b32 s9, v254, 11
	v_readlane_b32 s10, v254, 12
	;; [unrolled: 1-line block ×3, first 2 shown]
.LBB30_395:
	s_or_b64 exec, exec, s[6:7]
	s_movk_i32 s4, 0x90
	v_mad_u32_u24 v37, v119, s4, 0
	v_lshl_add_u32 v39, v64, 1, v37
	s_waitcnt vmcnt(0) lgkmcnt(0)
	ds_write_b16 v39, v38 offset:33792
	s_and_saveexec_b64 s[6:7], vcc
	s_cbranch_execz .LBB30_397
; %bb.396:
	v_readlane_b32 s4, v254, 14
	v_mul_hi_u32 v35, s4, v132
	v_readlane_b32 s5, v254, 15
	v_add_u32_e32 v35, v132, v35
	v_lshrrev_b32_e32 v35, s5, v35
	v_readlane_b32 s8, v254, 10
	v_mul_lo_u32 v35, v35, s8
	v_sub_u32_e32 v35, v132, v35
	v_mad_i64_i32 v[38:39], s[4:5], v35, s74, 0
	v_lshlrev_b64 v[38:39], 1, v[38:39]
	v_add_co_u32_e64 v38, s[4:5], v33, v38
	v_addc_co_u32_e64 v39, s[4:5], v34, v39, s[4:5]
	flat_load_ushort v35, v[38:39]
	v_readlane_b32 s9, v254, 11
	v_readlane_b32 s10, v254, 12
	;; [unrolled: 1-line block ×3, first 2 shown]
.LBB30_397:
	s_or_b64 exec, exec, s[6:7]
	v_add_u32_e32 v37, 0x240, v37
	v_lshl_add_u32 v38, v64, 1, v37
	s_waitcnt vmcnt(0) lgkmcnt(0)
	ds_write_b16 v38, v35 offset:33792
	v_mov_b32_e32 v35, 0
	v_mov_b32_e32 v38, 0
	s_and_saveexec_b64 s[6:7], vcc
	s_cbranch_execz .LBB30_399
; %bb.398:
	v_readlane_b32 s4, v254, 14
	v_mul_hi_u32 v38, s4, v130
	v_readlane_b32 s5, v254, 15
	v_add_u32_e32 v38, v130, v38
	v_lshrrev_b32_e32 v38, s5, v38
	v_readlane_b32 s8, v254, 10
	v_mul_lo_u32 v38, v38, s8
	v_sub_u32_e32 v38, v130, v38
	v_mad_i64_i32 v[38:39], s[4:5], v38, s74, 0
	v_lshlrev_b64 v[38:39], 1, v[38:39]
	v_add_co_u32_e64 v38, s[4:5], v33, v38
	v_addc_co_u32_e64 v39, s[4:5], v34, v39, s[4:5]
	flat_load_ushort v38, v[38:39]
	v_readlane_b32 s9, v254, 11
	v_readlane_b32 s10, v254, 12
	;; [unrolled: 1-line block ×3, first 2 shown]
.LBB30_399:
	s_or_b64 exec, exec, s[6:7]
	v_add_u32_e32 v37, 0x240, v37
	v_lshl_add_u32 v37, v64, 1, v37
	s_waitcnt vmcnt(0) lgkmcnt(0)
	ds_write_b16 v37, v38 offset:33792
	s_and_saveexec_b64 s[4:5], vcc
	s_cbranch_execz .LBB30_401
; %bb.400:
	v_readlane_b32 s6, v254, 14
	v_mul_hi_u32 v35, s6, v129
	v_readlane_b32 s7, v254, 15
	v_add_u32_e32 v35, v129, v35
	v_lshrrev_b32_e32 v35, s7, v35
	v_readlane_b32 s8, v254, 10
	v_mul_lo_u32 v35, v35, s8
	v_sub_u32_e32 v35, v129, v35
	v_mad_i64_i32 v[38:39], s[6:7], v35, s74, 0
	v_lshlrev_b64 v[38:39], 1, v[38:39]
	v_add_co_u32_e32 v38, vcc, v33, v38
	v_addc_co_u32_e32 v39, vcc, v34, v39, vcc
	flat_load_ushort v35, v[38:39]
	v_readlane_b32 s9, v254, 11
	v_readlane_b32 s10, v254, 12
	;; [unrolled: 1-line block ×3, first 2 shown]
.LBB30_401:
	s_or_b64 exec, exec, s[4:5]
	s_waitcnt vmcnt(0) lgkmcnt(0)
	ds_write_b16 v37, v35 offset:34368
.LBB30_402:
	s_mul_hi_i32 s5, s22, s98
	s_mul_i32 s4, s22, s98
	v_lshl_add_u32 v37, v119, 1, v128
	s_lshl_b64 s[4:5], s[4:5], 2
	v_mul_lo_u32 v34, s98, v37
	s_add_u32 s6, s43, s4
	v_ashrrev_i32_e32 v35, 31, v34
	s_addc_u32 s7, s44, s5
	v_mov_b32_e32 v33, 0
	v_lshlrev_b64 v[38:39], 2, v[34:35]
	buffer_store_dword v33, off, s[0:3], 0
	buffer_store_dword v33, off, s[0:3], 0 offset:4
	buffer_store_dword v33, off, s[0:3], 0 offset:8
	;; [unrolled: 1-line block ×3, first 2 shown]
	v_and_b32_e32 v33, 0x7c, v65
	v_mov_b32_e32 v35, s7
	v_add_co_u32_e32 v38, vcc, s6, v38
	v_lshlrev_b32_e32 v33, 2, v33
	v_addc_co_u32_e32 v35, vcc, v35, v39, vcc
	s_mov_b64 s[4:5], src_private_base
	v_add_co_u32_e32 v38, vcc, v38, v33
	v_addc_co_u32_e32 v35, vcc, 0, v35, vcc
	v_mov_b32_e32 v43, s5
	v_cmp_gt_i32_e64 s[20:21], s26, v37
	v_mov_b32_e32 v48, 0
	v_cndmask_b32_e64 v39, v43, v35, s[20:21]
	v_cndmask_b32_e64 v38, v48, v38, s[20:21]
	flat_load_dwordx4 v[38:41], v[38:39]
	s_lshl_b32 s8, s98, 3
	v_add_u32_e32 v44, s8, v34
	v_ashrrev_i32_e32 v45, 31, v44
	v_lshlrev_b64 v[46:47], 2, v[44:45]
	v_mov_b32_e32 v34, s7
	v_add_co_u32_e32 v45, vcc, s6, v46
	v_addc_co_u32_e32 v34, vcc, v34, v47, vcc
	v_mul_u32_u24_e32 v35, 0x210, v37
	v_add_u32_e32 v49, 8, v37
	v_add_co_u32_e32 v45, vcc, v45, v33
	v_add3_u32 v35, 0, v35, v33
	v_addc_co_u32_e32 v34, vcc, 0, v34, vcc
	v_cmp_gt_i32_e64 s[10:11], s26, v49
	v_cndmask_b32_e64 v47, v43, v34, s[10:11]
	v_cndmask_b32_e64 v46, v48, v45, s[10:11]
	v_add_u32_e32 v44, s8, v44
	v_ashrrev_i32_e32 v45, 31, v44
	v_mov_b32_e32 v49, s7
	v_add_u32_e32 v34, 16, v37
	v_cmp_gt_i32_e64 s[12:13], s26, v34
	v_add_u32_e32 v34, 24, v37
	v_cmp_gt_i32_e64 s[14:15], s26, v34
	;; [unrolled: 2-line block ×5, first 2 shown]
	v_add_u32_e32 v34, 56, v37
	s_waitcnt vmcnt(0) lgkmcnt(0)
	ds_write_b128 v35, v[38:41]
	flat_load_dwordx4 v[38:41], v[46:47]
	v_lshlrev_b64 v[46:47], 2, v[44:45]
	v_add_co_u32_e32 v45, vcc, s6, v46
	v_addc_co_u32_e32 v46, vcc, v49, v47, vcc
	v_add_co_u32_e32 v45, vcc, v45, v33
	v_addc_co_u32_e32 v46, vcc, 0, v46, vcc
	v_cndmask_b32_e64 v47, v43, v46, s[12:13]
	v_cndmask_b32_e64 v46, v48, v45, s[12:13]
	v_add_u32_e32 v44, s8, v44
	v_ashrrev_i32_e32 v45, 31, v44
	s_waitcnt vmcnt(0) lgkmcnt(0)
	ds_write_b128 v35, v[38:41] offset:4224
	flat_load_dwordx4 v[38:41], v[46:47]
	v_lshlrev_b64 v[46:47], 2, v[44:45]
	v_add_co_u32_e32 v45, vcc, s6, v46
	v_addc_co_u32_e32 v46, vcc, v49, v47, vcc
	v_add_co_u32_e32 v45, vcc, v45, v33
	v_addc_co_u32_e32 v46, vcc, 0, v46, vcc
	v_cndmask_b32_e64 v47, v43, v46, s[14:15]
	v_cndmask_b32_e64 v46, v48, v45, s[14:15]
	v_add_u32_e32 v44, s8, v44
	v_ashrrev_i32_e32 v45, 31, v44
	s_waitcnt vmcnt(0) lgkmcnt(0)
	ds_write_b128 v35, v[38:41] offset:8448
	;; [unrolled: 12-line block ×4, first 2 shown]
	flat_load_dwordx4 v[38:41], v[46:47]
	v_lshlrev_b64 v[46:47], 2, v[44:45]
	v_add_co_u32_e32 v45, vcc, s6, v46
	v_addc_co_u32_e32 v46, vcc, v49, v47, vcc
	v_add_co_u32_e32 v45, vcc, v45, v33
	v_addc_co_u32_e32 v46, vcc, 0, v46, vcc
	v_cndmask_b32_e64 v47, v43, v46, s[4:5]
	v_cndmask_b32_e64 v46, v48, v45, s[4:5]
	v_add_u32_e32 v44, s8, v44
	v_ashrrev_i32_e32 v45, 31, v44
	v_lshlrev_b64 v[44:45], 2, v[44:45]
	v_add_co_u32_e32 v44, vcc, s6, v44
	s_movk_i32 s8, 0x210
	s_waitcnt vmcnt(0) lgkmcnt(0)
	ds_write_b128 v35, v[38:41] offset:21120
	flat_load_dwordx4 v[38:41], v[46:47]
	v_mov_b32_e32 v46, s7
	v_addc_co_u32_e32 v45, vcc, v46, v45, vcc
	v_add_co_u32_e32 v44, vcc, v44, v33
	v_addc_co_u32_e32 v45, vcc, 0, v45, vcc
	v_cmp_gt_i32_e64 s[6:7], s26, v34
	v_cndmask_b32_e64 v45, v43, v45, s[6:7]
	v_cndmask_b32_e64 v44, v48, v44, s[6:7]
	s_waitcnt vmcnt(0) lgkmcnt(0)
	ds_write_b128 v35, v[38:41] offset:25344
	flat_load_dwordx4 v[44:47], v[44:45]
	v_and_b32_e32 v38, 48, v219
	v_mad_u32_u24 v34, v38, s8, 0
	v_add3_u32 v39, v34, v126, v127
	s_mov_b32 s8, 0x3f200000
	s_waitcnt vmcnt(0) lgkmcnt(0)
	ds_write_b128 v35, v[44:47] offset:29568
	s_waitcnt lgkmcnt(0)
	s_barrier
	ds_read2_b64 v[44:47], v39 offset1:4
	s_waitcnt lgkmcnt(0)
	v_mfma_f32_16x16x16f16 a[0:3], v[44:45], v[28:29], 0
	v_mfma_f32_16x16x16f16 a[0:3], v[46:47], v[30:31], a[0:3]
	ds_read2_b64 v[28:31], v39 offset0:8 offset1:12
	s_waitcnt lgkmcnt(0)
	v_mfma_f32_16x16x16f16 a[0:3], v[28:29], v[24:25], a[0:3]
	v_mfma_f32_16x16x16f16 a[0:3], v[30:31], v[26:27], a[0:3]
	ds_read2_b64 v[24:27], v39 offset0:16 offset1:20
	;; [unrolled: 4-line block ×7, first 2 shown]
	s_waitcnt lgkmcnt(0)
	s_barrier
	v_mfma_f32_16x16x16f16 a[0:3], v[4:5], v[0:1], a[0:3]
                                        ; implicit-def: $vgpr5
	v_mfma_f32_16x16x16f16 a[0:3], v[6:7], v[2:3], a[0:3]
	s_nop 7
	s_nop 2
	v_accvgpr_read_b32 v4, a0
	v_cmp_nlt_f32_e64 s[8:9], |v4|, s8
	s_and_saveexec_b64 s[28:29], s[8:9]
	s_xor_b64 s[8:9], exec, s[28:29]
	s_cbranch_execz .LBB30_404
; %bb.403:
	v_add_f32_e64 v0, |v4|, |v4|
	v_mul_f32_e32 v1, 0x3fb8aa3b, v0
	s_mov_b32 s23, 0x3fb8aa3b
	v_rndne_f32_e32 v2, v1
	v_sub_f32_e32 v3, v1, v2
	v_fma_f32 v1, v0, s23, -v1
	v_fmac_f32_e32 v1, 0x32a5705f, v0
	v_add_f32_e32 v1, v3, v1
	v_exp_f32_e32 v1, v1
	v_cvt_i32_f32_e32 v2, v2
	s_mov_b32 s23, 0xc2ce8ed0
	v_cmp_ngt_f32_e32 vcc, s23, v0
	s_mov_b32 s23, 0x42b17218
	v_ldexp_f32 v1, v1, v2
	v_cndmask_b32_e32 v1, 0, v1, vcc
	v_mov_b32_e32 v2, 0x7f800000
	v_cmp_nlt_f32_e32 vcc, s23, v0
	v_cndmask_b32_e32 v0, v2, v1, vcc
	v_add_f32_e32 v0, 1.0, v0
	v_rcp_f32_e32 v0, v0
	v_fma_f32 v5, v0, -2.0, 1.0
.LBB30_404:
	s_or_saveexec_b64 s[8:9], s[8:9]
	v_accvgpr_read_b32 v0, a0
	v_accvgpr_read_b32 v1, a1
	v_accvgpr_read_b32 v2, a2
	v_accvgpr_read_b32 v3, a3
	s_xor_b64 exec, exec, s[8:9]
; %bb.405:
	v_mul_f32_e32 v0, v4, v4
	v_mov_b32_e32 v5, 0x3ca908c9
	v_fmac_f32_e32 v5, 0xbbbac73d, v0
	v_mov_b32_e32 v6, 0xbd5c1c4e
	v_fmac_f32_e32 v6, v0, v5
	;; [unrolled: 2-line block ×4, first 2 shown]
	v_mul_f32_e64 v5, |v4|, v6
	v_fma_f32 v5, v0, v5, |v4|
; %bb.406:
	s_or_b64 exec, exec, s[8:9]
	s_mov_b32 s8, 0x3f200000
	v_cmp_nlt_f32_e64 s[8:9], |v1|, s8
                                        ; implicit-def: $vgpr0
	s_and_saveexec_b64 s[28:29], s[8:9]
	s_xor_b64 s[8:9], exec, s[28:29]
	s_cbranch_execz .LBB30_408
; %bb.407:
	v_add_f32_e64 v0, |v1|, |v1|
	v_mul_f32_e32 v6, 0x3fb8aa3b, v0
	s_mov_b32 s23, 0x3fb8aa3b
	v_rndne_f32_e32 v7, v6
	v_sub_f32_e32 v8, v6, v7
	v_fma_f32 v6, v0, s23, -v6
	v_fmac_f32_e32 v6, 0x32a5705f, v0
	v_add_f32_e32 v6, v8, v6
	v_exp_f32_e32 v6, v6
	v_cvt_i32_f32_e32 v7, v7
	s_mov_b32 s23, 0xc2ce8ed0
	v_cmp_ngt_f32_e32 vcc, s23, v0
	s_mov_b32 s23, 0x42b17218
	v_ldexp_f32 v6, v6, v7
	v_cndmask_b32_e32 v6, 0, v6, vcc
	v_mov_b32_e32 v7, 0x7f800000
	v_cmp_nlt_f32_e32 vcc, s23, v0
	v_cndmask_b32_e32 v0, v7, v6, vcc
	v_add_f32_e32 v0, 1.0, v0
	v_rcp_f32_e32 v0, v0
	v_fma_f32 v0, v0, -2.0, 1.0
.LBB30_408:
	s_andn2_saveexec_b64 s[8:9], s[8:9]
; %bb.409:
	v_mul_f32_e32 v0, v1, v1
	v_mov_b32_e32 v6, 0x3ca908c9
	v_fmac_f32_e32 v6, 0xbbbac73d, v0
	v_mov_b32_e32 v7, 0xbd5c1c4e
	v_fmac_f32_e32 v7, v0, v6
	;; [unrolled: 2-line block ×4, first 2 shown]
	v_mul_f32_e64 v6, |v1|, v7
	v_fma_f32 v0, v0, v6, |v1|
; %bb.410:
	s_or_b64 exec, exec, s[8:9]
	s_mov_b32 s8, 0x3f200000
	v_cmp_nlt_f32_e64 s[8:9], |v2|, s8
                                        ; implicit-def: $vgpr6
	s_and_saveexec_b64 s[28:29], s[8:9]
	s_xor_b64 s[8:9], exec, s[28:29]
	s_cbranch_execz .LBB30_412
; %bb.411:
	v_add_f32_e64 v6, |v2|, |v2|
	v_mul_f32_e32 v7, 0x3fb8aa3b, v6
	s_mov_b32 s23, 0x3fb8aa3b
	v_rndne_f32_e32 v8, v7
	v_sub_f32_e32 v9, v7, v8
	v_fma_f32 v7, v6, s23, -v7
	v_fmac_f32_e32 v7, 0x32a5705f, v6
	v_add_f32_e32 v7, v9, v7
	v_exp_f32_e32 v7, v7
	v_cvt_i32_f32_e32 v8, v8
	s_mov_b32 s23, 0xc2ce8ed0
	v_cmp_ngt_f32_e32 vcc, s23, v6
	s_mov_b32 s23, 0x42b17218
	v_ldexp_f32 v7, v7, v8
	v_cndmask_b32_e32 v7, 0, v7, vcc
	v_mov_b32_e32 v8, 0x7f800000
	v_cmp_nlt_f32_e32 vcc, s23, v6
	v_cndmask_b32_e32 v6, v8, v7, vcc
	v_add_f32_e32 v6, 1.0, v6
	v_rcp_f32_e32 v6, v6
	v_fma_f32 v6, v6, -2.0, 1.0
.LBB30_412:
	s_andn2_saveexec_b64 s[8:9], s[8:9]
; %bb.413:
	v_mul_f32_e32 v6, v2, v2
	v_mov_b32_e32 v7, 0x3ca908c9
	v_fmac_f32_e32 v7, 0xbbbac73d, v6
	v_mov_b32_e32 v8, 0xbd5c1c4e
	v_fmac_f32_e32 v8, v6, v7
	;; [unrolled: 2-line block ×4, first 2 shown]
	v_mul_f32_e64 v7, |v2|, v8
	v_fma_f32 v6, v6, v7, |v2|
; %bb.414:
	s_or_b64 exec, exec, s[8:9]
	s_mov_b32 s8, 0x3f200000
	v_cmp_nlt_f32_e64 s[8:9], |v3|, s8
                                        ; implicit-def: $vgpr7
	s_and_saveexec_b64 s[28:29], s[8:9]
	s_xor_b64 s[8:9], exec, s[28:29]
	s_cbranch_execz .LBB30_416
; %bb.415:
	v_add_f32_e64 v7, |v3|, |v3|
	v_mul_f32_e32 v8, 0x3fb8aa3b, v7
	s_mov_b32 s23, 0x3fb8aa3b
	v_rndne_f32_e32 v9, v8
	v_sub_f32_e32 v10, v8, v9
	v_fma_f32 v8, v7, s23, -v8
	v_fmac_f32_e32 v8, 0x32a5705f, v7
	v_add_f32_e32 v8, v10, v8
	v_exp_f32_e32 v8, v8
	v_cvt_i32_f32_e32 v9, v9
	s_mov_b32 s23, 0xc2ce8ed0
	v_cmp_ngt_f32_e32 vcc, s23, v7
	s_mov_b32 s23, 0x42b17218
	v_ldexp_f32 v8, v8, v9
	v_cndmask_b32_e32 v8, 0, v8, vcc
	v_mov_b32_e32 v9, 0x7f800000
	v_cmp_nlt_f32_e32 vcc, s23, v7
	v_cndmask_b32_e32 v7, v9, v8, vcc
	v_add_f32_e32 v7, 1.0, v7
	v_rcp_f32_e32 v7, v7
	v_fma_f32 v7, v7, -2.0, 1.0
.LBB30_416:
	s_andn2_saveexec_b64 s[8:9], s[8:9]
; %bb.417:
	v_mul_f32_e32 v7, v3, v3
	v_mov_b32_e32 v8, 0x3ca908c9
	v_fmac_f32_e32 v8, 0xbbbac73d, v7
	v_mov_b32_e32 v9, 0xbd5c1c4e
	v_fmac_f32_e32 v9, v7, v8
	;; [unrolled: 2-line block ×4, first 2 shown]
	v_mul_f32_e64 v8, |v3|, v9
	v_fma_f32 v7, v7, v8, |v3|
; %bb.418:
	s_or_b64 exec, exec, s[8:9]
	s_brev_b32 s8, -2
	v_bfi_b32 v0, s8, v0, v1
	v_bfi_b32 v4, s8, v5, v4
	v_mul_f32_e32 v5, s93, v0
	v_bfi_b32 v0, s8, v6, v2
	v_mul_f32_e32 v6, s93, v0
	;; [unrolled: 2-line block ×3, first 2 shown]
	v_mul_f32_e32 v7, s93, v0
	s_and_b64 vcc, exec, s[24:25]
	s_cbranch_vccz .LBB30_420
; %bb.419:
	v_lshrrev_b32_e32 v13, 2, v64
	v_and_b32_e32 v12, 0xfc, v13
	v_add_u16_e32 v1, v38, v12
	s_movk_i32 s8, 0x90
	v_lshrrev_b16_e32 v1, 1, v1
	v_mad_u32_u24 v0, v109, s8, 0
	v_lshlrev_b32_e32 v1, 2, v1
	s_mov_b32 s8, 0x8400
	v_add3_u32 v0, v0, v1, s8
	ds_read2_b32 v[0:1], v0 offset1:1
	v_add_u32_e32 v11, v38, v12
	s_mov_b64 s[8:9], 0
	s_waitcnt lgkmcnt(0)
	v_cvt_f32_f16_e32 v8, v0
	v_cvt_f32_f16_e32 v2, v1
	v_cvt_f32_f16_sdwa v3, v1 dst_sel:DWORD dst_unused:UNUSED_PAD src0_sel:WORD_1
	v_cvt_f32_f16_sdwa v9, v0 dst_sel:DWORD dst_unused:UNUSED_PAD src0_sel:WORD_1
	v_pk_fma_f32 v[2:3], v[42:43], v[2:3], v[6:7] op_sel_hi:[0,1,1]
	v_pk_fma_f32 v[0:1], v[42:43], v[8:9], v[4:5] op_sel_hi:[0,1,1]
	s_branch .LBB30_421
.LBB30_420:
	s_mov_b64 s[8:9], -1
                                        ; implicit-def: $vgpr0_vgpr1_vgpr2_vgpr3
                                        ; implicit-def: $vgpr13
                                        ; implicit-def: $vgpr12
                                        ; implicit-def: $vgpr11
.LBB30_421:
	v_add_u32_e32 v17, 0x1080, v35
	v_add_u32_e32 v16, 0x2100, v35
	;; [unrolled: 1-line block ×6, first 2 shown]
	s_andn2_b64 vcc, exec, s[8:9]
	v_add_u32_e32 v8, 0x7380, v35
	s_cbranch_vccnz .LBB30_423
; %bb.422:
	v_and_b32_e32 v12, 0xfc, v91
	v_pk_mov_b32 v[0:1], v[4:5], v[4:5] op_sel:[0,1]
	v_add_u32_e32 v11, v38, v12
	v_mov_b32_e32 v13, v91
	v_pk_mov_b32 v[2:3], v[6:7], v[6:7] op_sel:[0,1]
.LBB30_423:
	s_mul_hi_i32 s9, s22, s84
	s_mul_i32 s8, s22, s84
	s_lshl_b64 s[22:23], s[8:9], 2
	v_mul_lo_u32 v18, s84, v37
	s_add_u32 s9, s33, s22
	v_mov_b32_e32 v4, 0
	v_ashrrev_i32_e32 v19, 31, v18
	s_addc_u32 s22, s42, s23
	buffer_store_dword v4, off, s[0:3], 0
	buffer_store_dword v4, off, s[0:3], 0 offset:4
	buffer_store_dword v4, off, s[0:3], 0 offset:8
	;; [unrolled: 1-line block ×3, first 2 shown]
	v_lshlrev_b64 v[4:5], 2, v[18:19]
	v_mov_b32_e32 v6, s22
	v_add_co_u32_e32 v4, vcc, s9, v4
	v_addc_co_u32_e32 v5, vcc, v6, v5, vcc
	s_mov_b64 s[24:25], src_private_base
	v_add_co_u32_e32 v4, vcc, v4, v33
	v_addc_co_u32_e32 v5, vcc, 0, v5, vcc
	v_mov_b32_e32 v22, s25
	v_mov_b32_e32 v23, 0
	v_cndmask_b32_e64 v5, v22, v5, s[20:21]
	v_cndmask_b32_e64 v4, v23, v4, s[20:21]
	flat_load_dwordx4 v[4:7], v[4:5]
	s_lshl_b32 s20, s84, 3
	v_add_u32_e32 v18, s20, v18
	v_ashrrev_i32_e32 v19, 31, v18
	v_lshlrev_b64 v[20:21], 2, v[18:19]
	v_mov_b32_e32 v24, s22
	v_add_co_u32_e32 v19, vcc, s9, v20
	v_addc_co_u32_e32 v20, vcc, v24, v21, vcc
	v_add_co_u32_e32 v19, vcc, v19, v33
	v_addc_co_u32_e32 v20, vcc, 0, v20, vcc
	v_cndmask_b32_e64 v21, v22, v20, s[10:11]
	v_cndmask_b32_e64 v20, v23, v19, s[10:11]
	v_add_u32_e32 v18, s20, v18
	v_ashrrev_i32_e32 v19, 31, v18
	v_or_b32_e32 v29, 3, v13
	v_add_u32_e32 v25, 3, v11
	v_lshlrev_b32_e32 v30, 1, v88
	v_mul_i32_i24_e32 v29, 0x210, v29
	s_mov_b32 s10, 0
	v_mov_b32_e32 v13, s10
	v_mbcnt_hi_u32_b32 v27, -1, v90
	v_and_b32_e32 v31, 64, v27
	v_add_f32_e32 v26, 0x40051340, v3
	v_xor_b32_e32 v37, 16, v27
	s_mov_b32 s21, 0x3fb8aa3b
	s_mov_b32 s23, 0xc2ce8ed0
	v_mov_b32_e32 v28, 0x7f800000
	s_mov_b32 s8, 0x5040100
	s_waitcnt vmcnt(0) lgkmcnt(0)
	ds_write_b128 v35, v[4:7]
	flat_load_dwordx4 v[4:7], v[20:21]
	v_lshlrev_b64 v[20:21], 2, v[18:19]
	v_add_co_u32_e32 v19, vcc, s9, v20
	v_addc_co_u32_e32 v20, vcc, v24, v21, vcc
	v_add_co_u32_e32 v19, vcc, v19, v33
	v_addc_co_u32_e32 v20, vcc, 0, v20, vcc
	v_cndmask_b32_e64 v21, v22, v20, s[12:13]
	v_cndmask_b32_e64 v20, v23, v19, s[12:13]
	v_add_u32_e32 v18, s20, v18
	v_ashrrev_i32_e32 v19, 31, v18
	v_add_f32_e32 v24, 0x40051340, v2
	v_xor_b32_e32 v35, 32, v27
	s_waitcnt vmcnt(0) lgkmcnt(0)
	ds_write_b128 v17, v[4:7]
	flat_load_dwordx4 v[4:7], v[20:21]
	v_lshlrev_b64 v[20:21], 2, v[18:19]
	v_mov_b32_e32 v17, s22
	v_add_co_u32_e32 v19, vcc, s9, v20
	v_addc_co_u32_e32 v17, vcc, v17, v21, vcc
	v_add_co_u32_e32 v19, vcc, v19, v33
	v_addc_co_u32_e32 v17, vcc, 0, v17, vcc
	v_cndmask_b32_e64 v21, v22, v17, s[14:15]
	v_cndmask_b32_e64 v20, v23, v19, s[14:15]
	v_cmp_gt_u32_e64 s[14:15], s26, v11
	s_waitcnt vmcnt(0) lgkmcnt(0)
	ds_write_b128 v16, v[4:7]
	flat_load_dwordx4 v[4:7], v[20:21]
	v_add_u32_e32 v16, s20, v18
	v_ashrrev_i32_e32 v17, 31, v16
	v_lshlrev_b64 v[18:19], 2, v[16:17]
	v_mov_b32_e32 v20, s22
	v_add_co_u32_e32 v17, vcc, s9, v18
	v_addc_co_u32_e32 v18, vcc, v20, v19, vcc
	v_add_co_u32_e32 v17, vcc, v17, v33
	v_addc_co_u32_e32 v18, vcc, 0, v18, vcc
	v_cndmask_b32_e64 v19, v22, v18, s[16:17]
	v_cndmask_b32_e64 v18, v23, v17, s[16:17]
	v_add_u32_e32 v21, 2, v11
	v_add_f32_e32 v20, 0x40051340, v1
	v_cmp_gt_u32_e64 s[12:13], s26, v21
	s_waitcnt vmcnt(0) lgkmcnt(0)
	ds_write_b128 v15, v[4:7]
	flat_load_dwordx4 v[4:7], v[18:19]
	v_add_u32_e32 v18, s20, v16
	v_ashrrev_i32_e32 v19, 31, v18
	v_lshlrev_b64 v[16:17], 2, v[18:19]
	v_mov_b32_e32 v15, s22
	v_add_co_u32_e32 v16, vcc, s9, v16
	v_addc_co_u32_e32 v15, vcc, v15, v17, vcc
	v_add_co_u32_e32 v16, vcc, v16, v33
	v_addc_co_u32_e32 v15, vcc, 0, v15, vcc
	v_cndmask_b32_e64 v17, v22, v15, s[18:19]
	v_cndmask_b32_e64 v16, v23, v16, s[18:19]
	v_add_u32_e32 v19, 1, v11
	s_mov_b32 s19, 0x42b17218
	s_mov_b32 s18, 0xc1a00000
	s_waitcnt vmcnt(0) lgkmcnt(0)
	ds_write_b128 v14, v[4:7]
	flat_load_dwordx4 v[14:17], v[16:17]
	v_add_f32_e32 v4, 0x40051340, v0
	v_max_f32_e32 v6, v36, v36
	v_max_f32_e32 v4, v6, v4
	v_cndmask_b32_e64 v11, v36, v4, s[14:15]
	v_add3_u32 v4, v34, v29, v30
	v_max_f32_e32 v29, v11, v11
	v_mov_b32_e32 v7, s10
	v_mov_b32_e32 v6, s10
	v_max_f32_e32 v20, v29, v20
	v_cmp_gt_u32_e64 s[10:11], s26, v19
	v_cndmask_b32_e64 v11, v11, v20, s[10:11]
	v_cndmask_b32_e64 v29, v2, v2, s[10:11]
	v_max_f32_e32 v2, v11, v11
	v_mul_u32_u24_e32 v5, 0x108, v12
	v_mul_u32_u24_e32 v12, 0x210, v12
	v_max_f32_e32 v2, v2, v24
	v_or_b32_e32 v38, v5, v88
	v_add3_u32 v5, v34, v12, v30
	v_add_u32_e32 v12, 64, v31
	v_cndmask_b32_e64 v11, v11, v2, s[12:13]
	v_cmp_lt_i32_e32 vcc, v35, v12
	v_cndmask_b32_e64 v20, v3, v3, s[10:11]
	v_max_f32_e32 v3, v11, v11
	v_add_u32_e32 v2, s20, v18
	v_cndmask_b32_e32 v30, v27, v35, vcc
	v_cmp_lt_i32_e32 vcc, v37, v12
	v_max_f32_e32 v19, v3, v26
	v_ashrrev_i32_e32 v3, 31, v2
	v_cndmask_b32_e32 v12, v27, v37, vcc
	v_add_u32_e32 v18, s20, v2
	v_lshlrev_b64 v[2:3], 2, v[2:3]
	v_lshlrev_b32_e32 v67, 2, v12
	v_mov_b32_e32 v12, s22
	v_cmp_gt_u32_e32 vcc, s26, v25
	v_add_co_u32_e64 v24, s[16:17], s9, v2
	v_cndmask_b32_e32 v11, v11, v19, vcc
	v_ashrrev_i32_e32 v19, 31, v18
	v_addc_co_u32_e64 v12, s[16:17], v12, v3, s[16:17]
	v_lshlrev_b64 v[2:3], 2, v[18:19]
	v_add_co_u32_e64 v18, s[16:17], v24, v33
	v_addc_co_u32_e64 v12, s[16:17], 0, v12, s[16:17]
	v_cndmask_b32_e64 v19, v22, v12, s[4:5]
	v_cndmask_b32_e64 v18, v23, v18, s[4:5]
	v_lshlrev_b32_e32 v69, 2, v30
	ds_bpermute_b32 v21, v69, v11
	v_mov_b32_e32 v27, s22
	v_add_co_u32_e64 v2, s[4:5], s9, v2
	v_addc_co_u32_e64 v3, s[4:5], v27, v3, s[4:5]
	v_add_co_u32_e64 v2, s[4:5], v2, v33
	v_max_f32_e32 v11, v11, v11
	v_addc_co_u32_e64 v3, s[4:5], 0, v3, s[4:5]
	v_lshl_add_u32 v31, v38, 1, v34
	s_waitcnt vmcnt(0) lgkmcnt(0)
	ds_write_b128 v10, v[14:17]
	flat_load_dwordx4 v[14:17], v[18:19]
	v_max_f32_e32 v10, v21, v21
	v_max_f32_e32 v12, v11, v10
	v_cndmask_b32_e64 v11, v22, v3, s[6:7]
	v_cndmask_b32_e64 v10, v23, v2, s[6:7]
	ds_bpermute_b32 v18, v67, v12
	s_waitcnt lgkmcnt(0)
	v_max_f32_e32 v2, v18, v18
	v_max_f32_e32 v2, v12, v2
	v_sub_f32_e32 v0, v0, v2
	v_sub_f32_e32 v1, v1, v2
	v_mul_f32_e32 v19, 0x3fb8aa3b, v0
	v_sub_f32_e32 v3, v29, v2
	v_sub_f32_e32 v12, v20, v2
	v_mul_f32_e32 v20, 0x3fb8aa3b, v1
	v_fma_f32 v24, v0, s21, -v19
	v_rndne_f32_e32 v25, v19
	v_mul_f32_e32 v21, 0x3fb8aa3b, v3
	v_fma_f32 v26, v1, s21, -v20
	v_rndne_f32_e32 v27, v20
	v_fmac_f32_e32 v24, 0x32a5705f, v0
	v_sub_f32_e32 v19, v19, v25
	v_sub_f32_e32 v18, v36, v2
	v_mul_f32_e32 v22, 0x3fb8aa3b, v12
	v_fma_f32 v29, v3, s21, -v21
	v_rndne_f32_e32 v30, v21
	v_fmac_f32_e32 v26, 0x32a5705f, v1
	v_sub_f32_e32 v20, v20, v27
	v_add_f32_e32 v19, v19, v24
	v_mul_f32_e32 v23, 0x3fb8aa3b, v18
	v_fma_f32 v33, v12, s21, -v22
	v_rndne_f32_e32 v34, v22
	v_cvt_i32_f32_e32 v25, v25
	v_fmac_f32_e32 v29, 0x32a5705f, v3
	v_sub_f32_e32 v21, v21, v30
	v_add_f32_e32 v20, v20, v26
	v_exp_f32_e32 v19, v19
	v_fma_f32 v35, v18, s21, -v23
	v_rndne_f32_e32 v36, v23
	v_cvt_i32_f32_e32 v27, v27
	v_fmac_f32_e32 v33, 0x32a5705f, v12
	v_sub_f32_e32 v22, v22, v34
	v_add_f32_e32 v21, v21, v29
	v_exp_f32_e32 v20, v20
	v_cvt_i32_f32_e32 v30, v30
	v_fmac_f32_e32 v35, 0x32a5705f, v18
	v_sub_f32_e32 v23, v23, v36
	v_add_f32_e32 v22, v22, v33
	v_exp_f32_e32 v21, v21
	v_cvt_i32_f32_e32 v34, v34
	v_add_f32_e32 v23, v23, v35
	v_exp_f32_e32 v22, v22
	v_cvt_i32_f32_e32 v36, v36
	v_exp_f32_e32 v23, v23
	v_ldexp_f32 v19, v19, v25
	v_cmp_ngt_f32_e64 s[4:5], s23, v0
	v_ldexp_f32 v20, v20, v27
	v_cndmask_b32_e64 v19, 0, v19, s[4:5]
	v_cmp_ngt_f32_e64 s[4:5], s23, v1
	v_ldexp_f32 v21, v21, v30
	v_cndmask_b32_e64 v20, 0, v20, s[4:5]
	;; [unrolled: 3-line block ×4, first 2 shown]
	v_cmp_ngt_f32_e64 s[4:5], s23, v18
	v_cndmask_b32_e64 v23, 0, v23, s[4:5]
	v_cmp_nlt_f32_e64 s[4:5], s19, v0
	v_cndmask_b32_e64 v0, v28, v19, s[4:5]
	v_cmp_nlt_f32_e64 s[4:5], s19, v1
	;; [unrolled: 2-line block ×4, first 2 shown]
	v_cndmask_b32_e64 v0, 0, v0, s[14:15]
	s_waitcnt vmcnt(0)
	ds_write_b128 v9, v[14:17]
	flat_load_dwordx4 v[14:17], v[10:11]
	v_cndmask_b32_e64 v9, v28, v22, s[4:5]
	v_cmp_nlt_f32_e64 s[4:5], s19, v18
	v_cndmask_b32_e64 v10, v28, v23, s[4:5]
	v_cmp_le_f32_e64 s[4:5], s18, v18
	v_cndmask_b32_e64 v30, 0, v10, s[4:5]
	v_cndmask_b32_e64 v7, v7, v1, s[10:11]
	;; [unrolled: 1-line block ×3, first 2 shown]
	v_cndmask_b32_e32 v11, v13, v9, vcc
	v_add_f32_e32 v1, v1, v0
	v_cvt_f16_f32_e32 v10, v30
	v_cvt_f16_f32_e32 v12, v0
	;; [unrolled: 1-line block ×5, first 2 shown]
	v_cndmask_b32_e64 v0, v0, v1, s[10:11]
	v_add_f32_e32 v1, v0, v3
	v_cndmask_b32_e64 v3, v0, v1, s[12:13]
	v_add_f32_e32 v9, v3, v9
	v_pk_mul_f16 v33, v10, v117 op_sel_hi:[0,1]
	v_pk_mul_f16 v38, v10, v115 op_sel_hi:[0,1]
	;; [unrolled: 1-line block ×4, first 2 shown]
	v_pack_b32_f16 v0, v12, v7
	v_pack_b32_f16 v1, v6, v11
	v_cndmask_b32_e32 v3, v3, v9, vcc
	v_cvt_f32_f16_e32 v34, v33
	v_cvt_f32_f16_sdwa v35, v33 dst_sel:DWORD dst_unused:UNUSED_PAD src0_sel:WORD_1
	v_cvt_f32_f16_e32 v6, v38
	v_cvt_f32_f16_sdwa v7, v38 dst_sel:DWORD dst_unused:UNUSED_PAD src0_sel:WORD_1
	v_pk_mul_f16 v18, v10, v112 op_sel_hi:[0,1]
	v_pk_mul_f16 v19, v10, v124 op_sel_hi:[0,1]
	;; [unrolled: 1-line block ×28, first 2 shown]
	v_cvt_f32_f16_e32 v10, v13
	v_cvt_f32_f16_sdwa v11, v13 dst_sel:DWORD dst_unused:UNUSED_PAD src0_sel:WORD_1
	v_cvt_f32_f16_e32 v12, v18
	v_cvt_f32_f16_sdwa v13, v18 dst_sel:DWORD dst_unused:UNUSED_PAD src0_sel:WORD_1
	v_cvt_f32_f16_e32 v18, v19
	v_accvgpr_write_b32 a0, v10
	v_cvt_f32_f16_sdwa v19, v19 dst_sel:DWORD dst_unused:UNUSED_PAD src0_sel:WORD_1
	v_cvt_f32_f16_e32 v20, v21
	v_cvt_f32_f16_sdwa v21, v21 dst_sel:DWORD dst_unused:UNUSED_PAD src0_sel:WORD_1
	v_cvt_f32_f16_e32 v22, v23
	v_cvt_f32_f16_e32 v36, v37
	v_cvt_f32_f16_sdwa v37, v37 dst_sel:DWORD dst_unused:UNUSED_PAD src0_sel:WORD_1
	v_accvgpr_write_b32 a1, v11
	v_accvgpr_write_b32 a2, v12
	;; [unrolled: 1-line block ×3, first 2 shown]
	v_cvt_f32_f16_sdwa v23, v23 dst_sel:DWORD dst_unused:UNUSED_PAD src0_sel:WORD_1
	v_cvt_f32_f16_e32 v24, v25
	v_cvt_f32_f16_sdwa v25, v25 dst_sel:DWORD dst_unused:UNUSED_PAD src0_sel:WORD_1
	v_accvgpr_write_b32 a4, v18
	v_accvgpr_write_b32 a16, v34
	v_cvt_f32_f16_e32 v26, v27
	v_accvgpr_write_b32 a5, v19
	s_waitcnt vmcnt(0) lgkmcnt(0)
	ds_write_b128 v8, v[14:17]
	s_waitcnt lgkmcnt(0)
	s_barrier
	ds_read_u16 v8, v31
	ds_read_u16 v33, v31 offset:32
	ds_read_u16 v38, v31 offset:64
	;; [unrolled: 1-line block ×23, first 2 shown]
	ds_read_u16 v15, v4
	ds_read_u16 v83, v4 offset:32
	ds_read_u16 v84, v4 offset:64
	;; [unrolled: 1-line block ×7, first 2 shown]
	s_waitcnt lgkmcnt(14)
	v_perm_b32 v16, v9, v8, s8
	v_cvt_f32_f16_sdwa v9, v39 dst_sel:DWORD dst_unused:UNUSED_PAD src0_sel:WORD_1
	v_cvt_f32_f16_e32 v8, v39
	s_waitcnt lgkmcnt(7)
	v_perm_b32 v17, v15, v14, s8
	s_waitcnt lgkmcnt(6)
	v_perm_b32 v13, v83, v76, s8
	v_accvgpr_write_b32 a23, v9
	v_perm_b32 v12, v68, v33, s8
	v_accvgpr_write_b32 a22, v8
	v_accvgpr_write_b32 a21, v7
	;; [unrolled: 1-line block ×3, first 2 shown]
	s_waitcnt lgkmcnt(3)
	v_perm_b32 v7, v86, v79, s8
	v_perm_b32 v6, v72, v61, s8
	s_waitcnt lgkmcnt(2)
	v_perm_b32 v9, v87, v80, s8
	v_perm_b32 v8, v73, v62, s8
	v_mfma_f32_16x16x16f16 a[0:3], v[16:17], v[0:1], a[0:3]
	v_cvt_f32_f16_sdwa v17, v41 dst_sel:DWORD dst_unused:UNUSED_PAD src0_sel:WORD_1
	v_accvgpr_write_b32 a6, v20
	v_accvgpr_write_b32 a7, v21
	;; [unrolled: 1-line block ×6, first 2 shown]
	v_cvt_f32_f16_sdwa v27, v27 dst_sel:DWORD dst_unused:UNUSED_PAD src0_sel:WORD_1
	v_cvt_f32_f16_e32 v28, v29
	v_cvt_f32_f16_sdwa v29, v29 dst_sel:DWORD dst_unused:UNUSED_PAD src0_sel:WORD_1
	v_cvt_f32_f16_e32 v14, v40
	;; [unrolled: 2-line block ×3, first 2 shown]
	v_mfma_f32_16x16x16f16 a[4:7], v[12:13], v[0:1], a[4:7]
	v_perm_b32 v21, v84, v77, s8
	v_perm_b32 v20, v70, v38, s8
	v_cvt_f32_f16_sdwa v13, v43 dst_sel:DWORD dst_unused:UNUSED_PAD src0_sel:WORD_1
	v_accvgpr_write_b32 a9, v23
	v_accvgpr_write_b32 a10, v24
	;; [unrolled: 1-line block ×3, first 2 shown]
	v_perm_b32 v23, v85, v78, s8
	v_perm_b32 v22, v71, v60, s8
	v_mfma_f32_16x16x16f16 a[16:19], v[6:7], v[0:1], a[16:19]
	s_waitcnt lgkmcnt(1)
	v_perm_b32 v7, v90, v81, s8
	v_perm_b32 v6, v74, v63, s8
	v_cvt_f32_f16_e32 v10, v42
	v_cvt_f32_f16_sdwa v11, v42 dst_sel:DWORD dst_unused:UNUSED_PAD src0_sel:WORD_1
	v_cvt_f32_f16_e32 v12, v43
	v_accvgpr_write_b32 a12, v26
	v_accvgpr_write_b32 a27, v17
	v_mfma_f32_16x16x16f16 a[20:23], v[8:9], v[0:1], a[20:23]
	s_waitcnt lgkmcnt(0)
	v_perm_b32 v9, v91, v82, s8
	v_perm_b32 v8, v75, v66, s8
	v_accvgpr_write_b32 a13, v27
	v_accvgpr_write_b32 a14, v28
	;; [unrolled: 1-line block ×7, first 2 shown]
	v_cvt_f32_f16_e32 v18, v44
	v_mfma_f32_16x16x16f16 a[8:11], v[20:21], v[0:1], a[8:11]
	v_cvt_f32_f16_sdwa v19, v44 dst_sel:DWORD dst_unused:UNUSED_PAD src0_sel:WORD_1
	v_cvt_f32_f16_e32 v20, v45
	v_cvt_f32_f16_sdwa v21, v45 dst_sel:DWORD dst_unused:UNUSED_PAD src0_sel:WORD_1
	v_accvgpr_write_b32 a30, v12
	v_accvgpr_write_b32 a29, v11
	;; [unrolled: 1-line block ×4, first 2 shown]
	v_mfma_f32_16x16x16f16 a[12:15], v[22:23], v[0:1], a[12:15]
	ds_read_u16 v10, v31 offset:256
	ds_read_u16 v11, v31 offset:288
	;; [unrolled: 1-line block ×16, first 2 shown]
	v_accvgpr_write_b32 a34, v20
	v_accvgpr_write_b32 a33, v19
	;; [unrolled: 1-line block ×3, first 2 shown]
	v_fmac_f32_e32 v3, v32, v30
	v_cmp_gt_u32_e64 s[4:5], 16, v64
	v_mfma_f32_16x16x16f16 a[24:27], v[6:7], v[0:1], a[24:27]
	ds_read_u16 v6, v5 offset:1312
	ds_read_u16 v13, v5 offset:1344
	;; [unrolled: 1-line block ×16, first 2 shown]
	v_cvt_f32_f16_sdwa v7, v47 dst_sel:DWORD dst_unused:UNUSED_PAD src0_sel:WORD_1
	v_cvt_f32_f16_e32 v4, v46
	s_waitcnt lgkmcnt(6)
	v_perm_b32 v13, v39, v13, s8
	s_waitcnt lgkmcnt(0)
	s_barrier
	v_mfma_f32_16x16x16f16 a[28:31], v[8:9], v[0:1], a[28:31]
	v_perm_b32 v9, v5, v6, s8
	v_perm_b32 v8, v12, v10, s8
	v_cvt_f32_f16_sdwa v5, v46 dst_sel:DWORD dst_unused:UNUSED_PAD src0_sel:WORD_1
	v_cvt_f32_f16_e32 v6, v47
	v_perm_b32 v12, v24, v11, s8
	v_accvgpr_write_b32 a39, v7
	v_accvgpr_write_b32 a37, v5
	;; [unrolled: 1-line block ×4, first 2 shown]
	v_cvt_f32_f16_sdwa v11, v49 dst_sel:DWORD dst_unused:UNUSED_PAD src0_sel:WORD_1
	v_mfma_f32_16x16x16f16 a[32:35], v[8:9], v[0:1], a[32:35]
	v_cvt_f32_f16_e32 v8, v48
	v_cvt_f32_f16_sdwa v9, v48 dst_sel:DWORD dst_unused:UNUSED_PAD src0_sel:WORD_1
	v_cvt_f32_f16_e32 v10, v49
	v_accvgpr_write_b32 a43, v11
	v_accvgpr_write_b32 a40, v8
	;; [unrolled: 1-line block ×4, first 2 shown]
	v_mfma_f32_16x16x16f16 a[36:39], v[12:13], v[0:1], a[36:39]
	v_perm_b32 v13, v40, v33, s8
	v_perm_b32 v12, v25, v14, s8
	v_cvt_f32_f16_sdwa v7, v51 dst_sel:DWORD dst_unused:UNUSED_PAD src0_sel:WORD_1
	v_cvt_f32_f16_e32 v4, v50
	v_cvt_f32_f16_sdwa v5, v50 dst_sel:DWORD dst_unused:UNUSED_PAD src0_sel:WORD_1
	v_cvt_f32_f16_e32 v6, v51
	v_accvgpr_write_b32 a47, v7
	v_mfma_f32_16x16x16f16 a[40:43], v[12:13], v[0:1], a[40:43]
	v_perm_b32 v13, v41, v34, s8
	v_perm_b32 v12, v26, v15, s8
	v_accvgpr_write_b32 a46, v6
	v_accvgpr_write_b32 a45, v5
	;; [unrolled: 1-line block ×3, first 2 shown]
	v_cvt_f32_f16_sdwa v11, v53 dst_sel:DWORD dst_unused:UNUSED_PAD src0_sel:WORD_1
	v_cvt_f32_f16_e32 v8, v52
	v_cvt_f32_f16_sdwa v9, v52 dst_sel:DWORD dst_unused:UNUSED_PAD src0_sel:WORD_1
	v_cvt_f32_f16_e32 v10, v53
	v_mfma_f32_16x16x16f16 a[44:47], v[12:13], v[0:1], a[44:47]
	v_perm_b32 v13, v42, v35, s8
	v_perm_b32 v12, v27, v16, s8
	v_accvgpr_write_b32 a51, v11
	v_accvgpr_write_b32 a50, v10
	;; [unrolled: 1-line block ×4, first 2 shown]
	v_cvt_f32_f16_sdwa v7, v55 dst_sel:DWORD dst_unused:UNUSED_PAD src0_sel:WORD_1
	v_cvt_f32_f16_e32 v4, v54
	v_cvt_f32_f16_sdwa v5, v54 dst_sel:DWORD dst_unused:UNUSED_PAD src0_sel:WORD_1
	v_cvt_f32_f16_e32 v6, v55
	v_mfma_f32_16x16x16f16 a[48:51], v[12:13], v[0:1], a[48:51]
	v_perm_b32 v13, v43, v36, s8
	v_perm_b32 v12, v28, v17, s8
	v_cvt_f32_f16_sdwa v11, v57 dst_sel:DWORD dst_unused:UNUSED_PAD src0_sel:WORD_1
	v_cvt_f32_f16_e32 v8, v56
	v_cvt_f32_f16_sdwa v9, v56 dst_sel:DWORD dst_unused:UNUSED_PAD src0_sel:WORD_1
	v_cvt_f32_f16_e32 v10, v57
	v_accvgpr_write_b32 a55, v7
	v_accvgpr_write_b32 a54, v6
	;; [unrolled: 1-line block ×5, first 2 shown]
	v_cvt_f32_f16_sdwa v7, v59 dst_sel:DWORD dst_unused:UNUSED_PAD src0_sel:WORD_1
	v_mfma_f32_16x16x16f16 a[52:55], v[12:13], v[0:1], a[52:55]
	v_perm_b32 v13, v44, v37, s8
	v_perm_b32 v12, v29, v22, s8
	v_cvt_f32_f16_e32 v4, v58
	v_cvt_f32_f16_sdwa v5, v58 dst_sel:DWORD dst_unused:UNUSED_PAD src0_sel:WORD_1
	v_cvt_f32_f16_e32 v6, v59
	v_accvgpr_write_b32 a58, v10
	v_accvgpr_write_b32 a57, v9
	;; [unrolled: 1-line block ×3, first 2 shown]
	v_perm_b32 v9, v45, v38, s8
	v_perm_b32 v8, v31, v23, s8
	ds_bpermute_b32 v10, v69, v3
	v_accvgpr_write_b32 a63, v7
	v_accvgpr_write_b32 a62, v6
	;; [unrolled: 1-line block ×4, first 2 shown]
	v_mfma_f32_16x16x16f16 a[56:59], v[12:13], v[0:1], a[56:59]
	s_movk_i32 s8, 0x210
	s_waitcnt lgkmcnt(0)
	v_mfma_f32_16x16x16f16 a[60:63], v[8:9], v[0:1], a[60:63]
	v_add_f32_e32 v0, v3, v10
	ds_bpermute_b32 v1, v67, v0
	s_and_saveexec_b64 s[6:7], s[4:5]
	s_cbranch_execz .LBB30_425
; %bb.424:
	s_waitcnt lgkmcnt(0)
	v_add_f32_e32 v0, v0, v1
	v_or_b32_e32 v1, v219, v64
	v_mad_u32_u24 v1, v1, s8, 0
	ds_write2_b32 v1, v2, v0 offset0:128 offset1:129
.LBB30_425:
	s_or_b64 exec, exec, s[6:7]
	v_cmp_eq_u32_e32 vcc, 0, v221
	v_cmp_ne_u32_e64 s[6:7], 0, v221
	s_waitcnt lgkmcnt(0)
	s_barrier
	s_and_saveexec_b64 s[8:9], s[6:7]
	s_xor_b64 s[6:7], exec, s[8:9]
	s_cbranch_execz .LBB30_427
; %bb.426:
	s_barrier
	s_waitcnt lgkmcnt(0)
                                        ; implicit-def: $vgpr69
                                        ; implicit-def: $vgpr67
                                        ; implicit-def: $vgpr220
.LBB30_427:
	s_or_saveexec_b64 s[8:9], s[6:7]
	v_accvgpr_read_b32 v63, a3
	v_accvgpr_read_b32 v59, a7
	;; [unrolled: 1-line block ×64, first 2 shown]
	s_xor_b64 exec, exec, s[8:9]
	s_cbranch_execz .LBB30_431
; %bb.428:
	v_add_u32_e32 v66, v219, v64
	s_movk_i32 s6, 0x210
	v_mad_u32_u24 v72, v66, s6, 0
	ds_read_b64 v[70:71], v72 offset:512
	s_mov_b32 s6, 0x3fb8aa3b
	s_mov_b32 s10, 0x42b17218
	;; [unrolled: 1-line block ×3, first 2 shown]
	s_waitcnt lgkmcnt(0)
	ds_bpermute_b32 v66, v69, v70
	v_max_f32_e32 v68, v70, v70
	s_barrier
	s_waitcnt lgkmcnt(0)
	v_max_f32_e32 v66, v66, v66
	v_max_f32_e32 v66, v68, v66
	ds_bpermute_b32 v68, v67, v66
	s_waitcnt lgkmcnt(0)
	v_max_f32_e32 v68, v68, v68
	v_max_f32_e32 v66, v66, v68
	v_sub_f32_e32 v68, v70, v66
	v_mul_f32_e32 v70, 0x3fb8aa3b, v68
	v_fma_f32 v73, v68, s6, -v70
	v_rndne_f32_e32 v74, v70
	v_fmac_f32_e32 v73, 0x32a5705f, v68
	v_sub_f32_e32 v70, v70, v74
	v_add_f32_e32 v70, v70, v73
	v_cvt_i32_f32_e32 v74, v74
	v_exp_f32_e32 v70, v70
	s_mov_b32 s6, 0xc2ce8ed0
	v_cmp_ngt_f32_e64 s[6:7], s6, v68
	v_mov_b32_e32 v73, 0x7f800000
	v_ldexp_f32 v70, v70, v74
	v_cndmask_b32_e64 v70, 0, v70, s[6:7]
	v_cmp_nlt_f32_e64 s[6:7], s10, v68
	v_cndmask_b32_e64 v68, v73, v70, s[6:7]
	v_mul_f32_e32 v70, v71, v68
	ds_bpermute_b32 v69, v69, v70
	s_waitcnt lgkmcnt(0)
	v_fmac_f32_e32 v69, v71, v68
	ds_bpermute_b32 v67, v67, v69
	s_waitcnt lgkmcnt(0)
	v_add_f32_e32 v69, v69, v67
	ds_write_b64 v72, v[68:69] offset:512
	s_and_saveexec_b64 s[6:7], s[4:5]
	s_cbranch_execz .LBB30_430
; %bb.429:
	s_add_i32 s4, s73, s72
	s_lshl_b32 s10, s4, 4
	s_lshl_b64 s[4:5], s[10:11], 3
	s_add_u32 s4, s62, s4
	v_or_b32_e32 v67, v220, v64
	s_addc_u32 s5, s63, s5
	v_lshlrev_b32_e32 v68, 3, v67
	v_mov_b32_e32 v67, v69
	global_store_dwordx2 v68, v[66:67], s[4:5]
.LBB30_430:
	s_or_b64 exec, exec, s[6:7]
.LBB30_431:
	s_or_b64 exec, exec, s[8:9]
	v_cvt_f16_f32_e32 v0, v0
	v_cvt_f16_f32_e32 v1, v1
	;; [unrolled: 1-line block ×64, first 2 shown]
	v_pack_b32_f16 v0, v0, v1
	v_or_b32_e32 v1, v219, v88
	s_movk_i32 s4, 0x84
	v_mad_u32_u24 v1, v1, s4, v89
	v_pack_b32_f16 v62, v62, v63
	v_pack_b32_f16 v60, v60, v61
	s_mov_b32 s7, 0
	v_lshl_add_u32 v1, v1, 2, 0
	v_pack_b32_f16 v58, v58, v59
	v_pack_b32_f16 v56, v56, v57
	;; [unrolled: 1-line block ×29, first 2 shown]
	ds_write2_b32 v1, v60, v62 offset1:1
	ds_write2_b32 v1, v56, v58 offset0:8 offset1:9
	ds_write2_b32 v1, v52, v54 offset0:16 offset1:17
	;; [unrolled: 1-line block ×15, first 2 shown]
	s_waitcnt lgkmcnt(0)
	s_barrier
	s_and_saveexec_b64 s[4:5], vcc
	s_cbranch_execz .LBB30_433
; %bb.432:
	s_lshl_b32 s6, s73, 5
	s_lshl_b64 s[8:9], s[6:7], 3
	s_add_u32 s8, s62, s8
	s_addc_u32 s9, s63, s9
	s_lshl_b32 s6, s72, 11
	s_lshl_b64 s[6:7], s[6:7], 3
	s_add_u32 s6, s8, s6
	v_bfe_u32 v0, v119, 2, 4
	s_movk_i32 s8, 0x3c0
	v_and_or_b32 v0, v119, s8, v0
	s_movk_i32 s8, 0x210
	v_mad_u32_u24 v12, v0, s8, 0
	v_add_u32_e32 v8, v12, v65
	ds_read2st64_b32 v[0:1], v8 offset1:1
	ds_read2st64_b32 v[2:3], v12 offset0:2 offset1:35
	ds_read2st64_b32 v[4:5], v8 offset0:33 offset1:34
	;; [unrolled: 1-line block ×4, first 2 shown]
	s_waitcnt lgkmcnt(4)
	v_cvt_f32_f16_e32 v10, v0
	v_cvt_f32_f16_sdwa v11, v0 dst_sel:DWORD dst_unused:UNUSED_PAD src0_sel:WORD_1
	ds_read2st64_b32 v[12:13], v12 offset0:68 offset1:101
	s_waitcnt lgkmcnt(3)
	v_cvt_f32_f16_e32 v14, v4
	v_cvt_f32_f16_sdwa v15, v4 dst_sel:DWORD dst_unused:UNUSED_PAD src0_sel:WORD_1
	s_waitcnt lgkmcnt(2)
	v_cvt_f32_f16_e32 v16, v6
	v_cvt_f32_f16_sdwa v17, v6 dst_sel:DWORD dst_unused:UNUSED_PAD src0_sel:WORD_1
	;; [unrolled: 3-line block ×3, first 2 shown]
	v_pk_fma_f32 v[10:11], v[2:3], v[10:11], 0 op_sel_hi:[0,1,0]
	v_mov_b32_e32 v4, v3
	v_pk_fma_f32 v[10:11], v[4:5], v[14:15], v[10:11] op_sel_hi:[0,1,1]
	v_lshlrev_b32_e32 v20, 5, v119
	s_waitcnt lgkmcnt(0)
	v_pk_fma_f32 v[10:11], v[12:13], v[16:17], v[10:11] op_sel_hi:[0,1,1]
	v_mov_b32_e32 v6, v13
	s_addc_u32 s7, s9, s7
	v_pk_fma_f32 v[10:11], v[6:7], v[18:19], v[10:11] op_sel_hi:[0,1,1]
	v_add_lshl_u32 v13, v64, v20, 3
	global_store_dwordx2 v13, v[10:11], s[6:7]
	v_cvt_f32_f16_e32 v10, v1
	v_cvt_f32_f16_sdwa v11, v1 dst_sel:DWORD dst_unused:UNUSED_PAD src0_sel:WORD_1
	v_cvt_f32_f16_e32 v14, v5
	v_cvt_f32_f16_sdwa v15, v5 dst_sel:DWORD dst_unused:UNUSED_PAD src0_sel:WORD_1
	;; [unrolled: 2-line block ×4, first 2 shown]
	v_pk_fma_f32 v[2:3], v[2:3], v[10:11], 0 op_sel_hi:[0,1,0]
	v_pk_fma_f32 v[2:3], v[4:5], v[14:15], v[2:3] op_sel_hi:[0,1,1]
	v_lshrrev_b32_e32 v0, 2, v119
	v_pk_fma_f32 v[2:3], v[12:13], v[16:17], v[2:3] op_sel_hi:[0,1,1]
	v_pk_fma_f32 v[2:3], v[6:7], v[8:9], v[2:3] op_sel_hi:[0,1,1]
	v_add_u32_e32 v1, 1, v0
	global_store_dwordx2 v13, v[2:3], s[6:7] offset:512
	v_lshlrev_b32_e32 v2, 2, v1
	v_and_b32_e32 v3, 15, v1
	s_movk_i32 s9, 0x7c0
	v_and_or_b32 v2, v2, s9, v3
	v_mad_u32_u24 v14, v2, s8, 0
	v_add_u32_e32 v10, v14, v65
	ds_read2st64_b32 v[2:3], v10 offset1:1
	ds_read2st64_b32 v[4:5], v14 offset0:2 offset1:35
	ds_read2st64_b32 v[6:7], v10 offset0:33 offset1:34
	ds_read2st64_b32 v[8:9], v10 offset0:66 offset1:67
	ds_read2st64_b32 v[10:11], v10 offset0:99 offset1:100
	s_waitcnt lgkmcnt(4)
	v_cvt_f32_f16_e32 v12, v2
	v_cvt_f32_f16_sdwa v13, v2 dst_sel:DWORD dst_unused:UNUSED_PAD src0_sel:WORD_1
	ds_read2st64_b32 v[14:15], v14 offset0:68 offset1:101
	s_waitcnt lgkmcnt(3)
	v_cvt_f32_f16_e32 v16, v6
	v_cvt_f32_f16_sdwa v17, v6 dst_sel:DWORD dst_unused:UNUSED_PAD src0_sel:WORD_1
	s_waitcnt lgkmcnt(2)
	v_cvt_f32_f16_e32 v18, v8
	v_cvt_f32_f16_sdwa v19, v8 dst_sel:DWORD dst_unused:UNUSED_PAD src0_sel:WORD_1
	s_waitcnt lgkmcnt(1)
	v_cvt_f32_f16_e32 v20, v10
	v_cvt_f32_f16_sdwa v21, v10 dst_sel:DWORD dst_unused:UNUSED_PAD src0_sel:WORD_1
	v_pk_fma_f32 v[12:13], v[4:5], v[12:13], 0 op_sel_hi:[0,1,0]
	v_mov_b32_e32 v2, v5
	v_pk_fma_f32 v[12:13], v[2:3], v[16:17], v[12:13] op_sel_hi:[0,1,1]
	v_cvt_f32_f16_e32 v16, v3
	v_cvt_f32_f16_sdwa v17, v3 dst_sel:DWORD dst_unused:UNUSED_PAD src0_sel:WORD_1
	v_lshlrev_b32_e32 v1, 7, v1
	s_waitcnt lgkmcnt(0)
	v_pk_fma_f32 v[12:13], v[14:15], v[18:19], v[12:13] op_sel_hi:[0,1,1]
	v_mov_b32_e32 v6, v15
	v_cvt_f32_f16_e32 v18, v7
	v_cvt_f32_f16_sdwa v19, v7 dst_sel:DWORD dst_unused:UNUSED_PAD src0_sel:WORD_1
	v_add_lshl_u32 v22, v64, v1, 3
	v_pk_fma_f32 v[12:13], v[6:7], v[20:21], v[12:13] op_sel_hi:[0,1,1]
	v_cvt_f32_f16_e32 v8, v9
	v_cvt_f32_f16_sdwa v9, v9 dst_sel:DWORD dst_unused:UNUSED_PAD src0_sel:WORD_1
	global_store_dwordx2 v22, v[12:13], s[6:7]
	v_add_co_u32_e32 v12, vcc, v64, v1
	v_cvt_f32_f16_e32 v10, v11
	v_cvt_f32_f16_sdwa v11, v11 dst_sel:DWORD dst_unused:UNUSED_PAD src0_sel:WORD_1
	v_addc_co_u32_e64 v13, s[10:11], 0, 0, vcc
	v_pk_fma_f32 v[4:5], v[4:5], v[16:17], 0 op_sel_hi:[0,1,0]
	v_lshlrev_b64 v[12:13], 3, v[12:13]
	v_pk_fma_f32 v[2:3], v[2:3], v[18:19], v[4:5] op_sel_hi:[0,1,1]
	v_mov_b32_e32 v1, s7
	v_add_co_u32_e32 v12, vcc, s6, v12
	v_pk_fma_f32 v[2:3], v[14:15], v[8:9], v[2:3] op_sel_hi:[0,1,1]
	v_addc_co_u32_e32 v13, vcc, v1, v13, vcc
	v_pk_fma_f32 v[2:3], v[6:7], v[10:11], v[2:3] op_sel_hi:[0,1,1]
	v_add_u32_e32 v1, 2, v0
	global_store_dwordx2 v[12:13], v[2:3], off offset:512
	v_lshlrev_b32_e32 v2, 2, v1
	v_and_b32_e32 v3, 15, v1
	v_and_or_b32 v2, v2, s9, v3
	v_mad_u32_u24 v14, v2, s8, 0
	v_add_u32_e32 v10, v14, v65
	ds_read2st64_b32 v[2:3], v10 offset1:1
	ds_read2st64_b32 v[4:5], v14 offset0:2 offset1:35
	ds_read2st64_b32 v[6:7], v10 offset0:33 offset1:34
	ds_read2st64_b32 v[8:9], v10 offset0:66 offset1:67
	ds_read2st64_b32 v[10:11], v10 offset0:99 offset1:100
	s_waitcnt lgkmcnt(4)
	v_cvt_f32_f16_e32 v12, v2
	v_cvt_f32_f16_sdwa v13, v2 dst_sel:DWORD dst_unused:UNUSED_PAD src0_sel:WORD_1
	ds_read2st64_b32 v[14:15], v14 offset0:68 offset1:101
	s_waitcnt lgkmcnt(3)
	v_cvt_f32_f16_e32 v16, v6
	v_cvt_f32_f16_sdwa v17, v6 dst_sel:DWORD dst_unused:UNUSED_PAD src0_sel:WORD_1
	s_waitcnt lgkmcnt(2)
	v_cvt_f32_f16_e32 v18, v8
	v_cvt_f32_f16_sdwa v19, v8 dst_sel:DWORD dst_unused:UNUSED_PAD src0_sel:WORD_1
	s_waitcnt lgkmcnt(1)
	v_cvt_f32_f16_e32 v20, v10
	v_cvt_f32_f16_sdwa v21, v10 dst_sel:DWORD dst_unused:UNUSED_PAD src0_sel:WORD_1
	v_pk_fma_f32 v[12:13], v[4:5], v[12:13], 0 op_sel_hi:[0,1,0]
	v_mov_b32_e32 v2, v5
	v_pk_fma_f32 v[12:13], v[2:3], v[16:17], v[12:13] op_sel_hi:[0,1,1]
	v_cvt_f32_f16_e32 v16, v3
	v_cvt_f32_f16_sdwa v17, v3 dst_sel:DWORD dst_unused:UNUSED_PAD src0_sel:WORD_1
	v_lshlrev_b32_e32 v1, 7, v1
	s_waitcnt lgkmcnt(0)
	v_pk_fma_f32 v[12:13], v[14:15], v[18:19], v[12:13] op_sel_hi:[0,1,1]
	v_mov_b32_e32 v6, v15
	v_cvt_f32_f16_e32 v18, v7
	v_cvt_f32_f16_sdwa v19, v7 dst_sel:DWORD dst_unused:UNUSED_PAD src0_sel:WORD_1
	v_add_lshl_u32 v22, v64, v1, 3
	v_pk_fma_f32 v[12:13], v[6:7], v[20:21], v[12:13] op_sel_hi:[0,1,1]
	v_cvt_f32_f16_e32 v8, v9
	v_cvt_f32_f16_sdwa v9, v9 dst_sel:DWORD dst_unused:UNUSED_PAD src0_sel:WORD_1
	global_store_dwordx2 v22, v[12:13], s[6:7]
	v_add_co_u32_e32 v12, vcc, v64, v1
	v_cvt_f32_f16_e32 v10, v11
	v_cvt_f32_f16_sdwa v11, v11 dst_sel:DWORD dst_unused:UNUSED_PAD src0_sel:WORD_1
	v_addc_co_u32_e64 v13, s[10:11], 0, 0, vcc
	v_pk_fma_f32 v[4:5], v[4:5], v[16:17], 0 op_sel_hi:[0,1,0]
	v_lshlrev_b64 v[12:13], 3, v[12:13]
	v_pk_fma_f32 v[2:3], v[2:3], v[18:19], v[4:5] op_sel_hi:[0,1,1]
	v_mov_b32_e32 v1, s7
	v_add_co_u32_e32 v12, vcc, s6, v12
	v_pk_fma_f32 v[2:3], v[14:15], v[8:9], v[2:3] op_sel_hi:[0,1,1]
	v_addc_co_u32_e32 v13, vcc, v1, v13, vcc
	v_pk_fma_f32 v[2:3], v[6:7], v[10:11], v[2:3] op_sel_hi:[0,1,1]
	v_add_u32_e32 v1, 3, v0
	global_store_dwordx2 v[12:13], v[2:3], off offset:512
	v_lshlrev_b32_e32 v2, 2, v1
	v_and_b32_e32 v3, 15, v1
	;; [unrolled: 53-line block ×13, first 2 shown]
	v_and_or_b32 v2, v2, s9, v3
	v_mad_u32_u24 v14, v2, s8, 0
	v_add_u32_e32 v10, v14, v65
	ds_read2st64_b32 v[2:3], v10 offset1:1
	ds_read2st64_b32 v[4:5], v14 offset0:2 offset1:35
	ds_read2st64_b32 v[6:7], v10 offset0:33 offset1:34
	;; [unrolled: 1-line block ×4, first 2 shown]
	s_waitcnt lgkmcnt(4)
	v_cvt_f32_f16_e32 v12, v2
	v_cvt_f32_f16_sdwa v13, v2 dst_sel:DWORD dst_unused:UNUSED_PAD src0_sel:WORD_1
	ds_read2st64_b32 v[14:15], v14 offset0:68 offset1:101
	s_waitcnt lgkmcnt(3)
	v_cvt_f32_f16_e32 v16, v6
	v_cvt_f32_f16_sdwa v17, v6 dst_sel:DWORD dst_unused:UNUSED_PAD src0_sel:WORD_1
	s_waitcnt lgkmcnt(2)
	v_cvt_f32_f16_e32 v18, v8
	v_cvt_f32_f16_sdwa v19, v8 dst_sel:DWORD dst_unused:UNUSED_PAD src0_sel:WORD_1
	;; [unrolled: 3-line block ×3, first 2 shown]
	v_pk_fma_f32 v[12:13], v[4:5], v[12:13], 0 op_sel_hi:[0,1,0]
	v_mov_b32_e32 v2, v5
	v_pk_fma_f32 v[12:13], v[2:3], v[16:17], v[12:13] op_sel_hi:[0,1,1]
	v_cvt_f32_f16_e32 v16, v3
	v_cvt_f32_f16_sdwa v17, v3 dst_sel:DWORD dst_unused:UNUSED_PAD src0_sel:WORD_1
	v_lshlrev_b32_e32 v1, 7, v1
	s_waitcnt lgkmcnt(0)
	v_pk_fma_f32 v[12:13], v[14:15], v[18:19], v[12:13] op_sel_hi:[0,1,1]
	v_mov_b32_e32 v6, v15
	v_cvt_f32_f16_e32 v18, v7
	v_cvt_f32_f16_sdwa v19, v7 dst_sel:DWORD dst_unused:UNUSED_PAD src0_sel:WORD_1
	v_add_lshl_u32 v22, v64, v1, 3
	v_pk_fma_f32 v[12:13], v[6:7], v[20:21], v[12:13] op_sel_hi:[0,1,1]
	v_cvt_f32_f16_e32 v8, v9
	v_cvt_f32_f16_sdwa v9, v9 dst_sel:DWORD dst_unused:UNUSED_PAD src0_sel:WORD_1
	global_store_dwordx2 v22, v[12:13], s[6:7]
	v_add_co_u32_e32 v12, vcc, v64, v1
	v_cvt_f32_f16_e32 v10, v11
	v_cvt_f32_f16_sdwa v11, v11 dst_sel:DWORD dst_unused:UNUSED_PAD src0_sel:WORD_1
	v_addc_co_u32_e64 v13, s[10:11], 0, 0, vcc
	v_pk_fma_f32 v[4:5], v[4:5], v[16:17], 0 op_sel_hi:[0,1,0]
	v_lshlrev_b64 v[12:13], 3, v[12:13]
	v_pk_fma_f32 v[2:3], v[2:3], v[18:19], v[4:5] op_sel_hi:[0,1,1]
	v_mov_b32_e32 v1, s7
	v_add_co_u32_e32 v12, vcc, s6, v12
	v_pk_fma_f32 v[2:3], v[14:15], v[8:9], v[2:3] op_sel_hi:[0,1,1]
	v_addc_co_u32_e32 v13, vcc, v1, v13, vcc
	v_pk_fma_f32 v[2:3], v[6:7], v[10:11], v[2:3] op_sel_hi:[0,1,1]
	global_store_dwordx2 v[12:13], v[2:3], off offset:512
	v_add_u32_e32 v12, 15, v0
	v_lshlrev_b32_e32 v0, 2, v12
	v_and_b32_e32 v1, 15, v12
	v_and_or_b32 v0, v0, s9, v1
	v_mad_u32_u24 v13, v0, s8, 0
	v_add_u32_e32 v8, v13, v65
	ds_read2st64_b32 v[0:1], v8 offset1:1
	ds_read2st64_b32 v[2:3], v13 offset0:2 offset1:35
	ds_read2st64_b32 v[4:5], v8 offset0:33 offset1:34
	;; [unrolled: 1-line block ×4, first 2 shown]
	s_waitcnt lgkmcnt(4)
	v_cvt_f32_f16_e32 v10, v0
	v_cvt_f32_f16_sdwa v11, v0 dst_sel:DWORD dst_unused:UNUSED_PAD src0_sel:WORD_1
	v_lshlrev_b32_e32 v20, 7, v12
	ds_read2st64_b32 v[12:13], v13 offset0:68 offset1:101
	s_waitcnt lgkmcnt(3)
	v_cvt_f32_f16_e32 v14, v4
	v_cvt_f32_f16_sdwa v15, v4 dst_sel:DWORD dst_unused:UNUSED_PAD src0_sel:WORD_1
	s_waitcnt lgkmcnt(2)
	v_cvt_f32_f16_e32 v16, v6
	v_cvt_f32_f16_sdwa v17, v6 dst_sel:DWORD dst_unused:UNUSED_PAD src0_sel:WORD_1
	;; [unrolled: 3-line block ×3, first 2 shown]
	v_pk_fma_f32 v[10:11], v[2:3], v[10:11], 0 op_sel_hi:[0,1,0]
	v_mov_b32_e32 v0, v3
	v_pk_fma_f32 v[10:11], v[0:1], v[14:15], v[10:11] op_sel_hi:[0,1,1]
	s_waitcnt lgkmcnt(0)
	v_pk_fma_f32 v[10:11], v[12:13], v[16:17], v[10:11] op_sel_hi:[0,1,1]
	v_mov_b32_e32 v4, v13
	v_add_lshl_u32 v21, v64, v20, 3
	v_pk_fma_f32 v[10:11], v[4:5], v[18:19], v[10:11] op_sel_hi:[0,1,1]
	global_store_dwordx2 v21, v[10:11], s[6:7]
	v_add_co_u32_e32 v10, vcc, v64, v20
	v_cvt_f32_f16_e32 v14, v1
	v_cvt_f32_f16_sdwa v15, v1 dst_sel:DWORD dst_unused:UNUSED_PAD src0_sel:WORD_1
	v_addc_co_u32_e64 v11, s[8:9], 0, 0, vcc
	v_cvt_f32_f16_e32 v16, v5
	v_cvt_f32_f16_sdwa v17, v5 dst_sel:DWORD dst_unused:UNUSED_PAD src0_sel:WORD_1
	v_lshlrev_b64 v[10:11], 3, v[10:11]
	v_cvt_f32_f16_e32 v6, v7
	v_cvt_f32_f16_sdwa v7, v7 dst_sel:DWORD dst_unused:UNUSED_PAD src0_sel:WORD_1
	v_mov_b32_e32 v3, s7
	v_add_co_u32_e32 v10, vcc, s6, v10
	v_cvt_f32_f16_e32 v8, v9
	v_cvt_f32_f16_sdwa v9, v9 dst_sel:DWORD dst_unused:UNUSED_PAD src0_sel:WORD_1
	v_addc_co_u32_e32 v11, vcc, v3, v11, vcc
	v_pk_fma_f32 v[2:3], v[2:3], v[14:15], 0 op_sel_hi:[0,1,0]
	v_pk_fma_f32 v[0:1], v[0:1], v[16:17], v[2:3] op_sel_hi:[0,1,1]
	;; [unrolled: 1-line block ×4, first 2 shown]
	global_store_dwordx2 v[10:11], v[0:1], off offset:512
.LBB30_433:
	s_or_b64 exec, exec, s[4:5]
	s_barrier
	s_endpgm
	.section	.rodata,"a",@progbits
	.p2align	6, 0x0
	.amdhsa_kernel _ZL18flash_attn_ext_f16ILi256ELi256ELi16ELi1ELb1ELb0EEvPKcS1_S1_S1_S1_PKiPfP15HIP_vector_typeIfLj2EEffffjfiS5_IjLj3EEiiiiiiiiiiiliiliiiiil
		.amdhsa_group_segment_fixed_size 0
		.amdhsa_private_segment_fixed_size 32
		.amdhsa_kernarg_size 464
		.amdhsa_user_sgpr_count 8
		.amdhsa_user_sgpr_private_segment_buffer 1
		.amdhsa_user_sgpr_dispatch_ptr 0
		.amdhsa_user_sgpr_queue_ptr 0
		.amdhsa_user_sgpr_kernarg_segment_ptr 1
		.amdhsa_user_sgpr_dispatch_id 0
		.amdhsa_user_sgpr_flat_scratch_init 1
		.amdhsa_user_sgpr_kernarg_preload_length 0
		.amdhsa_user_sgpr_kernarg_preload_offset 0
		.amdhsa_user_sgpr_private_segment_size 0
		.amdhsa_uses_dynamic_stack 0
		.amdhsa_system_sgpr_private_segment_wavefront_offset 1
		.amdhsa_system_sgpr_workgroup_id_x 1
		.amdhsa_system_sgpr_workgroup_id_y 0
		.amdhsa_system_sgpr_workgroup_id_z 0
		.amdhsa_system_sgpr_workgroup_info 0
		.amdhsa_system_vgpr_workitem_id 1
		.amdhsa_next_free_vgpr 341
		.amdhsa_next_free_sgpr 100
		.amdhsa_accum_offset 256
		.amdhsa_reserve_vcc 1
		.amdhsa_reserve_flat_scratch 1
		.amdhsa_float_round_mode_32 0
		.amdhsa_float_round_mode_16_64 0
		.amdhsa_float_denorm_mode_32 3
		.amdhsa_float_denorm_mode_16_64 3
		.amdhsa_dx10_clamp 1
		.amdhsa_ieee_mode 1
		.amdhsa_fp16_overflow 0
		.amdhsa_tg_split 0
		.amdhsa_exception_fp_ieee_invalid_op 0
		.amdhsa_exception_fp_denorm_src 0
		.amdhsa_exception_fp_ieee_div_zero 0
		.amdhsa_exception_fp_ieee_overflow 0
		.amdhsa_exception_fp_ieee_underflow 0
		.amdhsa_exception_fp_ieee_inexact 0
		.amdhsa_exception_int_div_zero 0
	.end_amdhsa_kernel
	.section	.text._ZL18flash_attn_ext_f16ILi256ELi256ELi16ELi1ELb1ELb0EEvPKcS1_S1_S1_S1_PKiPfP15HIP_vector_typeIfLj2EEffffjfiS5_IjLj3EEiiiiiiiiiiiliiliiiiil,"axG",@progbits,_ZL18flash_attn_ext_f16ILi256ELi256ELi16ELi1ELb1ELb0EEvPKcS1_S1_S1_S1_PKiPfP15HIP_vector_typeIfLj2EEffffjfiS5_IjLj3EEiiiiiiiiiiiliiliiiiil,comdat
.Lfunc_end30:
	.size	_ZL18flash_attn_ext_f16ILi256ELi256ELi16ELi1ELb1ELb0EEvPKcS1_S1_S1_S1_PKiPfP15HIP_vector_typeIfLj2EEffffjfiS5_IjLj3EEiiiiiiiiiiiliiliiiiil, .Lfunc_end30-_ZL18flash_attn_ext_f16ILi256ELi256ELi16ELi1ELb1ELb0EEvPKcS1_S1_S1_S1_PKiPfP15HIP_vector_typeIfLj2EEffffjfiS5_IjLj3EEiiiiiiiiiiiliiliiiiil
                                        ; -- End function
	.section	.AMDGPU.csdata,"",@progbits
; Kernel info:
; codeLenInByte = 83484
; NumSgprs: 106
; NumVgprs: 256
; NumAgprs: 85
; TotalNumVgprs: 341
; ScratchSize: 32
; MemoryBound: 0
; FloatMode: 240
; IeeeMode: 1
; LDSByteSize: 0 bytes/workgroup (compile time only)
; SGPRBlocks: 13
; VGPRBlocks: 42
; NumSGPRsForWavesPerEU: 106
; NumVGPRsForWavesPerEU: 341
; AccumOffset: 256
; Occupancy: 1
; WaveLimiterHint : 1
; COMPUTE_PGM_RSRC2:SCRATCH_EN: 1
; COMPUTE_PGM_RSRC2:USER_SGPR: 8
; COMPUTE_PGM_RSRC2:TRAP_HANDLER: 0
; COMPUTE_PGM_RSRC2:TGID_X_EN: 1
; COMPUTE_PGM_RSRC2:TGID_Y_EN: 0
; COMPUTE_PGM_RSRC2:TGID_Z_EN: 0
; COMPUTE_PGM_RSRC2:TIDIG_COMP_CNT: 1
; COMPUTE_PGM_RSRC3_GFX90A:ACCUM_OFFSET: 63
; COMPUTE_PGM_RSRC3_GFX90A:TG_SPLIT: 0
	.section	.text._ZL33flash_attn_stream_k_fixup_uniformILi256ELi16ELi1EEvPfPK15HIP_vector_typeIfLj2EEiiiiiiS1_IjLj3EES5_S5_,"axG",@progbits,_ZL33flash_attn_stream_k_fixup_uniformILi256ELi16ELi1EEvPfPK15HIP_vector_typeIfLj2EEiiiiiiS1_IjLj3EES5_S5_,comdat
	.globl	_ZL33flash_attn_stream_k_fixup_uniformILi256ELi16ELi1EEvPfPK15HIP_vector_typeIfLj2EEiiiiiiS1_IjLj3EES5_S5_ ; -- Begin function _ZL33flash_attn_stream_k_fixup_uniformILi256ELi16ELi1EEvPfPK15HIP_vector_typeIfLj2EEiiiiiiS1_IjLj3EES5_S5_
	.p2align	8
	.type	_ZL33flash_attn_stream_k_fixup_uniformILi256ELi16ELi1EEvPfPK15HIP_vector_typeIfLj2EEiiiiiiS1_IjLj3EES5_S5_,@function
_ZL33flash_attn_stream_k_fixup_uniformILi256ELi16ELi1EEvPfPK15HIP_vector_typeIfLj2EEiiiiiiS1_IjLj3EES5_S5_: ; @_ZL33flash_attn_stream_k_fixup_uniformILi256ELi16ELi1EEvPfPK15HIP_vector_typeIfLj2EEiiiiiiS1_IjLj3EES5_S5_
; %bb.0:
	s_load_dwordx8 s[12:19], s[4:5], 0x1c
	s_load_dwordx2 s[10:11], s[4:5], 0x10
	s_load_dwordx4 s[0:3], s[4:5], 0x3c
	s_waitcnt lgkmcnt(0)
	s_mul_hi_u32 s9, s15, s6
	s_add_i32 s9, s6, s9
	s_lshr_b32 s9, s9, s16
	s_mul_i32 s15, s9, s17
	s_sub_i32 s15, s6, s15
	s_mul_hi_u32 s16, s15, s18
	s_add_i32 s16, s15, s16
	s_lshr_b32 s16, s16, s19
	s_mul_i32 s0, s16, s0
	s_sub_i32 s0, s15, s0
	;; [unrolled: 5-line block ×3, first 2 shown]
	s_lshl_b32 s0, s17, 4
	s_add_i32 s0, s0, s7
	s_cmp_lt_i32 s0, s10
	s_cselect_b64 s[0:1], -1, 0
	s_add_i32 s2, s15, s8
	s_cmp_lt_i32 s2, s13
	s_cselect_b64 s[2:3], -1, 0
	s_and_b64 s[0:1], s[0:1], s[2:3]
	s_andn2_b64 vcc, exec, s[0:1]
	s_cbranch_vccnz .LBB31_6
; %bb.1:
	s_load_dwordx4 s[0:3], s[4:5], 0x0
	s_mul_i32 s4, s9, s10
	s_add_i32 s4, s4, s7
	s_mul_i32 s4, s4, s11
	s_mul_i32 s16, s16, s13
	s_add_i32 s4, s4, s8
	s_add_i32 s4, s4, s16
	s_mul_i32 s5, s11, s17
	s_add_i32 s4, s4, s15
	s_lshl_b32 s5, s5, 12
	s_lshl_b32 s4, s4, 8
	s_add_i32 s5, s5, s4
	v_or_b32_e32 v2, s5, v0
	v_ashrrev_i32_e32 v3, 31, v2
	v_lshlrev_b64 v[2:3], 2, v[2:3]
	s_waitcnt lgkmcnt(0)
	v_mov_b32_e32 v1, s1
	v_add_co_u32_e32 v2, vcc, s0, v2
	v_addc_co_u32_e32 v3, vcc, v1, v3, vcc
	global_load_dword v8, v[2:3], off
	s_add_i32 s4, s7, s8
	s_mul_i32 s7, s6, s14
	s_add_i32 s5, s7, s14
	s_lshl_b32 s0, s5, 4
	s_add_i32 s0, s4, s0
	s_add_i32 s0, s0, -16
	s_ashr_i32 s1, s0, 31
	s_lshl_b64 s[0:1], s[0:1], 3
	s_add_u32 s0, s2, s0
	s_addc_u32 s1, s3, s1
	s_load_dword s10, s[0:1], 0x4
	s_add_i32 s8, s5, -2
	s_cmp_lt_i32 s8, s7
	s_cbranch_scc1 .LBB31_4
; %bb.2:
	s_lshl_b32 s8, s12, 6
	s_ashr_i32 s9, s8, 31
	s_lshl_b64 s[8:9], s[8:9], 2
	s_add_u32 s8, s2, s8
	s_addc_u32 s11, s3, s9
	s_add_i32 s6, s6, 1
	s_add_i32 s9, s5, -1
	s_mul_i32 s5, s14, s6
	s_load_dword s0, s[0:1], 0x0
	s_lshl_b32 s1, s4, 8
	s_lshl_b32 s6, s5, 12
	s_add_i32 s1, s1, s6
	v_or_b32_e32 v0, s1, v0
	s_lshl_b32 s1, s5, 4
	s_add_i32 s1, s4, s1
	s_lshl_b32 s4, s12, 4
	s_add_i32 s1, s1, s4
	v_add_u32_e32 v0, 0xffffe000, v0
	s_sub_i32 s4, s1, 32
	s_waitcnt lgkmcnt(0)
	v_mov_b32_e32 v7, s10
	v_mov_b32_e32 v6, s0
	;; [unrolled: 1-line block ×3, first 2 shown]
	s_mov_b32 s6, 0x3fb8aa3b
	s_mov_b32 s10, 0xc2ce8ed0
	;; [unrolled: 1-line block ×3, first 2 shown]
	v_mov_b32_e32 v5, 0x7f800000
	s_mov_b32 s12, 0xc1a00000
.LBB31_3:                               ; =>This Inner Loop Header: Depth=1
	v_ashrrev_i32_e32 v1, 31, v0
	v_lshlrev_b64 v[10:11], 2, v[0:1]
	v_add_co_u32_e32 v10, vcc, s8, v10
	v_addc_co_u32_e32 v11, vcc, v4, v11, vcc
	global_load_dword v1, v[10:11], off
	s_ashr_i32 s5, s4, 31
	s_lshl_b64 s[0:1], s[4:5], 3
	s_add_u32 s0, s2, s0
	s_addc_u32 s1, s3, s1
	s_load_dwordx2 s[14:15], s[0:1], 0x0
	s_waitcnt vmcnt(1)
	v_mov_b32_e32 v9, v8
	v_max_f32_e32 v8, v6, v6
	v_mov_b32_e32 v10, v7
	s_add_i32 s9, s9, -1
	s_waitcnt lgkmcnt(0)
	v_max_f32_e64 v7, s14, s14
	v_max_f32_e32 v7, v8, v7
	v_sub_f32_e32 v11, s14, v7
	v_sub_f32_e32 v8, v6, v7
	v_mul_f32_e32 v12, 0x3fb8aa3b, v11
	v_mov_b32_e32 v6, v7
	v_mul_f32_e32 v7, 0x3fb8aa3b, v8
	v_fma_f32 v15, v11, s6, -v12
	v_rndne_f32_e32 v16, v12
	v_fma_f32 v13, v8, s6, -v7
	v_rndne_f32_e32 v14, v7
	v_fmac_f32_e32 v15, 0x32a5705f, v11
	v_sub_f32_e32 v12, v12, v16
	v_fmac_f32_e32 v13, 0x32a5705f, v8
	v_sub_f32_e32 v7, v7, v14
	v_add_f32_e32 v12, v12, v15
	v_cvt_i32_f32_e32 v16, v16
	v_add_f32_e32 v7, v7, v13
	v_exp_f32_e32 v12, v12
	v_cvt_i32_f32_e32 v14, v14
	v_exp_f32_e32 v7, v7
	v_cmp_ngt_f32_e32 vcc, s10, v11
	v_ldexp_f32 v12, v12, v16
	v_cmp_ngt_f32_e64 s[0:1], s10, v8
	v_ldexp_f32 v7, v7, v14
	v_cndmask_b32_e32 v12, 0, v12, vcc
	v_cmp_nlt_f32_e32 vcc, s11, v11
	v_cndmask_b32_e64 v7, 0, v7, s[0:1]
	v_cmp_nlt_f32_e64 s[0:1], s11, v8
	v_cndmask_b32_e32 v12, v5, v12, vcc
	v_cmp_le_f32_e32 vcc, s12, v11
	v_cndmask_b32_e64 v7, v5, v7, s[0:1]
	v_cmp_le_f32_e64 s[0:1], s12, v8
	v_cndmask_b32_e32 v8, 0, v12, vcc
	s_add_i32 s4, s4, -16
	v_cndmask_b32_e64 v11, 0, v7, s[0:1]
	v_mul_f32_e32 v7, s15, v8
	v_add_u32_e32 v0, 0xfffff000, v0
	s_cmp_le_i32 s9, s7
	v_fmac_f32_e32 v7, v10, v11
	s_waitcnt vmcnt(0)
	v_mul_f32_e32 v8, v1, v8
	v_fmac_f32_e32 v8, v9, v11
	s_cbranch_scc0 .LBB31_3
	s_branch .LBB31_5
.LBB31_4:
	s_waitcnt lgkmcnt(0)
	v_mov_b32_e32 v7, s10
.LBB31_5:
	s_waitcnt vmcnt(0)
	v_div_scale_f32 v0, s[0:1], v7, v7, v8
	v_rcp_f32_e32 v1, v0
	v_div_scale_f32 v4, vcc, v8, v7, v8
	v_fma_f32 v5, -v0, v1, 1.0
	v_fmac_f32_e32 v1, v5, v1
	v_mul_f32_e32 v5, v4, v1
	v_fma_f32 v6, -v0, v5, v4
	v_fmac_f32_e32 v5, v6, v1
	v_fma_f32 v0, -v0, v5, v4
	v_div_fmas_f32 v0, v0, v1, v5
	v_div_fixup_f32 v0, v0, v7, v8
	global_store_dword v[2:3], v0, off
.LBB31_6:
	s_endpgm
	.section	.rodata,"a",@progbits
	.p2align	6, 0x0
	.amdhsa_kernel _ZL33flash_attn_stream_k_fixup_uniformILi256ELi16ELi1EEvPfPK15HIP_vector_typeIfLj2EEiiiiiiS1_IjLj3EES5_S5_
		.amdhsa_group_segment_fixed_size 0
		.amdhsa_private_segment_fixed_size 0
		.amdhsa_kernarg_size 76
		.amdhsa_user_sgpr_count 6
		.amdhsa_user_sgpr_private_segment_buffer 1
		.amdhsa_user_sgpr_dispatch_ptr 0
		.amdhsa_user_sgpr_queue_ptr 0
		.amdhsa_user_sgpr_kernarg_segment_ptr 1
		.amdhsa_user_sgpr_dispatch_id 0
		.amdhsa_user_sgpr_flat_scratch_init 0
		.amdhsa_user_sgpr_kernarg_preload_length 0
		.amdhsa_user_sgpr_kernarg_preload_offset 0
		.amdhsa_user_sgpr_private_segment_size 0
		.amdhsa_uses_dynamic_stack 0
		.amdhsa_system_sgpr_private_segment_wavefront_offset 0
		.amdhsa_system_sgpr_workgroup_id_x 1
		.amdhsa_system_sgpr_workgroup_id_y 1
		.amdhsa_system_sgpr_workgroup_id_z 1
		.amdhsa_system_sgpr_workgroup_info 0
		.amdhsa_system_vgpr_workitem_id 0
		.amdhsa_next_free_vgpr 17
		.amdhsa_next_free_sgpr 20
		.amdhsa_accum_offset 20
		.amdhsa_reserve_vcc 1
		.amdhsa_reserve_flat_scratch 0
		.amdhsa_float_round_mode_32 0
		.amdhsa_float_round_mode_16_64 0
		.amdhsa_float_denorm_mode_32 3
		.amdhsa_float_denorm_mode_16_64 3
		.amdhsa_dx10_clamp 1
		.amdhsa_ieee_mode 1
		.amdhsa_fp16_overflow 0
		.amdhsa_tg_split 0
		.amdhsa_exception_fp_ieee_invalid_op 0
		.amdhsa_exception_fp_denorm_src 0
		.amdhsa_exception_fp_ieee_div_zero 0
		.amdhsa_exception_fp_ieee_overflow 0
		.amdhsa_exception_fp_ieee_underflow 0
		.amdhsa_exception_fp_ieee_inexact 0
		.amdhsa_exception_int_div_zero 0
	.end_amdhsa_kernel
	.section	.text._ZL33flash_attn_stream_k_fixup_uniformILi256ELi16ELi1EEvPfPK15HIP_vector_typeIfLj2EEiiiiiiS1_IjLj3EES5_S5_,"axG",@progbits,_ZL33flash_attn_stream_k_fixup_uniformILi256ELi16ELi1EEvPfPK15HIP_vector_typeIfLj2EEiiiiiiS1_IjLj3EES5_S5_,comdat
.Lfunc_end31:
	.size	_ZL33flash_attn_stream_k_fixup_uniformILi256ELi16ELi1EEvPfPK15HIP_vector_typeIfLj2EEiiiiiiS1_IjLj3EES5_S5_, .Lfunc_end31-_ZL33flash_attn_stream_k_fixup_uniformILi256ELi16ELi1EEvPfPK15HIP_vector_typeIfLj2EEiiiiiiS1_IjLj3EES5_S5_
                                        ; -- End function
	.section	.AMDGPU.csdata,"",@progbits
; Kernel info:
; codeLenInByte = 836
; NumSgprs: 24
; NumVgprs: 17
; NumAgprs: 0
; TotalNumVgprs: 17
; ScratchSize: 0
; MemoryBound: 0
; FloatMode: 240
; IeeeMode: 1
; LDSByteSize: 0 bytes/workgroup (compile time only)
; SGPRBlocks: 2
; VGPRBlocks: 2
; NumSGPRsForWavesPerEU: 24
; NumVGPRsForWavesPerEU: 17
; AccumOffset: 20
; Occupancy: 8
; WaveLimiterHint : 0
; COMPUTE_PGM_RSRC2:SCRATCH_EN: 0
; COMPUTE_PGM_RSRC2:USER_SGPR: 6
; COMPUTE_PGM_RSRC2:TRAP_HANDLER: 0
; COMPUTE_PGM_RSRC2:TGID_X_EN: 1
; COMPUTE_PGM_RSRC2:TGID_Y_EN: 1
; COMPUTE_PGM_RSRC2:TGID_Z_EN: 1
; COMPUTE_PGM_RSRC2:TIDIG_COMP_CNT: 0
; COMPUTE_PGM_RSRC3_GFX90A:ACCUM_OFFSET: 4
; COMPUTE_PGM_RSRC3_GFX90A:TG_SPLIT: 0
	.section	.text._ZL33flash_attn_stream_k_fixup_generalILi256ELi16ELi1EEvPfPK15HIP_vector_typeIfLj2EEiiiiS1_IjLj3EES5_S5_S5_,"axG",@progbits,_ZL33flash_attn_stream_k_fixup_generalILi256ELi16ELi1EEvPfPK15HIP_vector_typeIfLj2EEiiiiS1_IjLj3EES5_S5_S5_,comdat
	.globl	_ZL33flash_attn_stream_k_fixup_generalILi256ELi16ELi1EEvPfPK15HIP_vector_typeIfLj2EEiiiiS1_IjLj3EES5_S5_S5_ ; -- Begin function _ZL33flash_attn_stream_k_fixup_generalILi256ELi16ELi1EEvPfPK15HIP_vector_typeIfLj2EEiiiiS1_IjLj3EES5_S5_S5_
	.p2align	8
	.type	_ZL33flash_attn_stream_k_fixup_generalILi256ELi16ELi1EEvPfPK15HIP_vector_typeIfLj2EEiiiiS1_IjLj3EES5_S5_S5_,@function
_ZL33flash_attn_stream_k_fixup_generalILi256ELi16ELi1EEvPfPK15HIP_vector_typeIfLj2EEiiiiS1_IjLj3EES5_S5_S5_: ; @_ZL33flash_attn_stream_k_fixup_generalILi256ELi16ELi1EEvPfPK15HIP_vector_typeIfLj2EEiiiiS1_IjLj3EES5_S5_S5_
; %bb.0:
	s_load_dwordx4 s[12:15], s[4:5], 0x10
	s_load_dword s9, s[4:5], 0x50
	s_mov_b32 s2, 0
	s_waitcnt lgkmcnt(0)
	s_mul_hi_i32 s3, s15, s6
	s_cmp_lg_u64 s[2:3], 0
	s_mul_i32 s2, s15, s6
	s_cbranch_scc0 .LBB32_21
; %bb.1:
	v_cvt_f32_u32_e32 v1, s9
	v_cvt_f32_ubyte0_e32 v2, 0
	s_sub_u32 s10, 0, s9
	s_subb_u32 s11, 0, 0
	v_madmk_f32 v1, v2, 0x4f800000, v1
	v_rcp_f32_e32 v1, v1
	v_mul_f32_e32 v1, 0x5f7ffffc, v1
	v_mul_f32_e32 v2, 0x2f800000, v1
	v_trunc_f32_e32 v2, v2
	v_madmk_f32 v1, v2, 0xcf800000, v1
	v_cvt_u32_f32_e32 v2, v2
	v_cvt_u32_f32_e32 v1, v1
	v_readfirstlane_b32 s16, v2
	v_readfirstlane_b32 s17, v1
	s_mul_i32 s18, s10, s16
	s_mul_hi_u32 s20, s10, s17
	s_mul_i32 s19, s11, s17
	s_add_i32 s18, s20, s18
	s_add_i32 s18, s18, s19
	s_mul_i32 s21, s10, s17
	s_mul_hi_u32 s19, s17, s18
	s_mul_i32 s20, s17, s18
	s_mul_hi_u32 s17, s17, s21
	s_add_u32 s17, s17, s20
	s_addc_u32 s19, 0, s19
	s_mul_hi_u32 s22, s16, s21
	s_mul_i32 s21, s16, s21
	s_add_u32 s17, s17, s21
	s_mul_hi_u32 s20, s16, s18
	s_addc_u32 s17, s19, s22
	s_addc_u32 s19, s20, 0
	s_mul_i32 s18, s16, s18
	s_add_u32 s17, s17, s18
	s_addc_u32 s18, 0, s19
	v_add_co_u32_e32 v1, vcc, s17, v1
	s_cmp_lg_u64 vcc, 0
	s_addc_u32 s16, s16, s18
	v_readfirstlane_b32 s18, v1
	s_mul_i32 s17, s10, s16
	s_mul_hi_u32 s19, s10, s18
	s_add_i32 s17, s19, s17
	s_mul_i32 s11, s11, s18
	s_add_i32 s17, s17, s11
	s_mul_i32 s10, s10, s18
	s_mul_hi_u32 s19, s16, s10
	s_mul_i32 s20, s16, s10
	s_mul_i32 s22, s18, s17
	s_mul_hi_u32 s10, s18, s10
	s_mul_hi_u32 s21, s18, s17
	s_add_u32 s10, s10, s22
	s_addc_u32 s18, 0, s21
	s_add_u32 s10, s10, s20
	s_mul_hi_u32 s11, s16, s17
	s_addc_u32 s10, s18, s19
	s_addc_u32 s11, s11, 0
	s_mul_i32 s17, s16, s17
	s_add_u32 s10, s10, s17
	s_addc_u32 s11, 0, s11
	v_add_co_u32_e32 v1, vcc, s10, v1
	s_cmp_lg_u64 vcc, 0
	s_addc_u32 s18, s16, s11
	s_ashr_i32 s10, s3, 31
	s_add_u32 s16, s2, s10
	s_mov_b32 s11, s10
	s_addc_u32 s17, s3, s10
	s_xor_b64 s[16:17], s[16:17], s[10:11]
	v_readfirstlane_b32 s20, v1
	s_mul_i32 s19, s16, s18
	s_mul_hi_u32 s21, s16, s20
	s_mul_hi_u32 s3, s16, s18
	s_add_u32 s19, s21, s19
	s_addc_u32 s3, 0, s3
	s_mul_hi_u32 s22, s17, s20
	s_mul_i32 s20, s17, s20
	s_add_u32 s19, s19, s20
	s_mul_hi_u32 s21, s17, s18
	s_addc_u32 s3, s3, s22
	s_addc_u32 s19, s21, 0
	s_mul_i32 s18, s17, s18
	s_add_u32 s3, s3, s18
	s_addc_u32 s18, 0, s19
	s_add_u32 s19, s3, 1
	s_addc_u32 s20, s18, 0
	s_add_u32 s21, s3, 2
	s_mul_i32 s23, s9, s18
	s_mul_hi_u32 s24, s9, s3
	s_addc_u32 s22, s18, 0
	s_add_i32 s24, s24, s23
	s_mul_i32 s23, s9, s3
	v_mov_b32_e32 v1, s23
	v_sub_co_u32_e32 v1, vcc, s16, v1
	s_cmp_lg_u64 vcc, 0
	s_subb_u32 s16, s17, s24
	v_subrev_co_u32_e32 v2, vcc, s9, v1
	s_cmp_lg_u64 vcc, 0
	s_subb_u32 s17, s16, 0
	v_readfirstlane_b32 s23, v2
	s_cmp_ge_u32 s23, s9
	s_cselect_b32 s23, -1, 0
	s_cmp_eq_u32 s17, 0
	s_cselect_b32 s17, s23, -1
	s_cmp_lg_u32 s17, 0
	s_cselect_b32 s17, s22, s20
	v_readfirstlane_b32 s20, v1
	s_cselect_b32 s19, s21, s19
	s_cmp_ge_u32 s20, s9
	s_cselect_b32 s20, -1, 0
	s_cmp_eq_u32 s16, 0
	s_cselect_b32 s16, s20, -1
	s_cmp_lg_u32 s16, 0
	s_cselect_b32 s17, s17, s18
	s_cselect_b32 s16, s19, s3
	s_xor_b64 s[16:17], s[16:17], s[10:11]
	s_sub_u32 s20, s16, s10
	s_load_dwordx4 s[16:19], s[4:5], 0x44
	s_cbranch_execnz .LBB32_3
.LBB32_2:
	v_cvt_f32_u32_e32 v1, s9
	s_sub_i32 s0, 0, s9
	v_rcp_iflag_f32_e32 v1, v1
	v_mul_f32_e32 v1, 0x4f7ffffe, v1
	v_cvt_u32_f32_e32 v1, v1
	v_readfirstlane_b32 s1, v1
	s_mul_i32 s0, s0, s1
	s_mul_hi_u32 s0, s1, s0
	s_add_i32 s1, s1, s0
	s_mul_hi_u32 s0, s2, s1
	s_mul_i32 s3, s0, s9
	s_sub_i32 s2, s2, s3
	s_add_i32 s1, s0, 1
	s_sub_i32 s3, s2, s9
	s_cmp_ge_u32 s2, s9
	s_cselect_b32 s0, s1, s0
	s_cselect_b32 s2, s3, s2
	s_add_i32 s1, s0, 1
	s_cmp_ge_u32 s2, s9
	s_cselect_b32 s20, s1, s0
.LBB32_3:
	s_add_i32 s0, s6, 1
	s_mul_hi_i32 s3, s15, s0
	s_mov_b32 s2, 0
	s_cmp_lg_u64 s[2:3], 0
	s_mul_i32 s2, s15, s0
	s_cbranch_scc0 .LBB32_22
; %bb.4:
	v_cvt_f32_u32_e32 v1, s9
	v_cvt_f32_ubyte0_e32 v2, 0
	s_sub_u32 s10, 0, s9
	s_subb_u32 s11, 0, 0
	v_madmk_f32 v1, v2, 0x4f800000, v1
	v_rcp_f32_e32 v1, v1
	v_mul_f32_e32 v1, 0x5f7ffffc, v1
	v_mul_f32_e32 v2, 0x2f800000, v1
	v_trunc_f32_e32 v2, v2
	v_madmk_f32 v1, v2, 0xcf800000, v1
	v_cvt_u32_f32_e32 v2, v2
	v_cvt_u32_f32_e32 v1, v1
	s_waitcnt lgkmcnt(0)
	v_readfirstlane_b32 s19, v2
	v_readfirstlane_b32 s21, v1
	s_mul_i32 s22, s10, s19
	s_mul_hi_u32 s24, s10, s21
	s_mul_i32 s23, s11, s21
	s_add_i32 s22, s24, s22
	s_add_i32 s22, s22, s23
	s_mul_i32 s25, s10, s21
	s_mul_hi_u32 s23, s21, s22
	s_mul_i32 s24, s21, s22
	s_mul_hi_u32 s21, s21, s25
	s_add_u32 s21, s21, s24
	s_addc_u32 s23, 0, s23
	s_mul_hi_u32 s26, s19, s25
	s_mul_i32 s25, s19, s25
	s_add_u32 s21, s21, s25
	s_mul_hi_u32 s24, s19, s22
	s_addc_u32 s21, s23, s26
	s_addc_u32 s23, s24, 0
	s_mul_i32 s22, s19, s22
	s_add_u32 s21, s21, s22
	s_addc_u32 s22, 0, s23
	v_add_co_u32_e32 v1, vcc, s21, v1
	s_cmp_lg_u64 vcc, 0
	s_addc_u32 s19, s19, s22
	v_readfirstlane_b32 s22, v1
	s_mul_i32 s21, s10, s19
	s_mul_hi_u32 s23, s10, s22
	s_add_i32 s21, s23, s21
	s_mul_i32 s11, s11, s22
	s_add_i32 s21, s21, s11
	s_mul_i32 s10, s10, s22
	s_mul_hi_u32 s23, s19, s10
	s_mul_i32 s24, s19, s10
	s_mul_i32 s26, s22, s21
	s_mul_hi_u32 s10, s22, s10
	s_mul_hi_u32 s25, s22, s21
	s_add_u32 s10, s10, s26
	s_addc_u32 s22, 0, s25
	s_add_u32 s10, s10, s24
	s_mul_hi_u32 s11, s19, s21
	s_addc_u32 s10, s22, s23
	s_addc_u32 s11, s11, 0
	s_mul_i32 s21, s19, s21
	s_add_u32 s10, s10, s21
	s_addc_u32 s11, 0, s11
	v_add_co_u32_e32 v1, vcc, s10, v1
	s_cmp_lg_u64 vcc, 0
	s_addc_u32 s19, s19, s11
	s_ashr_i32 s10, s3, 31
	s_add_u32 s22, s2, s10
	s_mov_b32 s11, s10
	s_addc_u32 s23, s3, s10
	s_xor_b64 s[22:23], s[22:23], s[10:11]
	v_readfirstlane_b32 s21, v1
	s_mul_i32 s11, s22, s19
	s_mul_hi_u32 s24, s22, s21
	s_mul_hi_u32 s3, s22, s19
	s_add_u32 s11, s24, s11
	s_addc_u32 s3, 0, s3
	s_mul_hi_u32 s25, s23, s21
	s_mul_i32 s21, s23, s21
	s_add_u32 s11, s11, s21
	s_mul_hi_u32 s24, s23, s19
	s_addc_u32 s3, s3, s25
	s_addc_u32 s11, s24, 0
	s_mul_i32 s19, s23, s19
	s_add_u32 s3, s3, s19
	s_addc_u32 s11, 0, s11
	s_mul_i32 s11, s9, s11
	s_mul_hi_u32 s24, s9, s3
	s_add_i32 s24, s24, s11
	s_mul_i32 s11, s9, s3
	v_mov_b32_e32 v1, s11
	s_add_u32 s19, s3, 1
	s_add_u32 s21, s3, 2
	v_sub_co_u32_e32 v1, vcc, s22, v1
	s_cmp_lg_u64 vcc, 0
	s_subb_u32 s11, s23, s24
	v_subrev_co_u32_e32 v2, vcc, s9, v1
	s_cmp_lg_u64 vcc, 0
	s_subb_u32 s22, s11, 0
	v_cmp_le_u32_e32 vcc, s9, v2
	s_cmp_eq_u32 s22, 0
	v_cndmask_b32_e64 v2, 0, -1, vcc
	s_cselect_b64 vcc, -1, 0
	v_cndmask_b32_e32 v2, -1, v2, vcc
	v_mov_b32_e32 v3, s19
	v_mov_b32_e32 v4, s21
	v_cmp_ne_u32_e32 vcc, 0, v2
	v_cndmask_b32_e32 v2, v3, v4, vcc
	v_cmp_le_u32_e32 vcc, s9, v1
	s_cmp_eq_u32 s11, 0
	v_cndmask_b32_e64 v1, 0, -1, vcc
	s_cselect_b64 vcc, -1, 0
	v_cndmask_b32_e32 v1, -1, v1, vcc
	v_mov_b32_e32 v3, s3
	v_cmp_ne_u32_e32 vcc, 0, v1
	v_cndmask_b32_e32 v1, v3, v2, vcc
	v_xor_b32_e32 v1, s10, v1
	v_subrev_co_u32_e32 v2, vcc, s10, v1
	s_cbranch_execnz .LBB32_6
.LBB32_5:
	v_cvt_f32_u32_e32 v1, s9
	s_sub_i32 s0, 0, s9
	s_mov_b32 s1, 0
	v_rcp_iflag_f32_e32 v1, v1
	v_mul_f32_e32 v1, 0x4f7ffffe, v1
	v_cvt_u32_f32_e32 v1, v1
	v_readfirstlane_b32 s3, v1
	s_mul_i32 s0, s0, s3
	s_mul_hi_u32 s0, s3, s0
	s_add_i32 s3, s3, s0
	s_mul_hi_u32 s0, s2, s3
	s_mul_i32 s10, s0, s9
	s_sub_i32 s2, s2, s10
	s_add_i32 s3, s0, 1
	s_sub_i32 s10, s2, s9
	s_cmp_ge_u32 s2, s9
	s_cselect_b32 s0, s3, s0
	s_cselect_b32 s2, s10, s2
	s_add_i32 s3, s0, 1
	s_cmp_ge_u32 s2, s9
	s_cselect_b32 s0, s3, s0
	v_pk_mov_b32 v[2:3], s[0:1], s[0:1] op_sel:[0,1]
.LBB32_6:
	s_waitcnt lgkmcnt(0)
	s_mul_hi_u32 s0, s20, s16
	s_add_i32 s0, s0, s20
	v_mul_hi_u32 v1, v2, s16
	s_lshr_b32 s19, s0, s17
	v_add_u32_e32 v1, v1, v2
	s_mul_i32 s0, s19, s18
	v_lshrrev_b32_e32 v1, s17, v1
	s_cmp_eq_u32 s0, s20
	v_cmp_eq_u32_e64 s[0:1], s19, v1
	v_mul_lo_u32 v1, v1, s18
	v_cmp_eq_u32_e32 vcc, s20, v2
	s_cselect_b64 s[10:11], -1, 0
	v_cmp_ne_u32_e64 s[2:3], v1, v2
	s_and_b64 s[0:1], s[0:1], s[2:3]
	s_or_b64 s[2:3], vcc, s[10:11]
	s_or_b64 s[0:1], s[2:3], s[0:1]
	s_and_b64 vcc, exec, s[0:1]
	s_cbranch_vccnz .LBB32_24
; %bb.7:
	s_load_dwordx8 s[24:31], s[4:5], 0x20
	s_load_dword s0, s[4:5], 0x40
	s_mov_b32 s10, 0
	s_waitcnt lgkmcnt(0)
	s_mul_hi_u32 s1, s20, s24
	s_add_i32 s1, s1, s20
	s_lshr_b32 s11, s1, s25
	s_mul_i32 s1, s11, s26
	s_sub_i32 s1, s20, s1
	s_mul_hi_u32 s2, s1, s27
	s_add_i32 s2, s1, s2
	s_lshr_b32 s25, s2, s28
	s_mul_i32 s2, s25, s29
	s_sub_i32 s1, s1, s2
	;; [unrolled: 5-line block ×3, first 2 shown]
	s_mul_hi_u32 s1, s0, s16
	s_add_i32 s0, s0, s1
	s_lshr_b32 s26, s0, s17
	s_lshl_b32 s0, s26, 4
	s_add_i32 s0, s0, s7
	s_cmp_lt_i32 s0, s12
	s_cselect_b64 s[0:1], -1, 0
	s_add_i32 s2, s24, s8
	s_cmp_lt_i32 s2, s14
	s_cselect_b64 s[2:3], -1, 0
	s_and_b64 s[0:1], s[0:1], s[2:3]
	s_andn2_b64 vcc, exec, s[0:1]
	s_cbranch_vccnz .LBB32_24
; %bb.8:
	s_load_dwordx4 s[0:3], s[4:5], 0x0
	s_lshl_b32 s4, s9, 6
	s_mov_b32 s5, s10
	s_add_i32 s21, s7, s8
	s_lshl_b64 s[4:5], s[4:5], 2
	s_waitcnt lgkmcnt(0)
	s_add_u32 s22, s2, s4
	s_mul_i32 s4, s11, s12
	s_addc_u32 s23, s3, s5
	s_add_i32 s4, s4, s7
	s_mul_i32 s4, s4, s13
	s_mul_i32 s25, s25, s14
	s_add_i32 s4, s4, s8
	s_add_i32 s4, s4, s25
	s_mul_i32 s5, s13, s26
	s_add_i32 s4, s4, s24
	s_lshl_b32 s5, s5, 12
	s_lshl_b32 s4, s4, 8
	s_add_i32 s5, s5, s4
	v_or_b32_e32 v2, s5, v0
	v_ashrrev_i32_e32 v3, 31, v2
	v_lshlrev_b64 v[2:3], 2, v[2:3]
	v_mov_b32_e32 v1, s1
	v_add_co_u32_e32 v2, vcc, s0, v2
	v_addc_co_u32_e32 v3, vcc, v1, v3, vcc
	global_load_dword v5, v[2:3], off
	v_lshl_or_b32 v4, s21, 8, v0
	v_cvt_f32_u32_e32 v0, s9
	v_cvt_f32_ubyte0_e32 v1, 0
	s_lshl_b32 s0, s6, 4
	s_add_i32 s0, s0, s21
	v_mac_f32_e32 v0, 0x4f800000, v1
	v_rcp_f32_e32 v0, v0
	v_cvt_f32_u32_e32 v1, s9
	s_ashr_i32 s1, s0, 31
	s_lshl_b64 s[0:1], s[0:1], 3
	v_mul_f32_e32 v0, 0x5f7ffffc, v0
	v_rcp_iflag_f32_e32 v1, v1
	s_add_u32 s0, s2, s0
	v_mul_f32_e32 v9, 0x2f800000, v0
	s_addc_u32 s1, s3, s1
	v_trunc_f32_e32 v10, v9
	s_load_dwordx2 s[0:1], s[0:1], 0x0
	v_mac_f32_e32 v0, 0xcf800000, v10
	v_cvt_u32_f32_e32 v9, v0
	v_mul_f32_e32 v0, 0x4f7ffffe, v1
	v_cvt_u32_f32_e32 v10, v10
	v_cvt_u32_f32_e32 v11, v0
	s_add_i32 s8, s6, -1
	s_waitcnt lgkmcnt(0)
	v_mov_b32_e32 v6, s1
	v_mov_b32_e32 v7, s0
	;; [unrolled: 1-line block ×3, first 2 shown]
	s_mov_b32 s6, 0x3fb8aa3b
	s_mov_b32 s7, 0xc2ce8ed0
	;; [unrolled: 1-line block ×4, first 2 shown]
	v_mov_b32_e32 v12, 0x7f800000
	s_mul_hi_i32 s11, s8, s15
	s_cmp_lg_u64 s[10:11], 0
	s_mul_i32 s4, s8, s15
	s_cbranch_scc0 .LBB32_15
.LBB32_9:
	s_sub_u32 s0, 0, s9
	v_readfirstlane_b32 s5, v9
	v_readfirstlane_b32 s24, v10
	s_subb_u32 s1, 0, 0
	s_mul_hi_u32 s20, s0, s5
	s_mul_i32 s25, s0, s24
	s_mul_i32 s14, s1, s5
	s_add_i32 s20, s20, s25
	s_add_i32 s20, s20, s14
	s_mul_i32 s26, s0, s5
	s_mul_hi_u32 s14, s5, s20
	s_mul_i32 s25, s5, s20
	s_mul_hi_u32 s5, s5, s26
	s_add_u32 s5, s5, s25
	s_addc_u32 s14, 0, s14
	s_mul_hi_u32 s27, s24, s26
	s_mul_i32 s26, s24, s26
	s_add_u32 s5, s5, s26
	s_mul_hi_u32 s25, s24, s20
	s_addc_u32 s5, s14, s27
	s_addc_u32 s14, s25, 0
	s_mul_i32 s20, s24, s20
	s_add_u32 s5, s5, s20
	s_addc_u32 s14, 0, s14
	v_add_co_u32_e32 v0, vcc, s5, v9
	s_cmp_lg_u64 vcc, 0
	s_addc_u32 s5, s24, s14
	v_readfirstlane_b32 s20, v0
	s_mul_i32 s14, s0, s5
	s_mul_hi_u32 s24, s0, s20
	s_add_i32 s14, s24, s14
	s_mul_i32 s1, s1, s20
	s_add_i32 s14, s14, s1
	s_mul_i32 s0, s0, s20
	s_mul_hi_u32 s24, s5, s0
	s_mul_i32 s25, s5, s0
	s_mul_i32 s27, s20, s14
	s_mul_hi_u32 s0, s20, s0
	s_mul_hi_u32 s26, s20, s14
	s_add_u32 s0, s0, s27
	s_addc_u32 s20, 0, s26
	s_add_u32 s0, s0, s25
	s_mul_hi_u32 s1, s5, s14
	s_addc_u32 s0, s20, s24
	s_addc_u32 s1, s1, 0
	s_mul_i32 s14, s5, s14
	s_add_u32 s0, s0, s14
	s_addc_u32 s1, 0, s1
	v_add_co_u32_e32 v0, vcc, s0, v0
	s_cmp_lg_u64 vcc, 0
	s_addc_u32 s5, s5, s1
	s_ashr_i32 s0, s11, 31
	s_add_u32 s24, s4, s0
	s_mov_b32 s1, s0
	s_addc_u32 s25, s11, s0
	s_xor_b64 s[24:25], s[24:25], s[0:1]
	v_readfirstlane_b32 s14, v0
	s_mul_i32 s11, s24, s5
	s_mul_hi_u32 s20, s24, s14
	s_mul_hi_u32 s1, s24, s5
	s_add_u32 s11, s20, s11
	s_addc_u32 s1, 0, s1
	s_mul_hi_u32 s26, s25, s14
	s_mul_i32 s14, s25, s14
	s_add_u32 s11, s11, s14
	s_mul_hi_u32 s20, s25, s5
	s_addc_u32 s1, s1, s26
	s_addc_u32 s11, s20, 0
	s_mul_i32 s5, s25, s5
	s_add_u32 s1, s1, s5
	s_addc_u32 s5, 0, s11
	s_mul_i32 s5, s9, s5
	s_mul_hi_u32 s20, s9, s1
	s_add_i32 s20, s20, s5
	s_mul_i32 s5, s9, s1
	v_mov_b32_e32 v0, s5
	s_add_u32 s11, s1, 1
	s_add_u32 s14, s1, 2
	v_sub_co_u32_e32 v0, vcc, s24, v0
	s_cmp_lg_u64 vcc, 0
	s_subb_u32 s5, s25, s20
	v_subrev_co_u32_e32 v1, vcc, s9, v0
	s_cmp_lg_u64 vcc, 0
	s_subb_u32 s20, s5, 0
	v_cmp_le_u32_e32 vcc, s9, v1
	s_cmp_eq_u32 s20, 0
	v_cndmask_b32_e64 v1, 0, -1, vcc
	s_cselect_b64 vcc, -1, 0
	v_cndmask_b32_e32 v1, -1, v1, vcc
	v_mov_b32_e32 v13, s11
	v_mov_b32_e32 v14, s14
	v_cmp_ne_u32_e32 vcc, 0, v1
	v_cndmask_b32_e32 v1, v13, v14, vcc
	v_cmp_le_u32_e32 vcc, s9, v0
	s_cmp_eq_u32 s5, 0
	v_cndmask_b32_e64 v0, 0, -1, vcc
	s_cselect_b64 vcc, -1, 0
	v_cndmask_b32_e32 v0, -1, v0, vcc
	v_mov_b32_e32 v13, s1
	v_cmp_ne_u32_e32 vcc, 0, v0
	v_cndmask_b32_e32 v0, v13, v1, vcc
	v_xor_b32_e32 v0, s0, v0
	v_subrev_co_u32_e32 v0, vcc, s0, v0
	s_cbranch_execnz .LBB32_11
.LBB32_10:
	s_sub_i32 s0, 0, s9
	v_mul_lo_u32 v0, s0, v11
	v_mul_hi_u32 v0, v11, v0
	v_add_u32_e32 v0, v11, v0
	v_mul_hi_u32 v0, s4, v0
	v_mul_lo_u32 v13, v0, s9
	v_sub_u32_e32 v13, s4, v13
	v_add_u32_e32 v1, 1, v0
	v_subrev_u32_e32 v14, s9, v13
	v_cmp_le_u32_e32 vcc, s9, v13
	v_cndmask_b32_e32 v13, v13, v14, vcc
	v_cndmask_b32_e32 v0, v0, v1, vcc
	v_add_u32_e32 v1, 1, v0
	v_cmp_le_u32_e32 vcc, s9, v13
	v_cndmask_b32_e32 v0, v0, v1, vcc
.LBB32_11:
	v_cmp_ne_u32_e32 vcc, v8, v0
	s_cbranch_vccz .LBB32_14
; %bb.12:
	s_add_i32 s0, s8, s9
	s_lshl_b32 s0, s0, 4
	v_mul_hi_u32 v1, v0, s16
	s_add_i32 s0, s0, s21
	s_mov_b32 s1, s10
	v_add_u32_e32 v1, v1, v0
	s_lshl_b64 s[0:1], s[0:1], 3
	v_lshrrev_b32_e32 v1, s17, v1
	s_add_u32 s4, s2, s0
	v_mul_lo_u32 v13, v1, s18
	s_addc_u32 s5, s3, s1
	v_cmp_eq_u32_e32 vcc, v13, v0
	v_cmp_gt_u32_e64 s[0:1], s19, v1
	s_or_b64 s[0:1], s[0:1], vcc
	s_and_b64 vcc, exec, s[0:1]
	s_cbranch_vccnz .LBB32_16
; %bb.13:
	s_add_i32 s11, s8, -1
	s_mov_b64 s[0:1], 0
	s_branch .LBB32_17
.LBB32_14:
                                        ; implicit-def: $sgpr0_sgpr1
                                        ; implicit-def: $vgpr14
                                        ; implicit-def: $vgpr1
                                        ; implicit-def: $vgpr13
                                        ; implicit-def: $sgpr11
                                        ; implicit-def: $vgpr0
	s_branch .LBB32_18
.LBB32_15:
                                        ; implicit-def: $vgpr0_vgpr1
	s_branch .LBB32_10
.LBB32_16:
	s_mov_b64 s[0:1], -1
	s_mov_b32 s11, s8
	v_mov_b32_e32 v0, v8
.LBB32_17:
	v_lshl_add_u32 v14, s8, 12, v4
	v_ashrrev_i32_e32 v15, 31, v14
	v_lshlrev_b64 v[14:15], 2, v[14:15]
	v_mov_b32_e32 v1, s23
	v_add_co_u32_e32 v14, vcc, s22, v14
	v_addc_co_u32_e32 v15, vcc, v1, v15, vcc
	global_load_dword v14, v[14:15], off
	s_load_dwordx2 s[4:5], s[4:5], 0x0
	v_max_f32_e32 v1, v7, v7
	s_waitcnt lgkmcnt(0)
	v_max_f32_e64 v13, s4, s4
	v_max_f32_e32 v1, v1, v13
	v_sub_f32_e32 v13, v7, v1
	v_sub_f32_e32 v15, s4, v1
	v_mul_f32_e32 v16, 0x3fb8aa3b, v13
	v_mul_f32_e32 v17, 0x3fb8aa3b, v15
	v_fma_f32 v18, v13, s6, -v16
	v_rndne_f32_e32 v19, v16
	v_fma_f32 v20, v15, s6, -v17
	v_rndne_f32_e32 v21, v17
	v_fmac_f32_e32 v18, 0x32a5705f, v13
	v_sub_f32_e32 v16, v16, v19
	v_fmac_f32_e32 v20, 0x32a5705f, v15
	v_sub_f32_e32 v17, v17, v21
	v_add_f32_e32 v16, v16, v18
	v_cvt_i32_f32_e32 v19, v19
	v_add_f32_e32 v17, v17, v20
	v_exp_f32_e32 v16, v16
	v_cvt_i32_f32_e32 v21, v21
	v_exp_f32_e32 v17, v17
	v_cmp_ngt_f32_e32 vcc, s7, v13
	v_ldexp_f32 v16, v16, v19
	v_cndmask_b32_e32 v16, 0, v16, vcc
	v_ldexp_f32 v17, v17, v21
	v_cmp_ngt_f32_e32 vcc, s7, v15
	v_cndmask_b32_e32 v17, 0, v17, vcc
	v_cmp_nlt_f32_e32 vcc, s12, v13
	v_cndmask_b32_e32 v16, v12, v16, vcc
	v_cmp_nlt_f32_e32 vcc, s12, v15
	v_cndmask_b32_e32 v17, v12, v17, vcc
	v_cmp_le_f32_e32 vcc, s13, v13
	v_cndmask_b32_e32 v16, 0, v16, vcc
	v_cmp_le_f32_e32 vcc, s13, v15
	v_cndmask_b32_e32 v15, 0, v17, vcc
	v_mul_f32_e32 v13, s5, v15
	v_fmac_f32_e32 v13, v6, v16
	s_waitcnt vmcnt(0)
	v_mul_f32_e32 v14, v14, v15
	v_fmac_f32_e32 v14, v5, v16
	s_cbranch_execnz .LBB32_19
.LBB32_18:
	s_add_i32 s11, s8, -1
	s_mov_b64 s[0:1], 0
	v_mov_b32_e32 v0, v8
	v_mov_b32_e32 v13, v6
	v_mov_b32_e32 v1, v7
	s_waitcnt vmcnt(0)
	v_mov_b32_e32 v14, v5
.LBB32_19:
	s_andn2_b64 vcc, exec, s[0:1]
	s_cbranch_vccz .LBB32_23
; %bb.20:
	v_mov_b32_e32 v8, v0
	s_mov_b32 s8, s11
	v_mov_b32_e32 v6, v13
	v_mov_b32_e32 v7, v1
	s_waitcnt vmcnt(0)
	v_mov_b32_e32 v5, v14
	s_mul_hi_i32 s11, s8, s15
	s_cmp_lg_u64 s[10:11], 0
	s_mul_i32 s4, s8, s15
	s_cbranch_scc1 .LBB32_9
	s_branch .LBB32_15
.LBB32_21:
                                        ; implicit-def: $sgpr20_sgpr21
	s_load_dwordx4 s[16:19], s[4:5], 0x44
	s_branch .LBB32_2
.LBB32_22:
                                        ; implicit-def: $vgpr2_vgpr3
	s_branch .LBB32_5
.LBB32_23:
	v_div_scale_f32 v0, s[0:1], v13, v13, v14
	v_rcp_f32_e32 v1, v0
	v_div_scale_f32 v4, vcc, v14, v13, v14
	s_waitcnt vmcnt(0)
	v_fma_f32 v5, -v0, v1, 1.0
	v_fmac_f32_e32 v1, v5, v1
	v_mul_f32_e32 v5, v4, v1
	v_fma_f32 v6, -v0, v5, v4
	v_fmac_f32_e32 v5, v6, v1
	v_fma_f32 v0, -v0, v5, v4
	v_div_fmas_f32 v0, v0, v1, v5
	v_div_fixup_f32 v0, v0, v13, v14
	global_store_dword v[2:3], v0, off
.LBB32_24:
	s_endpgm
	.section	.rodata,"a",@progbits
	.p2align	6, 0x0
	.amdhsa_kernel _ZL33flash_attn_stream_k_fixup_generalILi256ELi16ELi1EEvPfPK15HIP_vector_typeIfLj2EEiiiiS1_IjLj3EES5_S5_S5_
		.amdhsa_group_segment_fixed_size 0
		.amdhsa_private_segment_fixed_size 0
		.amdhsa_kernarg_size 336
		.amdhsa_user_sgpr_count 6
		.amdhsa_user_sgpr_private_segment_buffer 1
		.amdhsa_user_sgpr_dispatch_ptr 0
		.amdhsa_user_sgpr_queue_ptr 0
		.amdhsa_user_sgpr_kernarg_segment_ptr 1
		.amdhsa_user_sgpr_dispatch_id 0
		.amdhsa_user_sgpr_flat_scratch_init 0
		.amdhsa_user_sgpr_kernarg_preload_length 0
		.amdhsa_user_sgpr_kernarg_preload_offset 0
		.amdhsa_user_sgpr_private_segment_size 0
		.amdhsa_uses_dynamic_stack 0
		.amdhsa_system_sgpr_private_segment_wavefront_offset 0
		.amdhsa_system_sgpr_workgroup_id_x 1
		.amdhsa_system_sgpr_workgroup_id_y 1
		.amdhsa_system_sgpr_workgroup_id_z 1
		.amdhsa_system_sgpr_workgroup_info 0
		.amdhsa_system_vgpr_workitem_id 0
		.amdhsa_next_free_vgpr 22
		.amdhsa_next_free_sgpr 32
		.amdhsa_accum_offset 24
		.amdhsa_reserve_vcc 1
		.amdhsa_reserve_flat_scratch 0
		.amdhsa_float_round_mode_32 0
		.amdhsa_float_round_mode_16_64 0
		.amdhsa_float_denorm_mode_32 3
		.amdhsa_float_denorm_mode_16_64 3
		.amdhsa_dx10_clamp 1
		.amdhsa_ieee_mode 1
		.amdhsa_fp16_overflow 0
		.amdhsa_tg_split 0
		.amdhsa_exception_fp_ieee_invalid_op 0
		.amdhsa_exception_fp_denorm_src 0
		.amdhsa_exception_fp_ieee_div_zero 0
		.amdhsa_exception_fp_ieee_overflow 0
		.amdhsa_exception_fp_ieee_underflow 0
		.amdhsa_exception_fp_ieee_inexact 0
		.amdhsa_exception_int_div_zero 0
	.end_amdhsa_kernel
	.section	.text._ZL33flash_attn_stream_k_fixup_generalILi256ELi16ELi1EEvPfPK15HIP_vector_typeIfLj2EEiiiiS1_IjLj3EES5_S5_S5_,"axG",@progbits,_ZL33flash_attn_stream_k_fixup_generalILi256ELi16ELi1EEvPfPK15HIP_vector_typeIfLj2EEiiiiS1_IjLj3EES5_S5_S5_,comdat
.Lfunc_end32:
	.size	_ZL33flash_attn_stream_k_fixup_generalILi256ELi16ELi1EEvPfPK15HIP_vector_typeIfLj2EEiiiiS1_IjLj3EES5_S5_S5_, .Lfunc_end32-_ZL33flash_attn_stream_k_fixup_generalILi256ELi16ELi1EEvPfPK15HIP_vector_typeIfLj2EEiiiiS1_IjLj3EES5_S5_S5_
                                        ; -- End function
	.section	.AMDGPU.csdata,"",@progbits
; Kernel info:
; codeLenInByte = 2816
; NumSgprs: 36
; NumVgprs: 22
; NumAgprs: 0
; TotalNumVgprs: 22
; ScratchSize: 0
; MemoryBound: 0
; FloatMode: 240
; IeeeMode: 1
; LDSByteSize: 0 bytes/workgroup (compile time only)
; SGPRBlocks: 4
; VGPRBlocks: 2
; NumSGPRsForWavesPerEU: 36
; NumVGPRsForWavesPerEU: 22
; AccumOffset: 24
; Occupancy: 8
; WaveLimiterHint : 0
; COMPUTE_PGM_RSRC2:SCRATCH_EN: 0
; COMPUTE_PGM_RSRC2:USER_SGPR: 6
; COMPUTE_PGM_RSRC2:TRAP_HANDLER: 0
; COMPUTE_PGM_RSRC2:TGID_X_EN: 1
; COMPUTE_PGM_RSRC2:TGID_Y_EN: 1
; COMPUTE_PGM_RSRC2:TGID_Z_EN: 1
; COMPUTE_PGM_RSRC2:TIDIG_COMP_CNT: 0
; COMPUTE_PGM_RSRC3_GFX90A:ACCUM_OFFSET: 5
; COMPUTE_PGM_RSRC3_GFX90A:TG_SPLIT: 0
	.section	.text._ZL26flash_attn_combine_resultsILi256EEvPKfPK15HIP_vector_typeIfLj2EEPfi,"axG",@progbits,_ZL26flash_attn_combine_resultsILi256EEvPKfPK15HIP_vector_typeIfLj2EEPfi,comdat
	.globl	_ZL26flash_attn_combine_resultsILi256EEvPKfPK15HIP_vector_typeIfLj2EEPfi ; -- Begin function _ZL26flash_attn_combine_resultsILi256EEvPKfPK15HIP_vector_typeIfLj2EEPfi
	.p2align	8
	.type	_ZL26flash_attn_combine_resultsILi256EEvPKfPK15HIP_vector_typeIfLj2EEPfi,@function
_ZL26flash_attn_combine_resultsILi256EEvPKfPK15HIP_vector_typeIfLj2EEPfi: ; @_ZL26flash_attn_combine_resultsILi256EEvPKfPK15HIP_vector_typeIfLj2EEPfi
; %bb.0:
	s_load_dwordx2 s[10:11], s[4:5], 0x20
	s_load_dword s17, s[4:5], 0x18
	s_load_dwordx4 s[0:3], s[4:5], 0x0
	s_load_dwordx2 s[14:15], s[4:5], 0x10
	s_waitcnt lgkmcnt(0)
	s_mul_i32 s4, s10, s8
	s_add_i32 s4, s4, s6
	s_mul_i32 s16, s4, s11
	s_add_i32 s16, s16, s7
	s_lshl_b32 s18, s17, 1
	s_mul_i32 s4, s16, s17
	v_cmp_gt_i32_e32 vcc, s18, v0
	s_and_saveexec_b64 s[6:7], vcc
	s_cbranch_execz .LBB33_13
; %bb.1:
	v_xad_u32 v1, v0, -1, s18
	s_movk_i32 s8, 0xff
	s_ashr_i32 s5, s4, 31
	v_cmp_lt_u32_e32 vcc, s8, v1
	s_mov_b64 s[10:11], -1
	v_mov_b32_e32 v2, v0
	s_and_saveexec_b64 s[8:9], vcc
	s_cbranch_execz .LBB33_10
; %bb.2:
	v_lshrrev_b32_e32 v6, 8, v1
	s_lshl_b64 s[10:11], s[4:5], 3
	v_add_u32_e32 v2, -1, v6
	s_add_u32 s19, s2, s10
	v_or_b32_e32 v1, 0x100, v0
	v_lshrrev_b32_e32 v3, 1, v2
	s_addc_u32 s20, s3, s11
	v_add_u32_e32 v7, 1, v3
	v_cmp_lt_u32_e32 vcc, 13, v2
	v_mov_b32_e32 v4, 0
	v_pk_mov_b32 v[2:3], v[0:1], v[0:1] op_sel:[0,1]
	s_and_saveexec_b64 s[10:11], vcc
	s_cbranch_execz .LBB33_6
; %bb.3:
	v_and_b32_e32 v8, -8, v7
	s_mov_b32 s21, 0
	v_lshl_add_u32 v9, v0, 2, 0
	s_mov_b64 s[12:13], 0
	v_mov_b32_e32 v10, s20
	v_mov_b32_e32 v5, 0
	v_pk_mov_b32 v[2:3], v[0:1], v[0:1] op_sel:[0,1]
.LBB33_4:                               ; =>This Inner Loop Header: Depth=1
	v_mov_b32_e32 v4, v2
	v_lshlrev_b64 v[26:27], 2, v[4:5]
	v_add_u32_e32 v12, 0x200, v3
	v_mov_b32_e32 v13, v5
	v_add_co_u32_e32 v26, vcc, s19, v26
	v_lshlrev_b64 v[12:13], 2, v[12:13]
	v_addc_co_u32_e32 v27, vcc, v10, v27, vcc
	v_add_u32_e32 v14, 0x400, v3
	v_mov_b32_e32 v15, v5
	v_add_co_u32_e32 v12, vcc, s19, v12
	v_lshlrev_b64 v[14:15], 2, v[14:15]
	v_addc_co_u32_e32 v13, vcc, v10, v13, vcc
	;; [unrolled: 5-line block ×7, first 2 shown]
	v_mov_b32_e32 v4, v3
	v_add_co_u32_e32 v24, vcc, s19, v24
	v_lshlrev_b64 v[28:29], 2, v[4:5]
	v_addc_co_u32_e32 v25, vcc, v10, v25, vcc
	v_add_u32_e32 v4, 0x200, v2
	v_add_co_u32_e32 v28, vcc, s19, v28
	v_addc_co_u32_e32 v29, vcc, v10, v29, vcc
	global_load_dword v1, v[26:27], off
	v_lshlrev_b64 v[26:27], 2, v[4:5]
	v_add_u32_e32 v4, 0x400, v2
	v_add_co_u32_e32 v26, vcc, s19, v26
	v_addc_co_u32_e32 v27, vcc, v10, v27, vcc
	v_lshlrev_b64 v[30:31], 2, v[4:5]
	v_add_u32_e32 v4, 0x600, v2
	global_load_dword v11, v[28:29], off
	global_load_dword v32, v[26:27], off
	;; [unrolled: 1-line block ×3, first 2 shown]
	v_add_co_u32_e32 v12, vcc, s19, v30
	v_addc_co_u32_e32 v13, vcc, v10, v31, vcc
	v_lshlrev_b64 v[26:27], 2, v[4:5]
	v_add_u32_e32 v4, 0x800, v2
	v_add_co_u32_e32 v26, vcc, s19, v26
	v_addc_co_u32_e32 v27, vcc, v10, v27, vcc
	v_lshlrev_b64 v[28:29], 2, v[4:5]
	v_add_u32_e32 v4, 0xa00, v2
	global_load_dword v30, v[12:13], off
	global_load_dword v31, v[14:15], off
	;; [unrolled: 1-line block ×4, first 2 shown]
	v_add_co_u32_e32 v12, vcc, s19, v28
	v_addc_co_u32_e32 v13, vcc, v10, v29, vcc
	v_lshlrev_b64 v[14:15], 2, v[4:5]
	v_add_u32_e32 v4, 0xc00, v2
	v_add_co_u32_e32 v14, vcc, s19, v14
	v_addc_co_u32_e32 v15, vcc, v10, v15, vcc
	v_lshlrev_b64 v[16:17], 2, v[4:5]
	v_add_u32_e32 v4, 0xe00, v2
	global_load_dword v26, v[12:13], off
	global_load_dword v27, v[18:19], off
	;; [unrolled: 1-line block ×4, first 2 shown]
	v_add_co_u32_e32 v12, vcc, s19, v16
	v_addc_co_u32_e32 v13, vcc, v10, v17, vcc
	v_lshlrev_b64 v[14:15], 2, v[4:5]
	v_add_co_u32_e32 v14, vcc, s19, v14
	v_addc_co_u32_e32 v15, vcc, v10, v15, vcc
	global_load_dword v16, v[12:13], off
	global_load_dword v17, v[22:23], off
	;; [unrolled: 1-line block ×4, first 2 shown]
	v_add_u32_e32 v8, -8, v8
	s_add_i32 s21, s21, 16
	v_cmp_eq_u32_e32 vcc, 0, v8
	v_add_u32_e32 v3, 0x1000, v3
	v_mov_b32_e32 v4, s21
	s_or_b64 s[12:13], vcc, s[12:13]
	v_add_u32_e32 v2, 0x1000, v2
	s_waitcnt vmcnt(14)
	ds_write2st64_b32 v9, v1, v11 offset1:4
	s_waitcnt vmcnt(12)
	ds_write2st64_b32 v9, v32, v33 offset0:8 offset1:12
	s_waitcnt vmcnt(10)
	ds_write2st64_b32 v9, v30, v31 offset0:16 offset1:20
	;; [unrolled: 2-line block ×7, first 2 shown]
	v_add_u32_e32 v9, 0x4000, v9
	s_andn2_b64 exec, exec, s[12:13]
	s_cbranch_execnz .LBB33_4
; %bb.5:
	s_or_b64 exec, exec, s[12:13]
.LBB33_6:
	s_or_b64 exec, exec, s[10:11]
	v_and_b32_e32 v1, 7, v7
	v_cmp_ne_u32_e32 vcc, 0, v1
	s_and_saveexec_b64 s[10:11], vcc
	s_cbranch_execz .LBB33_9
; %bb.7:
	v_lshlrev_b32_e32 v5, 2, v0
	v_lshl_or_b32 v4, v4, 10, v5
	v_add_u32_e32 v7, 0, v4
	s_mov_b64 s[12:13], 0
	v_mov_b32_e32 v8, s20
	v_mov_b32_e32 v5, 0
.LBB33_8:                               ; =>This Inner Loop Header: Depth=1
	v_mov_b32_e32 v4, v2
	v_lshlrev_b64 v[10:11], 2, v[4:5]
	v_mov_b32_e32 v4, v3
	v_add_co_u32_e32 v10, vcc, s19, v10
	v_addc_co_u32_e32 v11, vcc, v8, v11, vcc
	v_lshlrev_b64 v[12:13], 2, v[4:5]
	v_add_co_u32_e32 v12, vcc, s19, v12
	v_addc_co_u32_e32 v13, vcc, v8, v13, vcc
	global_load_dword v4, v[10:11], off
	global_load_dword v9, v[12:13], off
	v_add_u32_e32 v1, -1, v1
	v_cmp_eq_u32_e32 vcc, 0, v1
	v_add_u32_e32 v2, 0x200, v2
	v_add_u32_e32 v3, 0x200, v3
	s_or_b64 s[12:13], vcc, s[12:13]
	s_waitcnt vmcnt(0)
	ds_write2st64_b32 v7, v4, v9 offset1:4
	v_add_u32_e32 v7, 0x800, v7
	s_andn2_b64 exec, exec, s[12:13]
	s_cbranch_execnz .LBB33_8
.LBB33_9:
	s_or_b64 exec, exec, s[10:11]
	v_add_u32_e32 v1, 1, v6
	v_and_b32_e32 v3, 0x1fffffe, v1
	v_cmp_ne_u32_e32 vcc, v1, v3
	v_lshl_or_b32 v2, v3, 8, v0
	s_orn2_b64 s[10:11], vcc, exec
.LBB33_10:
	s_or_b64 exec, exec, s[8:9]
	s_and_b64 exec, exec, s[10:11]
	s_cbranch_execz .LBB33_13
; %bb.11:
	s_lshl_b64 s[8:9], s[4:5], 3
	v_mov_b32_e32 v3, 0
	s_add_u32 s2, s2, s8
	v_lshlrev_b64 v[4:5], 2, v[2:3]
	s_addc_u32 s3, s3, s9
	v_mov_b32_e32 v1, s3
	v_add_co_u32_e32 v4, vcc, s2, v4
	v_addc_co_u32_e32 v5, vcc, v1, v5, vcc
	v_lshl_add_u32 v1, v2, 2, 0
	s_mov_b64 s[2:3], 0
.LBB33_12:                              ; =>This Inner Loop Header: Depth=1
	global_load_dword v3, v[4:5], off
	v_add_co_u32_e32 v4, vcc, 0x400, v4
	v_add_u32_e32 v2, 0x100, v2
	v_addc_co_u32_e32 v5, vcc, 0, v5, vcc
	v_cmp_le_i32_e32 vcc, s18, v2
	s_or_b64 s[2:3], vcc, s[2:3]
	s_waitcnt vmcnt(0)
	ds_write_b32 v1, v3
	v_add_u32_e32 v1, 0x400, v1
	s_andn2_b64 exec, exec, s[2:3]
	s_cbranch_execnz .LBB33_12
.LBB33_13:
	s_or_b64 exec, exec, s[6:7]
	v_mov_b32_e32 v1, 0
	s_waitcnt lgkmcnt(0)
	s_barrier
	ds_read_b32 v1, v1
	s_cmp_lt_i32 s17, 2
	s_cbranch_scc1 .LBB33_21
; %bb.14:
	s_add_i32 s2, s17, -1
	s_add_i32 s3, s17, -2
	s_cmp_lt_u32 s3, 7
	s_cbranch_scc1 .LBB33_18
; %bb.15:
	s_mov_b32 s6, 0
	s_add_i32 s3, 0, 8
	s_and_b32 s5, s2, -8
.LBB33_16:                              ; =>This Inner Loop Header: Depth=1
	v_mov_b32_e32 v8, s3
	ds_read2_b32 v[2:3], v8 offset1:2
	ds_read2_b32 v[4:5], v8 offset0:4 offset1:6
	ds_read2_b32 v[6:7], v8 offset0:8 offset1:10
	;; [unrolled: 1-line block ×3, first 2 shown]
	s_mov_b32 s7, s6
	s_waitcnt lgkmcnt(3)
	v_max3_f32 v1, v1, v2, v3
	s_waitcnt lgkmcnt(2)
	v_max3_f32 v1, v1, v4, v5
	s_add_i32 s3, s3, 64
	s_add_i32 s6, s6, 8
	s_waitcnt lgkmcnt(1)
	v_max3_f32 v1, v1, v6, v7
	s_cmp_eq_u32 s5, s6
	s_waitcnt lgkmcnt(0)
	v_max3_f32 v1, v1, v8, v9
	s_cbranch_scc0 .LBB33_16
; %bb.17:
	s_add_i32 s3, s7, 9
	s_and_b32 s2, s2, 7
	s_cmp_eq_u32 s2, 0
	s_cbranch_scc0 .LBB33_19
	s_branch .LBB33_21
.LBB33_18:
	s_mov_b32 s3, 1
	s_and_b32 s2, s2, 7
	s_cmp_eq_u32 s2, 0
	s_cbranch_scc1 .LBB33_21
.LBB33_19:
	s_lshl_b32 s3, s3, 3
	s_add_i32 s3, s3, 0
.LBB33_20:                              ; =>This Inner Loop Header: Depth=1
	v_mov_b32_e32 v2, s3
	ds_read_b32 v2, v2
	s_waitcnt lgkmcnt(1)
	v_max_f32_e32 v1, v1, v1
	s_add_i32 s3, s3, 8
	s_add_i32 s2, s2, -1
	s_cmp_lg_u32 s2, 0
	s_waitcnt lgkmcnt(0)
	v_max_f32_e32 v2, v2, v2
	v_max_f32_e32 v1, v1, v2
	s_cbranch_scc1 .LBB33_20
.LBB33_21:
	s_cmp_lt_i32 s17, 1
	s_cbranch_scc1 .LBB33_26
; %bb.22:
	s_lshl_b32 s2, s4, 8
	s_ashr_i32 s3, s2, 31
	s_lshl_b64 s[2:3], s[2:3], 2
	s_add_u32 s18, s0, s2
	s_addc_u32 s19, s1, s3
	s_cmp_lt_u32 s17, 8
	v_mov_b32_e32 v6, 0
	s_cbranch_scc1 .LBB33_27
; %bb.23:
	s_and_b32 s20, s17, 0x7ffffff8
	v_or_b32_e32 v2, 0x700, v0
	s_mov_b32 s21, 0
	v_mov_b32_e32 v5, 0
	s_mov_b32 s22, 0x3fb8aa3b
	s_mov_b32 s23, 0xc2ce8ed0
	;; [unrolled: 1-line block ×3, first 2 shown]
	v_mov_b32_e32 v8, 0x7f800000
	v_mov_b32_e32 v9, s19
	s_mov_b32 s25, 0
	v_mov_b32_e32 v7, 0
	v_mov_b32_e32 v6, 0
.LBB33_24:                              ; =>This Inner Loop Header: Depth=1
	v_add_u32_e32 v4, 0xfffff900, v2
	v_lshlrev_b64 v[26:27], 2, v[4:5]
	v_mov_b32_e32 v3, v5
	v_add_co_u32_e32 v26, vcc, s18, v26
	v_lshlrev_b64 v[28:29], 2, v[2:3]
	v_addc_co_u32_e32 v27, vcc, v9, v27, vcc
	v_add_u32_e32 v4, 0xfffffa00, v2
	v_add_co_u32_e32 v28, vcc, s18, v28
	v_mov_b32_e32 v22, s21
	v_lshlrev_b64 v[30:31], 2, v[4:5]
	v_addc_co_u32_e32 v29, vcc, v9, v29, vcc
	ds_read2_b64 v[10:13], v22 offset1:1
	ds_read2_b64 v[14:17], v22 offset0:2 offset1:3
	ds_read2_b64 v[18:21], v22 offset0:4 offset1:5
	;; [unrolled: 1-line block ×3, first 2 shown]
	v_add_u32_e32 v4, 0xfffffb00, v2
	global_load_dword v3, v[26:27], off
	v_add_co_u32_e32 v26, vcc, s18, v30
	v_addc_co_u32_e32 v27, vcc, v9, v31, vcc
	v_lshlrev_b64 v[30:31], 2, v[4:5]
	v_add_u32_e32 v4, 0xfffffc00, v2
	v_add_co_u32_e32 v30, vcc, s18, v30
	v_addc_co_u32_e32 v31, vcc, v9, v31, vcc
	v_lshlrev_b64 v[32:33], 2, v[4:5]
	v_add_u32_e32 v4, 0xfffffd00, v2
	global_load_dword v34, v[26:27], off
	global_load_dword v35, v[30:31], off
	v_add_co_u32_e32 v26, vcc, s18, v32
	v_addc_co_u32_e32 v27, vcc, v9, v33, vcc
	v_lshlrev_b64 v[30:31], 2, v[4:5]
	v_add_u32_e32 v4, 0xfffffe00, v2
	v_add_co_u32_e32 v30, vcc, s18, v30
	v_addc_co_u32_e32 v31, vcc, v9, v31, vcc
	v_lshlrev_b64 v[32:33], 2, v[4:5]
	global_load_dword v36, v[26:27], off
	v_add_u32_e32 v4, 0xffffff00, v2
	global_load_dword v28, v[28:29], off
	v_add_co_u32_e32 v26, vcc, s18, v32
	v_addc_co_u32_e32 v27, vcc, v9, v33, vcc
	global_load_dword v42, v[30:31], off
	s_waitcnt lgkmcnt(3)
	v_sub_f32_e32 v12, v12, v1
	global_load_dword v26, v[26:27], off
	v_lshlrev_b64 v[30:31], 2, v[4:5]
	v_add_co_u32_e32 v30, vcc, s18, v30
	v_addc_co_u32_e32 v31, vcc, v9, v31, vcc
	global_load_dword v30, v[30:31], off
	s_waitcnt lgkmcnt(2)
	v_sub_f32_e32 v14, v14, v1
	v_sub_f32_e32 v10, v10, v1
	v_mul_f32_e32 v38, 0x3fb8aa3b, v12
	v_mul_f32_e32 v39, 0x3fb8aa3b, v14
	s_waitcnt lgkmcnt(1)
	v_sub_f32_e32 v18, v18, v1
	s_waitcnt lgkmcnt(0)
	v_sub_f32_e32 v22, v22, v1
	v_mul_f32_e32 v37, 0x3fb8aa3b, v10
	v_fma_f32 v45, v12, s22, -v38
	v_rndne_f32_e32 v46, v38
	v_fma_f32 v47, v14, s22, -v39
	v_rndne_f32_e32 v48, v39
	v_sub_f32_e32 v16, v16, v1
	v_sub_f32_e32 v20, v20, v1
	v_mul_f32_e32 v41, 0x3fb8aa3b, v18
	v_mul_f32_e32 v32, 0x3fb8aa3b, v22
	v_fma_f32 v33, v10, s22, -v37
	v_rndne_f32_e32 v44, v37
	v_fmac_f32_e32 v45, 0x32a5705f, v12
	v_sub_f32_e32 v38, v38, v46
	v_fmac_f32_e32 v47, 0x32a5705f, v14
	v_sub_f32_e32 v39, v39, v48
	v_mul_f32_e32 v40, 0x3fb8aa3b, v16
	v_mul_f32_e32 v43, 0x3fb8aa3b, v20
	v_fma_f32 v27, v18, s22, -v41
	v_rndne_f32_e32 v31, v41
	v_fmac_f32_e32 v33, 0x32a5705f, v10
	v_sub_f32_e32 v37, v37, v44
	v_add_f32_e32 v38, v38, v45
	v_fma_f32 v45, v22, s22, -v32
	v_add_f32_e32 v39, v39, v47
	v_rndne_f32_e32 v47, v32
	v_fma_f32 v49, v16, s22, -v40
	v_rndne_f32_e32 v50, v40
	v_fma_f32 v29, v20, s22, -v43
	v_add_f32_e32 v33, v37, v33
	v_rndne_f32_e32 v37, v43
	v_fmac_f32_e32 v27, 0x32a5705f, v18
	v_sub_f32_e32 v41, v41, v31
	v_fmac_f32_e32 v45, 0x32a5705f, v22
	v_sub_f32_e32 v32, v32, v47
	;; [unrolled: 2-line block ×3, first 2 shown]
	v_add_f32_e32 v27, v41, v27
	v_cvt_i32_f32_e32 v44, v44
	v_fmac_f32_e32 v29, 0x32a5705f, v20
	v_sub_f32_e32 v43, v43, v37
	v_add_f32_e32 v32, v32, v45
	v_exp_f32_e32 v33, v33
	v_add_f32_e32 v40, v40, v49
	v_cvt_i32_f32_e32 v46, v46
	v_cvt_i32_f32_e32 v31, v31
	v_cvt_i32_f32_e32 v47, v47
	v_add_f32_e32 v29, v43, v29
	v_exp_f32_e32 v38, v38
	v_exp_f32_e32 v27, v27
	;; [unrolled: 1-line block ×3, first 2 shown]
	v_sub_f32_e32 v24, v24, v1
	v_cvt_i32_f32_e32 v48, v48
	v_cvt_i32_f32_e32 v50, v50
	;; [unrolled: 1-line block ×3, first 2 shown]
	v_exp_f32_e32 v39, v39
	v_exp_f32_e32 v40, v40
	;; [unrolled: 1-line block ×3, first 2 shown]
	v_mul_f32_e32 v4, 0x3fb8aa3b, v24
	v_fma_f32 v49, v24, s22, -v4
	v_rndne_f32_e32 v41, v4
	v_ldexp_f32 v33, v33, v44
	v_cmp_ngt_f32_e64 s[12:13], s23, v10
	v_fmac_f32_e32 v49, 0x32a5705f, v24
	v_sub_f32_e32 v4, v4, v41
	v_ldexp_f32 v38, v38, v46
	v_cmp_ngt_f32_e32 vcc, s23, v12
	v_ldexp_f32 v27, v27, v31
	v_ldexp_f32 v31, v32, v47
	v_cndmask_b32_e64 v32, 0, v33, s[12:13]
	v_cmp_nlt_f32_e64 s[12:13], s24, v10
	v_add_f32_e32 v4, v4, v49
	v_ldexp_f32 v39, v39, v48
	v_cmp_ngt_f32_e64 s[0:1], s23, v14
	v_ldexp_f32 v40, v40, v50
	v_cmp_ngt_f32_e64 s[2:3], s23, v16
	v_cmp_ngt_f32_e64 s[4:5], s23, v18
	v_ldexp_f32 v29, v29, v37
	v_cmp_ngt_f32_e64 s[6:7], s23, v20
	v_cmp_ngt_f32_e64 s[8:9], s23, v22
	v_cndmask_b32_e32 v33, 0, v38, vcc
	v_cmp_nlt_f32_e32 vcc, s24, v12
	v_cndmask_b32_e64 v10, v8, v32, s[12:13]
	v_cvt_i32_f32_e32 v41, v41
	v_exp_f32_e32 v4, v4
	v_cndmask_b32_e64 v12, 0, v39, s[0:1]
	v_cmp_nlt_f32_e64 s[0:1], s24, v14
	v_cndmask_b32_e64 v14, 0, v40, s[2:3]
	v_cmp_nlt_f32_e64 s[2:3], s24, v16
	;; [unrolled: 2-line block ×5, first 2 shown]
	v_cndmask_b32_e32 v22, v8, v33, vcc
	v_fmac_f32_e32 v7, v10, v11
	s_waitcnt vmcnt(7)
	v_fmac_f32_e32 v6, v3, v10
	v_cndmask_b32_e64 v12, v8, v12, s[0:1]
	v_fmac_f32_e32 v7, v22, v13
	s_waitcnt vmcnt(6)
	v_fmac_f32_e32 v6, v34, v22
	v_cndmask_b32_e64 v14, v8, v14, s[2:3]
	;; [unrolled: 4-line block ×3, first 2 shown]
	v_fmac_f32_e32 v7, v14, v17
	s_waitcnt vmcnt(4)
	v_fmac_f32_e32 v6, v36, v14
	v_ldexp_f32 v4, v4, v41
	v_cmp_ngt_f32_e64 s[10:11], s23, v24
	v_cndmask_b32_e64 v18, v8, v18, s[6:7]
	v_fmac_f32_e32 v7, v16, v19
	s_waitcnt vmcnt(2)
	v_fmac_f32_e32 v6, v42, v16
	v_cndmask_b32_e64 v4, 0, v4, s[10:11]
	v_cmp_nlt_f32_e64 s[10:11], s24, v24
	v_cndmask_b32_e64 v20, v8, v20, s[8:9]
	v_fmac_f32_e32 v7, v18, v21
	s_waitcnt vmcnt(1)
	v_fmac_f32_e32 v6, v26, v18
	s_add_i32 s25, s25, 8
	s_add_i32 s21, s21, 64
	v_cndmask_b32_e64 v4, v8, v4, s[10:11]
	v_fmac_f32_e32 v7, v20, v23
	s_waitcnt vmcnt(0)
	v_fmac_f32_e32 v6, v30, v20
	s_cmp_eq_u32 s20, s25
	v_add_u32_e32 v2, 0x800, v2
	v_fmac_f32_e32 v7, v4, v25
	v_fmac_f32_e32 v6, v28, v4
	s_cbranch_scc0 .LBB33_24
; %bb.25:
	s_and_b32 s0, s17, 7
	s_cmp_eq_u32 s0, 0
	s_cbranch_scc0 .LBB33_28
	s_branch .LBB33_30
.LBB33_26:
	s_waitcnt lgkmcnt(0)
	v_mov_b32_e32 v1, 0x7fc00000
	s_branch .LBB33_31
.LBB33_27:
	s_mov_b32 s20, 0
	v_mov_b32_e32 v7, 0
	s_and_b32 s0, s17, 7
	s_cmp_eq_u32 s0, 0
	s_cbranch_scc1 .LBB33_30
.LBB33_28:
	s_lshl_b32 s1, s20, 3
	v_lshl_or_b32 v2, s20, 8, v0
	s_add_i32 s1, s1, 0
	s_mov_b32 s2, 0x3fb8aa3b
	s_mov_b32 s3, 0xc2ce8ed0
	;; [unrolled: 1-line block ×3, first 2 shown]
	v_mov_b32_e32 v4, 0x7f800000
	v_mov_b32_e32 v3, 0
	v_mov_b32_e32 v5, s19
.LBB33_29:                              ; =>This Inner Loop Header: Depth=1
	v_lshlrev_b64 v[8:9], 2, v[2:3]
	v_add_co_u32_e32 v8, vcc, s18, v8
	v_addc_co_u32_e32 v9, vcc, v5, v9, vcc
	global_load_dword v10, v[8:9], off
	v_mov_b32_e32 v8, s1
	ds_read_b64 v[8:9], v8
	s_add_i32 s1, s1, 8
	s_add_i32 s0, s0, -1
	v_add_u32_e32 v2, 0x100, v2
	s_cmp_lg_u32 s0, 0
	s_waitcnt lgkmcnt(0)
	v_sub_f32_e32 v8, v8, v1
	v_mul_f32_e32 v11, 0x3fb8aa3b, v8
	v_fma_f32 v12, v8, s2, -v11
	v_rndne_f32_e32 v13, v11
	v_fmac_f32_e32 v12, 0x32a5705f, v8
	v_sub_f32_e32 v11, v11, v13
	v_add_f32_e32 v11, v11, v12
	v_cvt_i32_f32_e32 v13, v13
	v_exp_f32_e32 v11, v11
	v_cmp_ngt_f32_e32 vcc, s3, v8
	v_ldexp_f32 v11, v11, v13
	v_cndmask_b32_e32 v11, 0, v11, vcc
	v_cmp_nlt_f32_e32 vcc, s4, v8
	v_cndmask_b32_e32 v8, v4, v11, vcc
	v_fmac_f32_e32 v7, v8, v9
	s_waitcnt vmcnt(0)
	v_fmac_f32_e32 v6, v10, v8
	s_cbranch_scc1 .LBB33_29
.LBB33_30:
	s_waitcnt lgkmcnt(0)
	v_div_scale_f32 v1, s[0:1], v7, v7, v6
	v_rcp_f32_e32 v2, v1
	v_div_scale_f32 v3, vcc, v6, v7, v6
	v_fma_f32 v4, -v1, v2, 1.0
	v_fmac_f32_e32 v2, v4, v2
	v_mul_f32_e32 v4, v3, v2
	v_fma_f32 v5, -v1, v4, v3
	v_fmac_f32_e32 v4, v5, v2
	v_fma_f32 v1, -v1, v4, v3
	v_div_fmas_f32 v1, v1, v2, v4
	v_div_fixup_f32 v1, v1, v7, v6
.LBB33_31:
	s_lshl_b32 s0, s16, 8
	s_ashr_i32 s1, s0, 31
	s_lshl_b64 s[0:1], s[0:1], 2
	s_add_u32 s0, s14, s0
	s_addc_u32 s1, s15, s1
	v_lshlrev_b32_e32 v0, 2, v0
	global_store_dword v0, v1, s[0:1]
	s_endpgm
	.section	.rodata,"a",@progbits
	.p2align	6, 0x0
	.amdhsa_kernel _ZL26flash_attn_combine_resultsILi256EEvPKfPK15HIP_vector_typeIfLj2EEPfi
		.amdhsa_group_segment_fixed_size 0
		.amdhsa_private_segment_fixed_size 0
		.amdhsa_kernarg_size 288
		.amdhsa_user_sgpr_count 6
		.amdhsa_user_sgpr_private_segment_buffer 1
		.amdhsa_user_sgpr_dispatch_ptr 0
		.amdhsa_user_sgpr_queue_ptr 0
		.amdhsa_user_sgpr_kernarg_segment_ptr 1
		.amdhsa_user_sgpr_dispatch_id 0
		.amdhsa_user_sgpr_flat_scratch_init 0
		.amdhsa_user_sgpr_kernarg_preload_length 0
		.amdhsa_user_sgpr_kernarg_preload_offset 0
		.amdhsa_user_sgpr_private_segment_size 0
		.amdhsa_uses_dynamic_stack 0
		.amdhsa_system_sgpr_private_segment_wavefront_offset 0
		.amdhsa_system_sgpr_workgroup_id_x 1
		.amdhsa_system_sgpr_workgroup_id_y 1
		.amdhsa_system_sgpr_workgroup_id_z 1
		.amdhsa_system_sgpr_workgroup_info 0
		.amdhsa_system_vgpr_workitem_id 0
		.amdhsa_next_free_vgpr 51
		.amdhsa_next_free_sgpr 26
		.amdhsa_accum_offset 52
		.amdhsa_reserve_vcc 1
		.amdhsa_reserve_flat_scratch 0
		.amdhsa_float_round_mode_32 0
		.amdhsa_float_round_mode_16_64 0
		.amdhsa_float_denorm_mode_32 3
		.amdhsa_float_denorm_mode_16_64 3
		.amdhsa_dx10_clamp 1
		.amdhsa_ieee_mode 1
		.amdhsa_fp16_overflow 0
		.amdhsa_tg_split 0
		.amdhsa_exception_fp_ieee_invalid_op 0
		.amdhsa_exception_fp_denorm_src 0
		.amdhsa_exception_fp_ieee_div_zero 0
		.amdhsa_exception_fp_ieee_overflow 0
		.amdhsa_exception_fp_ieee_underflow 0
		.amdhsa_exception_fp_ieee_inexact 0
		.amdhsa_exception_int_div_zero 0
	.end_amdhsa_kernel
	.section	.text._ZL26flash_attn_combine_resultsILi256EEvPKfPK15HIP_vector_typeIfLj2EEPfi,"axG",@progbits,_ZL26flash_attn_combine_resultsILi256EEvPKfPK15HIP_vector_typeIfLj2EEPfi,comdat
.Lfunc_end33:
	.size	_ZL26flash_attn_combine_resultsILi256EEvPKfPK15HIP_vector_typeIfLj2EEPfi, .Lfunc_end33-_ZL26flash_attn_combine_resultsILi256EEvPKfPK15HIP_vector_typeIfLj2EEPfi
                                        ; -- End function
	.section	.AMDGPU.csdata,"",@progbits
; Kernel info:
; codeLenInByte = 3048
; NumSgprs: 30
; NumVgprs: 51
; NumAgprs: 0
; TotalNumVgprs: 51
; ScratchSize: 0
; MemoryBound: 0
; FloatMode: 240
; IeeeMode: 1
; LDSByteSize: 0 bytes/workgroup (compile time only)
; SGPRBlocks: 3
; VGPRBlocks: 6
; NumSGPRsForWavesPerEU: 30
; NumVGPRsForWavesPerEU: 51
; AccumOffset: 52
; Occupancy: 8
; WaveLimiterHint : 0
; COMPUTE_PGM_RSRC2:SCRATCH_EN: 0
; COMPUTE_PGM_RSRC2:USER_SGPR: 6
; COMPUTE_PGM_RSRC2:TRAP_HANDLER: 0
; COMPUTE_PGM_RSRC2:TGID_X_EN: 1
; COMPUTE_PGM_RSRC2:TGID_Y_EN: 1
; COMPUTE_PGM_RSRC2:TGID_Z_EN: 1
; COMPUTE_PGM_RSRC2:TIDIG_COMP_CNT: 0
; COMPUTE_PGM_RSRC3_GFX90A:ACCUM_OFFSET: 12
; COMPUTE_PGM_RSRC3_GFX90A:TG_SPLIT: 0
	.text
	.p2alignl 6, 3212836864
	.fill 256, 4, 3212836864
	.type	.str.1,@object                  ; @.str.1
	.section	.rodata.str1.1,"aMS",@progbits,1
.str.1:
	.asciz	"/root/src/amdgpu-assembly/repos/ggml-org__llama.cpp/ggml/src/ggml-cuda/template-instances/../fattn-mma-f16.cuh"
	.size	.str.1, 111

	.type	__FUNCTION__._ZL18flash_attn_ext_f16ILi64ELi64ELi16ELi1ELb1ELb0EEvPKcS1_S1_S1_S1_PKiPfP15HIP_vector_typeIfLj2EEffffjfiS5_IjLj3EEiiiiiiiiiiiliiliiiiil,@object ; @__FUNCTION__._ZL18flash_attn_ext_f16ILi64ELi64ELi16ELi1ELb1ELb0EEvPKcS1_S1_S1_S1_PKiPfP15HIP_vector_typeIfLj2EEffffjfiS5_IjLj3EEiiiiiiiiiiiliiliiiiil
__FUNCTION__._ZL18flash_attn_ext_f16ILi64ELi64ELi16ELi1ELb1ELb0EEvPKcS1_S1_S1_S1_PKiPfP15HIP_vector_typeIfLj2EEffffjfiS5_IjLj3EEiiiiiiiiiiiliiliiiiil:
	.asciz	"flash_attn_ext_f16"
	.size	__FUNCTION__._ZL18flash_attn_ext_f16ILi64ELi64ELi16ELi1ELb1ELb0EEvPKcS1_S1_S1_S1_PKiPfP15HIP_vector_typeIfLj2EEffffjfiS5_IjLj3EEiiiiiiiiiiiliiliiiiil, 19

	.type	.str.3,@object                  ; @.str.3
.str.3:
	.asciz	"%s:%d: ERROR: HIP kernel %s has no device code compatible with HIP arch %d.\n"
	.size	.str.3, 77

	.type	__hip_cuid_47e2300dd957e9e,@object ; @__hip_cuid_47e2300dd957e9e
	.section	.bss,"aw",@nobits
	.globl	__hip_cuid_47e2300dd957e9e
__hip_cuid_47e2300dd957e9e:
	.byte	0                               ; 0x0
	.size	__hip_cuid_47e2300dd957e9e, 1

	.ident	"AMD clang version 19.0.0git (https://github.com/RadeonOpenCompute/llvm-project roc-6.4.0 25133 c7fe45cf4b819c5991fe208aaa96edf142730f1d)"
	.section	".note.GNU-stack","",@progbits
	.addrsig
	.addrsig_sym __hip_cuid_47e2300dd957e9e
	.amdgpu_metadata
---
amdhsa.kernels:
  - .agpr_count:     0
    .args:
      - .address_space:  global
        .offset:         0
        .size:           8
        .value_kind:     global_buffer
      - .address_space:  global
        .offset:         8
        .size:           8
        .value_kind:     global_buffer
      - .address_space:  global
        .offset:         16
        .size:           8
        .value_kind:     global_buffer
      - .address_space:  global
        .offset:         24
        .size:           8
        .value_kind:     global_buffer
      - .address_space:  global
        .offset:         32
        .size:           8
        .value_kind:     global_buffer
      - .address_space:  global
        .offset:         40
        .size:           8
        .value_kind:     global_buffer
      - .address_space:  global
        .offset:         48
        .size:           8
        .value_kind:     global_buffer
      - .address_space:  global
        .offset:         56
        .size:           8
        .value_kind:     global_buffer
      - .offset:         64
        .size:           4
        .value_kind:     by_value
      - .offset:         68
        .size:           4
        .value_kind:     by_value
      - .offset:         72
        .size:           4
        .value_kind:     by_value
      - .offset:         76
        .size:           4
        .value_kind:     by_value
      - .offset:         80
        .size:           4
        .value_kind:     by_value
      - .offset:         84
        .size:           4
        .value_kind:     by_value
      - .offset:         88
        .size:           4
        .value_kind:     by_value
      - .offset:         92
        .size:           12
        .value_kind:     by_value
      - .offset:         104
        .size:           4
        .value_kind:     by_value
      - .offset:         108
        .size:           4
        .value_kind:     by_value
      - .offset:         112
        .size:           4
        .value_kind:     by_value
      - .offset:         116
        .size:           4
        .value_kind:     by_value
      - .offset:         120
        .size:           4
        .value_kind:     by_value
      - .offset:         124
        .size:           4
        .value_kind:     by_value
      - .offset:         128
        .size:           4
        .value_kind:     by_value
      - .offset:         132
        .size:           4
        .value_kind:     by_value
      - .offset:         136
        .size:           4
        .value_kind:     by_value
      - .offset:         140
        .size:           4
        .value_kind:     by_value
      - .offset:         144
        .size:           4
        .value_kind:     by_value
      - .offset:         152
        .size:           8
        .value_kind:     by_value
      - .offset:         160
        .size:           4
        .value_kind:     by_value
      - .offset:         164
        .size:           4
        .value_kind:     by_value
      - .offset:         168
        .size:           8
        .value_kind:     by_value
      - .offset:         176
        .size:           4
        .value_kind:     by_value
      - .offset:         180
        .size:           4
        .value_kind:     by_value
      - .offset:         184
        .size:           4
        .value_kind:     by_value
      - .offset:         188
        .size:           4
        .value_kind:     by_value
      - .offset:         192
        .size:           4
        .value_kind:     by_value
      - .offset:         200
        .size:           8
        .value_kind:     by_value
      - .offset:         208
        .size:           4
        .value_kind:     hidden_block_count_x
      - .offset:         212
        .size:           4
        .value_kind:     hidden_block_count_y
      - .offset:         216
        .size:           4
        .value_kind:     hidden_block_count_z
      - .offset:         220
        .size:           2
        .value_kind:     hidden_group_size_x
      - .offset:         222
        .size:           2
        .value_kind:     hidden_group_size_y
      - .offset:         224
        .size:           2
        .value_kind:     hidden_group_size_z
      - .offset:         226
        .size:           2
        .value_kind:     hidden_remainder_x
      - .offset:         228
        .size:           2
        .value_kind:     hidden_remainder_y
      - .offset:         230
        .size:           2
        .value_kind:     hidden_remainder_z
      - .offset:         248
        .size:           8
        .value_kind:     hidden_global_offset_x
      - .offset:         256
        .size:           8
        .value_kind:     hidden_global_offset_y
      - .offset:         264
        .size:           8
        .value_kind:     hidden_global_offset_z
      - .offset:         272
        .size:           2
        .value_kind:     hidden_grid_dims
      - .offset:         328
        .size:           4
        .value_kind:     hidden_dynamic_lds_size
    .group_segment_fixed_size: 0
    .kernarg_segment_align: 8
    .kernarg_segment_size: 464
    .language:       OpenCL C
    .language_version:
      - 2
      - 0
    .max_flat_workgroup_size: 256
    .name:           _ZL18flash_attn_ext_f16ILi64ELi64ELi16ELi1ELb0ELb0EEvPKcS1_S1_S1_S1_PKiPfP15HIP_vector_typeIfLj2EEffffjfiS5_IjLj3EEiiiiiiiiiiiliiliiiiil
    .private_segment_fixed_size: 32
    .sgpr_count:     106
    .sgpr_spill_count: 60
    .symbol:         _ZL18flash_attn_ext_f16ILi64ELi64ELi16ELi1ELb0ELb0EEvPKcS1_S1_S1_S1_PKiPfP15HIP_vector_typeIfLj2EEffffjfiS5_IjLj3EEiiiiiiiiiiiliiliiiiil.kd
    .uniform_work_group_size: 1
    .uses_dynamic_stack: false
    .vgpr_count:     160
    .vgpr_spill_count: 0
    .wavefront_size: 64
  - .agpr_count:     0
    .args:
      - .address_space:  global
        .offset:         0
        .size:           8
        .value_kind:     global_buffer
      - .address_space:  global
        .offset:         8
        .size:           8
        .value_kind:     global_buffer
      - .address_space:  global
        .offset:         16
        .size:           8
        .value_kind:     global_buffer
      - .address_space:  global
        .offset:         24
        .size:           8
        .value_kind:     global_buffer
      - .address_space:  global
        .offset:         32
        .size:           8
        .value_kind:     global_buffer
      - .address_space:  global
        .offset:         40
        .size:           8
        .value_kind:     global_buffer
      - .address_space:  global
        .offset:         48
        .size:           8
        .value_kind:     global_buffer
      - .address_space:  global
        .offset:         56
        .size:           8
        .value_kind:     global_buffer
      - .offset:         64
        .size:           4
        .value_kind:     by_value
      - .offset:         68
        .size:           4
        .value_kind:     by_value
      - .offset:         72
        .size:           4
        .value_kind:     by_value
      - .offset:         76
        .size:           4
        .value_kind:     by_value
      - .offset:         80
        .size:           4
        .value_kind:     by_value
      - .offset:         84
        .size:           4
        .value_kind:     by_value
      - .offset:         88
        .size:           4
        .value_kind:     by_value
      - .offset:         92
        .size:           12
        .value_kind:     by_value
      - .offset:         104
        .size:           4
        .value_kind:     by_value
      - .offset:         108
        .size:           4
        .value_kind:     by_value
      - .offset:         112
        .size:           4
        .value_kind:     by_value
      - .offset:         116
        .size:           4
        .value_kind:     by_value
      - .offset:         120
        .size:           4
        .value_kind:     by_value
      - .offset:         124
        .size:           4
        .value_kind:     by_value
      - .offset:         128
        .size:           4
        .value_kind:     by_value
      - .offset:         132
        .size:           4
        .value_kind:     by_value
      - .offset:         136
        .size:           4
        .value_kind:     by_value
      - .offset:         140
        .size:           4
        .value_kind:     by_value
      - .offset:         144
        .size:           4
        .value_kind:     by_value
      - .offset:         152
        .size:           8
        .value_kind:     by_value
      - .offset:         160
        .size:           4
        .value_kind:     by_value
      - .offset:         164
        .size:           4
        .value_kind:     by_value
      - .offset:         168
        .size:           8
        .value_kind:     by_value
      - .offset:         176
        .size:           4
        .value_kind:     by_value
      - .offset:         180
        .size:           4
        .value_kind:     by_value
      - .offset:         184
        .size:           4
        .value_kind:     by_value
      - .offset:         188
        .size:           4
        .value_kind:     by_value
      - .offset:         192
        .size:           4
        .value_kind:     by_value
      - .offset:         200
        .size:           8
        .value_kind:     by_value
      - .offset:         208
        .size:           4
        .value_kind:     hidden_block_count_x
      - .offset:         212
        .size:           4
        .value_kind:     hidden_block_count_y
      - .offset:         216
        .size:           4
        .value_kind:     hidden_block_count_z
      - .offset:         220
        .size:           2
        .value_kind:     hidden_group_size_x
      - .offset:         222
        .size:           2
        .value_kind:     hidden_group_size_y
      - .offset:         224
        .size:           2
        .value_kind:     hidden_group_size_z
      - .offset:         226
        .size:           2
        .value_kind:     hidden_remainder_x
      - .offset:         228
        .size:           2
        .value_kind:     hidden_remainder_y
      - .offset:         230
        .size:           2
        .value_kind:     hidden_remainder_z
      - .offset:         248
        .size:           8
        .value_kind:     hidden_global_offset_x
      - .offset:         256
        .size:           8
        .value_kind:     hidden_global_offset_y
      - .offset:         264
        .size:           8
        .value_kind:     hidden_global_offset_z
      - .offset:         272
        .size:           2
        .value_kind:     hidden_grid_dims
      - .offset:         288
        .size:           8
        .value_kind:     hidden_hostcall_buffer
    .group_segment_fixed_size: 0
    .kernarg_segment_align: 8
    .kernarg_segment_size: 464
    .language:       OpenCL C
    .language_version:
      - 2
      - 0
    .max_flat_workgroup_size: 256
    .name:           _ZL18flash_attn_ext_f16ILi64ELi64ELi16ELi1ELb1ELb0EEvPKcS1_S1_S1_S1_PKiPfP15HIP_vector_typeIfLj2EEffffjfiS5_IjLj3EEiiiiiiiiiiiliiliiiiil
    .private_segment_fixed_size: 16
    .sgpr_count:     40
    .sgpr_spill_count: 0
    .symbol:         _ZL18flash_attn_ext_f16ILi64ELi64ELi16ELi1ELb1ELb0EEvPKcS1_S1_S1_S1_PKiPfP15HIP_vector_typeIfLj2EEffffjfiS5_IjLj3EEiiiiiiiiiiiliiliiiiil.kd
    .uniform_work_group_size: 1
    .uses_dynamic_stack: false
    .vgpr_count:     39
    .vgpr_spill_count: 0
    .wavefront_size: 64
  - .agpr_count:     0
    .args:
      - .actual_access:  read_only
        .address_space:  global
        .offset:         0
        .size:           8
        .value_kind:     global_buffer
      - .actual_access:  write_only
        .address_space:  global
        .offset:         8
        .size:           8
        .value_kind:     global_buffer
      - .offset:         16
        .size:           4
        .value_kind:     by_value
      - .offset:         20
        .size:           4
        .value_kind:     by_value
      - .offset:         24
        .size:           4
        .value_kind:     by_value
      - .offset:         32
        .size:           4
        .value_kind:     hidden_block_count_x
      - .offset:         36
        .size:           4
        .value_kind:     hidden_block_count_y
      - .offset:         40
        .size:           4
        .value_kind:     hidden_block_count_z
      - .offset:         44
        .size:           2
        .value_kind:     hidden_group_size_x
      - .offset:         46
        .size:           2
        .value_kind:     hidden_group_size_y
      - .offset:         48
        .size:           2
        .value_kind:     hidden_group_size_z
      - .offset:         50
        .size:           2
        .value_kind:     hidden_remainder_x
      - .offset:         52
        .size:           2
        .value_kind:     hidden_remainder_y
      - .offset:         54
        .size:           2
        .value_kind:     hidden_remainder_z
      - .offset:         72
        .size:           8
        .value_kind:     hidden_global_offset_x
      - .offset:         80
        .size:           8
        .value_kind:     hidden_global_offset_y
      - .offset:         88
        .size:           8
        .value_kind:     hidden_global_offset_z
      - .offset:         96
        .size:           2
        .value_kind:     hidden_grid_dims
    .group_segment_fixed_size: 128
    .kernarg_segment_align: 8
    .kernarg_segment_size: 288
    .language:       OpenCL C
    .language_version:
      - 2
      - 0
    .max_flat_workgroup_size: 128
    .name:           _ZL25flash_attn_mask_to_KV_maxILi16EEvPK7__half2Piiii
    .private_segment_fixed_size: 0
    .sgpr_count:     86
    .sgpr_spill_count: 0
    .symbol:         _ZL25flash_attn_mask_to_KV_maxILi16EEvPK7__half2Piiii.kd
    .uniform_work_group_size: 1
    .uses_dynamic_stack: false
    .vgpr_count:     12
    .vgpr_spill_count: 0
    .wavefront_size: 64
  - .agpr_count:     0
    .args:
      - .address_space:  global
        .offset:         0
        .size:           8
        .value_kind:     global_buffer
      - .address_space:  global
        .offset:         8
        .size:           8
        .value_kind:     global_buffer
      - .offset:         16
        .size:           4
        .value_kind:     by_value
      - .offset:         20
        .size:           4
        .value_kind:     by_value
      - .offset:         24
        .size:           4
        .value_kind:     by_value
      - .offset:         28
        .size:           4
        .value_kind:     by_value
      - .offset:         32
        .size:           4
        .value_kind:     by_value
      - .offset:         36
        .size:           4
        .value_kind:     by_value
      - .offset:         40
        .size:           12
        .value_kind:     by_value
      - .offset:         52
        .size:           12
        .value_kind:     by_value
      - .offset:         64
        .size:           12
        .value_kind:     by_value
    .group_segment_fixed_size: 0
    .kernarg_segment_align: 8
    .kernarg_segment_size: 76
    .language:       OpenCL C
    .language_version:
      - 2
      - 0
    .max_flat_workgroup_size: 64
    .name:           _ZL33flash_attn_stream_k_fixup_uniformILi64ELi16ELi1EEvPfPK15HIP_vector_typeIfLj2EEiiiiiiS1_IjLj3EES5_S5_
    .private_segment_fixed_size: 0
    .sgpr_count:     24
    .sgpr_spill_count: 0
    .symbol:         _ZL33flash_attn_stream_k_fixup_uniformILi64ELi16ELi1EEvPfPK15HIP_vector_typeIfLj2EEiiiiiiS1_IjLj3EES5_S5_.kd
    .uniform_work_group_size: 1
    .uses_dynamic_stack: false
    .vgpr_count:     17
    .vgpr_spill_count: 0
    .wavefront_size: 64
  - .agpr_count:     0
    .args:
      - .address_space:  global
        .offset:         0
        .size:           8
        .value_kind:     global_buffer
      - .address_space:  global
        .offset:         8
        .size:           8
        .value_kind:     global_buffer
      - .offset:         16
        .size:           4
        .value_kind:     by_value
      - .offset:         20
        .size:           4
        .value_kind:     by_value
      - .offset:         24
        .size:           4
        .value_kind:     by_value
      - .offset:         28
        .size:           4
        .value_kind:     by_value
      - .offset:         32
        .size:           12
        .value_kind:     by_value
      - .offset:         44
        .size:           12
        .value_kind:     by_value
      - .offset:         56
        .size:           12
        .value_kind:     by_value
      - .offset:         68
        .size:           12
        .value_kind:     by_value
      - .offset:         80
        .size:           4
        .value_kind:     hidden_block_count_x
      - .offset:         84
        .size:           4
        .value_kind:     hidden_block_count_y
      - .offset:         88
        .size:           4
        .value_kind:     hidden_block_count_z
      - .offset:         92
        .size:           2
        .value_kind:     hidden_group_size_x
      - .offset:         94
        .size:           2
        .value_kind:     hidden_group_size_y
      - .offset:         96
        .size:           2
        .value_kind:     hidden_group_size_z
      - .offset:         98
        .size:           2
        .value_kind:     hidden_remainder_x
      - .offset:         100
        .size:           2
        .value_kind:     hidden_remainder_y
      - .offset:         102
        .size:           2
        .value_kind:     hidden_remainder_z
      - .offset:         120
        .size:           8
        .value_kind:     hidden_global_offset_x
      - .offset:         128
        .size:           8
        .value_kind:     hidden_global_offset_y
      - .offset:         136
        .size:           8
        .value_kind:     hidden_global_offset_z
      - .offset:         144
        .size:           2
        .value_kind:     hidden_grid_dims
    .group_segment_fixed_size: 0
    .kernarg_segment_align: 8
    .kernarg_segment_size: 336
    .language:       OpenCL C
    .language_version:
      - 2
      - 0
    .max_flat_workgroup_size: 64
    .name:           _ZL33flash_attn_stream_k_fixup_generalILi64ELi16ELi1EEvPfPK15HIP_vector_typeIfLj2EEiiiiS1_IjLj3EES5_S5_S5_
    .private_segment_fixed_size: 0
    .sgpr_count:     36
    .sgpr_spill_count: 0
    .symbol:         _ZL33flash_attn_stream_k_fixup_generalILi64ELi16ELi1EEvPfPK15HIP_vector_typeIfLj2EEiiiiS1_IjLj3EES5_S5_S5_.kd
    .uniform_work_group_size: 1
    .uses_dynamic_stack: false
    .vgpr_count:     22
    .vgpr_spill_count: 0
    .wavefront_size: 64
  - .agpr_count:     0
    .args:
      - .address_space:  global
        .offset:         0
        .size:           8
        .value_kind:     global_buffer
      - .address_space:  global
        .offset:         8
        .size:           8
        .value_kind:     global_buffer
      - .address_space:  global
        .offset:         16
        .size:           8
        .value_kind:     global_buffer
      - .offset:         24
        .size:           4
        .value_kind:     by_value
      - .offset:         32
        .size:           4
        .value_kind:     hidden_block_count_x
      - .offset:         36
        .size:           4
        .value_kind:     hidden_block_count_y
      - .offset:         40
        .size:           4
        .value_kind:     hidden_block_count_z
      - .offset:         44
        .size:           2
        .value_kind:     hidden_group_size_x
      - .offset:         46
        .size:           2
        .value_kind:     hidden_group_size_y
      - .offset:         48
        .size:           2
        .value_kind:     hidden_group_size_z
      - .offset:         50
        .size:           2
        .value_kind:     hidden_remainder_x
      - .offset:         52
        .size:           2
        .value_kind:     hidden_remainder_y
      - .offset:         54
        .size:           2
        .value_kind:     hidden_remainder_z
      - .offset:         72
        .size:           8
        .value_kind:     hidden_global_offset_x
      - .offset:         80
        .size:           8
        .value_kind:     hidden_global_offset_y
      - .offset:         88
        .size:           8
        .value_kind:     hidden_global_offset_z
      - .offset:         96
        .size:           2
        .value_kind:     hidden_grid_dims
      - .offset:         152
        .size:           4
        .value_kind:     hidden_dynamic_lds_size
    .group_segment_fixed_size: 0
    .kernarg_segment_align: 8
    .kernarg_segment_size: 288
    .language:       OpenCL C
    .language_version:
      - 2
      - 0
    .max_flat_workgroup_size: 64
    .name:           _ZL26flash_attn_combine_resultsILi64EEvPKfPK15HIP_vector_typeIfLj2EEPfi
    .private_segment_fixed_size: 0
    .sgpr_count:     30
    .sgpr_spill_count: 0
    .symbol:         _ZL26flash_attn_combine_resultsILi64EEvPKfPK15HIP_vector_typeIfLj2EEPfi.kd
    .uniform_work_group_size: 1
    .uses_dynamic_stack: false
    .vgpr_count:     51
    .vgpr_spill_count: 0
    .wavefront_size: 64
  - .agpr_count:     0
    .args:
      - .address_space:  global
        .offset:         0
        .size:           8
        .value_kind:     global_buffer
      - .address_space:  global
        .offset:         8
        .size:           8
        .value_kind:     global_buffer
      - .address_space:  global
        .offset:         16
        .size:           8
        .value_kind:     global_buffer
      - .address_space:  global
        .offset:         24
        .size:           8
        .value_kind:     global_buffer
      - .address_space:  global
        .offset:         32
        .size:           8
        .value_kind:     global_buffer
      - .address_space:  global
        .offset:         40
        .size:           8
        .value_kind:     global_buffer
      - .address_space:  global
        .offset:         48
        .size:           8
        .value_kind:     global_buffer
      - .address_space:  global
        .offset:         56
        .size:           8
        .value_kind:     global_buffer
      - .offset:         64
        .size:           4
        .value_kind:     by_value
      - .offset:         68
        .size:           4
        .value_kind:     by_value
      - .offset:         72
        .size:           4
        .value_kind:     by_value
      - .offset:         76
        .size:           4
        .value_kind:     by_value
      - .offset:         80
        .size:           4
        .value_kind:     by_value
      - .offset:         84
        .size:           4
        .value_kind:     by_value
      - .offset:         88
        .size:           4
        .value_kind:     by_value
      - .offset:         92
        .size:           12
        .value_kind:     by_value
      - .offset:         104
        .size:           4
        .value_kind:     by_value
      - .offset:         108
        .size:           4
        .value_kind:     by_value
      - .offset:         112
        .size:           4
        .value_kind:     by_value
      - .offset:         116
        .size:           4
        .value_kind:     by_value
      - .offset:         120
        .size:           4
        .value_kind:     by_value
      - .offset:         124
        .size:           4
        .value_kind:     by_value
      - .offset:         128
        .size:           4
        .value_kind:     by_value
      - .offset:         132
        .size:           4
        .value_kind:     by_value
      - .offset:         136
        .size:           4
        .value_kind:     by_value
      - .offset:         140
        .size:           4
        .value_kind:     by_value
      - .offset:         144
        .size:           4
        .value_kind:     by_value
      - .offset:         152
        .size:           8
        .value_kind:     by_value
      - .offset:         160
        .size:           4
        .value_kind:     by_value
      - .offset:         164
        .size:           4
        .value_kind:     by_value
      - .offset:         168
        .size:           8
        .value_kind:     by_value
      - .offset:         176
        .size:           4
        .value_kind:     by_value
      - .offset:         180
        .size:           4
        .value_kind:     by_value
      - .offset:         184
        .size:           4
        .value_kind:     by_value
      - .offset:         188
        .size:           4
        .value_kind:     by_value
      - .offset:         192
        .size:           4
        .value_kind:     by_value
      - .offset:         200
        .size:           8
        .value_kind:     by_value
      - .offset:         208
        .size:           4
        .value_kind:     hidden_block_count_x
      - .offset:         212
        .size:           4
        .value_kind:     hidden_block_count_y
      - .offset:         216
        .size:           4
        .value_kind:     hidden_block_count_z
      - .offset:         220
        .size:           2
        .value_kind:     hidden_group_size_x
      - .offset:         222
        .size:           2
        .value_kind:     hidden_group_size_y
      - .offset:         224
        .size:           2
        .value_kind:     hidden_group_size_z
      - .offset:         226
        .size:           2
        .value_kind:     hidden_remainder_x
      - .offset:         228
        .size:           2
        .value_kind:     hidden_remainder_y
      - .offset:         230
        .size:           2
        .value_kind:     hidden_remainder_z
      - .offset:         248
        .size:           8
        .value_kind:     hidden_global_offset_x
      - .offset:         256
        .size:           8
        .value_kind:     hidden_global_offset_y
      - .offset:         264
        .size:           8
        .value_kind:     hidden_global_offset_z
      - .offset:         272
        .size:           2
        .value_kind:     hidden_grid_dims
      - .offset:         328
        .size:           4
        .value_kind:     hidden_dynamic_lds_size
    .group_segment_fixed_size: 0
    .kernarg_segment_align: 8
    .kernarg_segment_size: 464
    .language:       OpenCL C
    .language_version:
      - 2
      - 0
    .max_flat_workgroup_size: 256
    .name:           _ZL18flash_attn_ext_f16ILi80ELi80ELi16ELi1ELb0ELb0EEvPKcS1_S1_S1_S1_PKiPfP15HIP_vector_typeIfLj2EEffffjfiS5_IjLj3EEiiiiiiiiiiiliiliiiiil
    .private_segment_fixed_size: 32
    .sgpr_count:     106
    .sgpr_spill_count: 85
    .symbol:         _ZL18flash_attn_ext_f16ILi80ELi80ELi16ELi1ELb0ELb0EEvPKcS1_S1_S1_S1_PKiPfP15HIP_vector_typeIfLj2EEffffjfiS5_IjLj3EEiiiiiiiiiiiliiliiiiil.kd
    .uniform_work_group_size: 1
    .uses_dynamic_stack: false
    .vgpr_count:     170
    .vgpr_spill_count: 0
    .wavefront_size: 64
  - .agpr_count:     0
    .args:
      - .address_space:  global
        .offset:         0
        .size:           8
        .value_kind:     global_buffer
      - .address_space:  global
        .offset:         8
        .size:           8
        .value_kind:     global_buffer
      - .address_space:  global
        .offset:         16
        .size:           8
        .value_kind:     global_buffer
      - .address_space:  global
        .offset:         24
        .size:           8
        .value_kind:     global_buffer
      - .address_space:  global
        .offset:         32
        .size:           8
        .value_kind:     global_buffer
      - .address_space:  global
        .offset:         40
        .size:           8
        .value_kind:     global_buffer
      - .address_space:  global
        .offset:         48
        .size:           8
        .value_kind:     global_buffer
      - .address_space:  global
        .offset:         56
        .size:           8
        .value_kind:     global_buffer
      - .offset:         64
        .size:           4
        .value_kind:     by_value
      - .offset:         68
        .size:           4
        .value_kind:     by_value
      - .offset:         72
        .size:           4
        .value_kind:     by_value
      - .offset:         76
        .size:           4
        .value_kind:     by_value
      - .offset:         80
        .size:           4
        .value_kind:     by_value
      - .offset:         84
        .size:           4
        .value_kind:     by_value
      - .offset:         88
        .size:           4
        .value_kind:     by_value
      - .offset:         92
        .size:           12
        .value_kind:     by_value
      - .offset:         104
        .size:           4
        .value_kind:     by_value
      - .offset:         108
        .size:           4
        .value_kind:     by_value
      - .offset:         112
        .size:           4
        .value_kind:     by_value
      - .offset:         116
        .size:           4
        .value_kind:     by_value
      - .offset:         120
        .size:           4
        .value_kind:     by_value
      - .offset:         124
        .size:           4
        .value_kind:     by_value
      - .offset:         128
        .size:           4
        .value_kind:     by_value
      - .offset:         132
        .size:           4
        .value_kind:     by_value
      - .offset:         136
        .size:           4
        .value_kind:     by_value
      - .offset:         140
        .size:           4
        .value_kind:     by_value
      - .offset:         144
        .size:           4
        .value_kind:     by_value
      - .offset:         152
        .size:           8
        .value_kind:     by_value
      - .offset:         160
        .size:           4
        .value_kind:     by_value
      - .offset:         164
        .size:           4
        .value_kind:     by_value
      - .offset:         168
        .size:           8
        .value_kind:     by_value
      - .offset:         176
        .size:           4
        .value_kind:     by_value
      - .offset:         180
        .size:           4
        .value_kind:     by_value
      - .offset:         184
        .size:           4
        .value_kind:     by_value
      - .offset:         188
        .size:           4
        .value_kind:     by_value
      - .offset:         192
        .size:           4
        .value_kind:     by_value
      - .offset:         200
        .size:           8
        .value_kind:     by_value
      - .offset:         208
        .size:           4
        .value_kind:     hidden_block_count_x
      - .offset:         212
        .size:           4
        .value_kind:     hidden_block_count_y
      - .offset:         216
        .size:           4
        .value_kind:     hidden_block_count_z
      - .offset:         220
        .size:           2
        .value_kind:     hidden_group_size_x
      - .offset:         222
        .size:           2
        .value_kind:     hidden_group_size_y
      - .offset:         224
        .size:           2
        .value_kind:     hidden_group_size_z
      - .offset:         226
        .size:           2
        .value_kind:     hidden_remainder_x
      - .offset:         228
        .size:           2
        .value_kind:     hidden_remainder_y
      - .offset:         230
        .size:           2
        .value_kind:     hidden_remainder_z
      - .offset:         248
        .size:           8
        .value_kind:     hidden_global_offset_x
      - .offset:         256
        .size:           8
        .value_kind:     hidden_global_offset_y
      - .offset:         264
        .size:           8
        .value_kind:     hidden_global_offset_z
      - .offset:         272
        .size:           2
        .value_kind:     hidden_grid_dims
      - .offset:         288
        .size:           8
        .value_kind:     hidden_hostcall_buffer
    .group_segment_fixed_size: 0
    .kernarg_segment_align: 8
    .kernarg_segment_size: 464
    .language:       OpenCL C
    .language_version:
      - 2
      - 0
    .max_flat_workgroup_size: 256
    .name:           _ZL18flash_attn_ext_f16ILi80ELi80ELi16ELi1ELb1ELb0EEvPKcS1_S1_S1_S1_PKiPfP15HIP_vector_typeIfLj2EEffffjfiS5_IjLj3EEiiiiiiiiiiiliiliiiiil
    .private_segment_fixed_size: 16
    .sgpr_count:     40
    .sgpr_spill_count: 0
    .symbol:         _ZL18flash_attn_ext_f16ILi80ELi80ELi16ELi1ELb1ELb0EEvPKcS1_S1_S1_S1_PKiPfP15HIP_vector_typeIfLj2EEffffjfiS5_IjLj3EEiiiiiiiiiiiliiliiiiil.kd
    .uniform_work_group_size: 1
    .uses_dynamic_stack: false
    .vgpr_count:     39
    .vgpr_spill_count: 0
    .wavefront_size: 64
  - .agpr_count:     0
    .args:
      - .address_space:  global
        .offset:         0
        .size:           8
        .value_kind:     global_buffer
      - .address_space:  global
        .offset:         8
        .size:           8
        .value_kind:     global_buffer
      - .offset:         16
        .size:           4
        .value_kind:     by_value
      - .offset:         20
        .size:           4
        .value_kind:     by_value
      - .offset:         24
        .size:           4
        .value_kind:     by_value
      - .offset:         28
        .size:           4
        .value_kind:     by_value
      - .offset:         32
        .size:           4
        .value_kind:     by_value
      - .offset:         36
        .size:           4
        .value_kind:     by_value
      - .offset:         40
        .size:           12
        .value_kind:     by_value
      - .offset:         52
        .size:           12
        .value_kind:     by_value
      - .offset:         64
        .size:           12
        .value_kind:     by_value
    .group_segment_fixed_size: 0
    .kernarg_segment_align: 8
    .kernarg_segment_size: 76
    .language:       OpenCL C
    .language_version:
      - 2
      - 0
    .max_flat_workgroup_size: 80
    .name:           _ZL33flash_attn_stream_k_fixup_uniformILi80ELi16ELi1EEvPfPK15HIP_vector_typeIfLj2EEiiiiiiS1_IjLj3EES5_S5_
    .private_segment_fixed_size: 0
    .sgpr_count:     24
    .sgpr_spill_count: 0
    .symbol:         _ZL33flash_attn_stream_k_fixup_uniformILi80ELi16ELi1EEvPfPK15HIP_vector_typeIfLj2EEiiiiiiS1_IjLj3EES5_S5_.kd
    .uniform_work_group_size: 1
    .uses_dynamic_stack: false
    .vgpr_count:     17
    .vgpr_spill_count: 0
    .wavefront_size: 64
  - .agpr_count:     0
    .args:
      - .address_space:  global
        .offset:         0
        .size:           8
        .value_kind:     global_buffer
      - .address_space:  global
        .offset:         8
        .size:           8
        .value_kind:     global_buffer
      - .offset:         16
        .size:           4
        .value_kind:     by_value
      - .offset:         20
        .size:           4
        .value_kind:     by_value
      - .offset:         24
        .size:           4
        .value_kind:     by_value
      - .offset:         28
        .size:           4
        .value_kind:     by_value
      - .offset:         32
        .size:           12
        .value_kind:     by_value
      - .offset:         44
        .size:           12
        .value_kind:     by_value
      - .offset:         56
        .size:           12
        .value_kind:     by_value
      - .offset:         68
        .size:           12
        .value_kind:     by_value
      - .offset:         80
        .size:           4
        .value_kind:     hidden_block_count_x
      - .offset:         84
        .size:           4
        .value_kind:     hidden_block_count_y
      - .offset:         88
        .size:           4
        .value_kind:     hidden_block_count_z
      - .offset:         92
        .size:           2
        .value_kind:     hidden_group_size_x
      - .offset:         94
        .size:           2
        .value_kind:     hidden_group_size_y
      - .offset:         96
        .size:           2
        .value_kind:     hidden_group_size_z
      - .offset:         98
        .size:           2
        .value_kind:     hidden_remainder_x
      - .offset:         100
        .size:           2
        .value_kind:     hidden_remainder_y
      - .offset:         102
        .size:           2
        .value_kind:     hidden_remainder_z
      - .offset:         120
        .size:           8
        .value_kind:     hidden_global_offset_x
      - .offset:         128
        .size:           8
        .value_kind:     hidden_global_offset_y
      - .offset:         136
        .size:           8
        .value_kind:     hidden_global_offset_z
      - .offset:         144
        .size:           2
        .value_kind:     hidden_grid_dims
    .group_segment_fixed_size: 0
    .kernarg_segment_align: 8
    .kernarg_segment_size: 336
    .language:       OpenCL C
    .language_version:
      - 2
      - 0
    .max_flat_workgroup_size: 80
    .name:           _ZL33flash_attn_stream_k_fixup_generalILi80ELi16ELi1EEvPfPK15HIP_vector_typeIfLj2EEiiiiS1_IjLj3EES5_S5_S5_
    .private_segment_fixed_size: 0
    .sgpr_count:     36
    .sgpr_spill_count: 0
    .symbol:         _ZL33flash_attn_stream_k_fixup_generalILi80ELi16ELi1EEvPfPK15HIP_vector_typeIfLj2EEiiiiS1_IjLj3EES5_S5_S5_.kd
    .uniform_work_group_size: 1
    .uses_dynamic_stack: false
    .vgpr_count:     22
    .vgpr_spill_count: 0
    .wavefront_size: 64
  - .agpr_count:     0
    .args:
      - .address_space:  global
        .offset:         0
        .size:           8
        .value_kind:     global_buffer
      - .address_space:  global
        .offset:         8
        .size:           8
        .value_kind:     global_buffer
      - .address_space:  global
        .offset:         16
        .size:           8
        .value_kind:     global_buffer
      - .offset:         24
        .size:           4
        .value_kind:     by_value
      - .offset:         32
        .size:           4
        .value_kind:     hidden_block_count_x
      - .offset:         36
        .size:           4
        .value_kind:     hidden_block_count_y
      - .offset:         40
        .size:           4
        .value_kind:     hidden_block_count_z
      - .offset:         44
        .size:           2
        .value_kind:     hidden_group_size_x
      - .offset:         46
        .size:           2
        .value_kind:     hidden_group_size_y
      - .offset:         48
        .size:           2
        .value_kind:     hidden_group_size_z
      - .offset:         50
        .size:           2
        .value_kind:     hidden_remainder_x
      - .offset:         52
        .size:           2
        .value_kind:     hidden_remainder_y
      - .offset:         54
        .size:           2
        .value_kind:     hidden_remainder_z
      - .offset:         72
        .size:           8
        .value_kind:     hidden_global_offset_x
      - .offset:         80
        .size:           8
        .value_kind:     hidden_global_offset_y
      - .offset:         88
        .size:           8
        .value_kind:     hidden_global_offset_z
      - .offset:         96
        .size:           2
        .value_kind:     hidden_grid_dims
      - .offset:         152
        .size:           4
        .value_kind:     hidden_dynamic_lds_size
    .group_segment_fixed_size: 0
    .kernarg_segment_align: 8
    .kernarg_segment_size: 288
    .language:       OpenCL C
    .language_version:
      - 2
      - 0
    .max_flat_workgroup_size: 80
    .name:           _ZL26flash_attn_combine_resultsILi80EEvPKfPK15HIP_vector_typeIfLj2EEPfi
    .private_segment_fixed_size: 0
    .sgpr_count:     33
    .sgpr_spill_count: 0
    .symbol:         _ZL26flash_attn_combine_resultsILi80EEvPKfPK15HIP_vector_typeIfLj2EEPfi.kd
    .uniform_work_group_size: 1
    .uses_dynamic_stack: false
    .vgpr_count:     51
    .vgpr_spill_count: 0
    .wavefront_size: 64
  - .agpr_count:     0
    .args:
      - .address_space:  global
        .offset:         0
        .size:           8
        .value_kind:     global_buffer
      - .address_space:  global
        .offset:         8
        .size:           8
        .value_kind:     global_buffer
      - .address_space:  global
        .offset:         16
        .size:           8
        .value_kind:     global_buffer
      - .address_space:  global
        .offset:         24
        .size:           8
        .value_kind:     global_buffer
      - .address_space:  global
        .offset:         32
        .size:           8
        .value_kind:     global_buffer
      - .address_space:  global
        .offset:         40
        .size:           8
        .value_kind:     global_buffer
      - .address_space:  global
        .offset:         48
        .size:           8
        .value_kind:     global_buffer
      - .address_space:  global
        .offset:         56
        .size:           8
        .value_kind:     global_buffer
      - .offset:         64
        .size:           4
        .value_kind:     by_value
      - .offset:         68
        .size:           4
        .value_kind:     by_value
      - .offset:         72
        .size:           4
        .value_kind:     by_value
      - .offset:         76
        .size:           4
        .value_kind:     by_value
      - .offset:         80
        .size:           4
        .value_kind:     by_value
      - .offset:         84
        .size:           4
        .value_kind:     by_value
      - .offset:         88
        .size:           4
        .value_kind:     by_value
      - .offset:         92
        .size:           12
        .value_kind:     by_value
      - .offset:         104
        .size:           4
        .value_kind:     by_value
      - .offset:         108
        .size:           4
        .value_kind:     by_value
      - .offset:         112
        .size:           4
        .value_kind:     by_value
      - .offset:         116
        .size:           4
        .value_kind:     by_value
      - .offset:         120
        .size:           4
        .value_kind:     by_value
      - .offset:         124
        .size:           4
        .value_kind:     by_value
      - .offset:         128
        .size:           4
        .value_kind:     by_value
      - .offset:         132
        .size:           4
        .value_kind:     by_value
      - .offset:         136
        .size:           4
        .value_kind:     by_value
      - .offset:         140
        .size:           4
        .value_kind:     by_value
      - .offset:         144
        .size:           4
        .value_kind:     by_value
      - .offset:         152
        .size:           8
        .value_kind:     by_value
      - .offset:         160
        .size:           4
        .value_kind:     by_value
      - .offset:         164
        .size:           4
        .value_kind:     by_value
      - .offset:         168
        .size:           8
        .value_kind:     by_value
      - .offset:         176
        .size:           4
        .value_kind:     by_value
      - .offset:         180
        .size:           4
        .value_kind:     by_value
      - .offset:         184
        .size:           4
        .value_kind:     by_value
      - .offset:         188
        .size:           4
        .value_kind:     by_value
      - .offset:         192
        .size:           4
        .value_kind:     by_value
      - .offset:         200
        .size:           8
        .value_kind:     by_value
      - .offset:         208
        .size:           4
        .value_kind:     hidden_block_count_x
      - .offset:         212
        .size:           4
        .value_kind:     hidden_block_count_y
      - .offset:         216
        .size:           4
        .value_kind:     hidden_block_count_z
      - .offset:         220
        .size:           2
        .value_kind:     hidden_group_size_x
      - .offset:         222
        .size:           2
        .value_kind:     hidden_group_size_y
      - .offset:         224
        .size:           2
        .value_kind:     hidden_group_size_z
      - .offset:         226
        .size:           2
        .value_kind:     hidden_remainder_x
      - .offset:         228
        .size:           2
        .value_kind:     hidden_remainder_y
      - .offset:         230
        .size:           2
        .value_kind:     hidden_remainder_z
      - .offset:         248
        .size:           8
        .value_kind:     hidden_global_offset_x
      - .offset:         256
        .size:           8
        .value_kind:     hidden_global_offset_y
      - .offset:         264
        .size:           8
        .value_kind:     hidden_global_offset_z
      - .offset:         272
        .size:           2
        .value_kind:     hidden_grid_dims
      - .offset:         328
        .size:           4
        .value_kind:     hidden_dynamic_lds_size
    .group_segment_fixed_size: 0
    .kernarg_segment_align: 8
    .kernarg_segment_size: 464
    .language:       OpenCL C
    .language_version:
      - 2
      - 0
    .max_flat_workgroup_size: 256
    .name:           _ZL18flash_attn_ext_f16ILi96ELi96ELi16ELi1ELb0ELb0EEvPKcS1_S1_S1_S1_PKiPfP15HIP_vector_typeIfLj2EEffffjfiS5_IjLj3EEiiiiiiiiiiiliiliiiiil
    .private_segment_fixed_size: 32
    .sgpr_count:     106
    .sgpr_spill_count: 75
    .symbol:         _ZL18flash_attn_ext_f16ILi96ELi96ELi16ELi1ELb0ELb0EEvPKcS1_S1_S1_S1_PKiPfP15HIP_vector_typeIfLj2EEffffjfiS5_IjLj3EEiiiiiiiiiiiliiliiiiil.kd
    .uniform_work_group_size: 1
    .uses_dynamic_stack: false
    .vgpr_count:     180
    .vgpr_spill_count: 0
    .wavefront_size: 64
  - .agpr_count:     0
    .args:
      - .address_space:  global
        .offset:         0
        .size:           8
        .value_kind:     global_buffer
      - .address_space:  global
        .offset:         8
        .size:           8
        .value_kind:     global_buffer
      - .address_space:  global
        .offset:         16
        .size:           8
        .value_kind:     global_buffer
      - .address_space:  global
        .offset:         24
        .size:           8
        .value_kind:     global_buffer
      - .address_space:  global
        .offset:         32
        .size:           8
        .value_kind:     global_buffer
      - .address_space:  global
        .offset:         40
        .size:           8
        .value_kind:     global_buffer
      - .address_space:  global
        .offset:         48
        .size:           8
        .value_kind:     global_buffer
      - .address_space:  global
        .offset:         56
        .size:           8
        .value_kind:     global_buffer
      - .offset:         64
        .size:           4
        .value_kind:     by_value
      - .offset:         68
        .size:           4
        .value_kind:     by_value
      - .offset:         72
        .size:           4
        .value_kind:     by_value
      - .offset:         76
        .size:           4
        .value_kind:     by_value
      - .offset:         80
        .size:           4
        .value_kind:     by_value
      - .offset:         84
        .size:           4
        .value_kind:     by_value
      - .offset:         88
        .size:           4
        .value_kind:     by_value
      - .offset:         92
        .size:           12
        .value_kind:     by_value
      - .offset:         104
        .size:           4
        .value_kind:     by_value
      - .offset:         108
        .size:           4
        .value_kind:     by_value
      - .offset:         112
        .size:           4
        .value_kind:     by_value
      - .offset:         116
        .size:           4
        .value_kind:     by_value
      - .offset:         120
        .size:           4
        .value_kind:     by_value
      - .offset:         124
        .size:           4
        .value_kind:     by_value
      - .offset:         128
        .size:           4
        .value_kind:     by_value
      - .offset:         132
        .size:           4
        .value_kind:     by_value
      - .offset:         136
        .size:           4
        .value_kind:     by_value
      - .offset:         140
        .size:           4
        .value_kind:     by_value
      - .offset:         144
        .size:           4
        .value_kind:     by_value
      - .offset:         152
        .size:           8
        .value_kind:     by_value
      - .offset:         160
        .size:           4
        .value_kind:     by_value
      - .offset:         164
        .size:           4
        .value_kind:     by_value
      - .offset:         168
        .size:           8
        .value_kind:     by_value
      - .offset:         176
        .size:           4
        .value_kind:     by_value
      - .offset:         180
        .size:           4
        .value_kind:     by_value
      - .offset:         184
        .size:           4
        .value_kind:     by_value
      - .offset:         188
        .size:           4
        .value_kind:     by_value
      - .offset:         192
        .size:           4
        .value_kind:     by_value
      - .offset:         200
        .size:           8
        .value_kind:     by_value
      - .offset:         208
        .size:           4
        .value_kind:     hidden_block_count_x
      - .offset:         212
        .size:           4
        .value_kind:     hidden_block_count_y
      - .offset:         216
        .size:           4
        .value_kind:     hidden_block_count_z
      - .offset:         220
        .size:           2
        .value_kind:     hidden_group_size_x
      - .offset:         222
        .size:           2
        .value_kind:     hidden_group_size_y
      - .offset:         224
        .size:           2
        .value_kind:     hidden_group_size_z
      - .offset:         226
        .size:           2
        .value_kind:     hidden_remainder_x
      - .offset:         228
        .size:           2
        .value_kind:     hidden_remainder_y
      - .offset:         230
        .size:           2
        .value_kind:     hidden_remainder_z
      - .offset:         248
        .size:           8
        .value_kind:     hidden_global_offset_x
      - .offset:         256
        .size:           8
        .value_kind:     hidden_global_offset_y
      - .offset:         264
        .size:           8
        .value_kind:     hidden_global_offset_z
      - .offset:         272
        .size:           2
        .value_kind:     hidden_grid_dims
      - .offset:         288
        .size:           8
        .value_kind:     hidden_hostcall_buffer
    .group_segment_fixed_size: 0
    .kernarg_segment_align: 8
    .kernarg_segment_size: 464
    .language:       OpenCL C
    .language_version:
      - 2
      - 0
    .max_flat_workgroup_size: 256
    .name:           _ZL18flash_attn_ext_f16ILi96ELi96ELi16ELi1ELb1ELb0EEvPKcS1_S1_S1_S1_PKiPfP15HIP_vector_typeIfLj2EEffffjfiS5_IjLj3EEiiiiiiiiiiiliiliiiiil
    .private_segment_fixed_size: 16
    .sgpr_count:     40
    .sgpr_spill_count: 0
    .symbol:         _ZL18flash_attn_ext_f16ILi96ELi96ELi16ELi1ELb1ELb0EEvPKcS1_S1_S1_S1_PKiPfP15HIP_vector_typeIfLj2EEffffjfiS5_IjLj3EEiiiiiiiiiiiliiliiiiil.kd
    .uniform_work_group_size: 1
    .uses_dynamic_stack: false
    .vgpr_count:     39
    .vgpr_spill_count: 0
    .wavefront_size: 64
  - .agpr_count:     0
    .args:
      - .address_space:  global
        .offset:         0
        .size:           8
        .value_kind:     global_buffer
      - .address_space:  global
        .offset:         8
        .size:           8
        .value_kind:     global_buffer
      - .offset:         16
        .size:           4
        .value_kind:     by_value
      - .offset:         20
        .size:           4
        .value_kind:     by_value
      - .offset:         24
        .size:           4
        .value_kind:     by_value
      - .offset:         28
        .size:           4
        .value_kind:     by_value
      - .offset:         32
        .size:           4
        .value_kind:     by_value
      - .offset:         36
        .size:           4
        .value_kind:     by_value
      - .offset:         40
        .size:           12
        .value_kind:     by_value
      - .offset:         52
        .size:           12
        .value_kind:     by_value
      - .offset:         64
        .size:           12
        .value_kind:     by_value
    .group_segment_fixed_size: 0
    .kernarg_segment_align: 8
    .kernarg_segment_size: 76
    .language:       OpenCL C
    .language_version:
      - 2
      - 0
    .max_flat_workgroup_size: 96
    .name:           _ZL33flash_attn_stream_k_fixup_uniformILi96ELi16ELi1EEvPfPK15HIP_vector_typeIfLj2EEiiiiiiS1_IjLj3EES5_S5_
    .private_segment_fixed_size: 0
    .sgpr_count:     24
    .sgpr_spill_count: 0
    .symbol:         _ZL33flash_attn_stream_k_fixup_uniformILi96ELi16ELi1EEvPfPK15HIP_vector_typeIfLj2EEiiiiiiS1_IjLj3EES5_S5_.kd
    .uniform_work_group_size: 1
    .uses_dynamic_stack: false
    .vgpr_count:     17
    .vgpr_spill_count: 0
    .wavefront_size: 64
  - .agpr_count:     0
    .args:
      - .address_space:  global
        .offset:         0
        .size:           8
        .value_kind:     global_buffer
      - .address_space:  global
        .offset:         8
        .size:           8
        .value_kind:     global_buffer
      - .offset:         16
        .size:           4
        .value_kind:     by_value
      - .offset:         20
        .size:           4
        .value_kind:     by_value
      - .offset:         24
        .size:           4
        .value_kind:     by_value
      - .offset:         28
        .size:           4
        .value_kind:     by_value
      - .offset:         32
        .size:           12
        .value_kind:     by_value
      - .offset:         44
        .size:           12
        .value_kind:     by_value
      - .offset:         56
        .size:           12
        .value_kind:     by_value
      - .offset:         68
        .size:           12
        .value_kind:     by_value
      - .offset:         80
        .size:           4
        .value_kind:     hidden_block_count_x
      - .offset:         84
        .size:           4
        .value_kind:     hidden_block_count_y
      - .offset:         88
        .size:           4
        .value_kind:     hidden_block_count_z
      - .offset:         92
        .size:           2
        .value_kind:     hidden_group_size_x
      - .offset:         94
        .size:           2
        .value_kind:     hidden_group_size_y
      - .offset:         96
        .size:           2
        .value_kind:     hidden_group_size_z
      - .offset:         98
        .size:           2
        .value_kind:     hidden_remainder_x
      - .offset:         100
        .size:           2
        .value_kind:     hidden_remainder_y
      - .offset:         102
        .size:           2
        .value_kind:     hidden_remainder_z
      - .offset:         120
        .size:           8
        .value_kind:     hidden_global_offset_x
      - .offset:         128
        .size:           8
        .value_kind:     hidden_global_offset_y
      - .offset:         136
        .size:           8
        .value_kind:     hidden_global_offset_z
      - .offset:         144
        .size:           2
        .value_kind:     hidden_grid_dims
    .group_segment_fixed_size: 0
    .kernarg_segment_align: 8
    .kernarg_segment_size: 336
    .language:       OpenCL C
    .language_version:
      - 2
      - 0
    .max_flat_workgroup_size: 96
    .name:           _ZL33flash_attn_stream_k_fixup_generalILi96ELi16ELi1EEvPfPK15HIP_vector_typeIfLj2EEiiiiS1_IjLj3EES5_S5_S5_
    .private_segment_fixed_size: 0
    .sgpr_count:     36
    .sgpr_spill_count: 0
    .symbol:         _ZL33flash_attn_stream_k_fixup_generalILi96ELi16ELi1EEvPfPK15HIP_vector_typeIfLj2EEiiiiS1_IjLj3EES5_S5_S5_.kd
    .uniform_work_group_size: 1
    .uses_dynamic_stack: false
    .vgpr_count:     22
    .vgpr_spill_count: 0
    .wavefront_size: 64
  - .agpr_count:     0
    .args:
      - .address_space:  global
        .offset:         0
        .size:           8
        .value_kind:     global_buffer
      - .address_space:  global
        .offset:         8
        .size:           8
        .value_kind:     global_buffer
      - .address_space:  global
        .offset:         16
        .size:           8
        .value_kind:     global_buffer
      - .offset:         24
        .size:           4
        .value_kind:     by_value
      - .offset:         32
        .size:           4
        .value_kind:     hidden_block_count_x
      - .offset:         36
        .size:           4
        .value_kind:     hidden_block_count_y
      - .offset:         40
        .size:           4
        .value_kind:     hidden_block_count_z
      - .offset:         44
        .size:           2
        .value_kind:     hidden_group_size_x
      - .offset:         46
        .size:           2
        .value_kind:     hidden_group_size_y
      - .offset:         48
        .size:           2
        .value_kind:     hidden_group_size_z
      - .offset:         50
        .size:           2
        .value_kind:     hidden_remainder_x
      - .offset:         52
        .size:           2
        .value_kind:     hidden_remainder_y
      - .offset:         54
        .size:           2
        .value_kind:     hidden_remainder_z
      - .offset:         72
        .size:           8
        .value_kind:     hidden_global_offset_x
      - .offset:         80
        .size:           8
        .value_kind:     hidden_global_offset_y
      - .offset:         88
        .size:           8
        .value_kind:     hidden_global_offset_z
      - .offset:         96
        .size:           2
        .value_kind:     hidden_grid_dims
      - .offset:         152
        .size:           4
        .value_kind:     hidden_dynamic_lds_size
    .group_segment_fixed_size: 0
    .kernarg_segment_align: 8
    .kernarg_segment_size: 288
    .language:       OpenCL C
    .language_version:
      - 2
      - 0
    .max_flat_workgroup_size: 96
    .name:           _ZL26flash_attn_combine_resultsILi96EEvPKfPK15HIP_vector_typeIfLj2EEPfi
    .private_segment_fixed_size: 0
    .sgpr_count:     33
    .sgpr_spill_count: 0
    .symbol:         _ZL26flash_attn_combine_resultsILi96EEvPKfPK15HIP_vector_typeIfLj2EEPfi.kd
    .uniform_work_group_size: 1
    .uses_dynamic_stack: false
    .vgpr_count:     51
    .vgpr_spill_count: 0
    .wavefront_size: 64
  - .agpr_count:     0
    .args:
      - .address_space:  global
        .offset:         0
        .size:           8
        .value_kind:     global_buffer
      - .address_space:  global
        .offset:         8
        .size:           8
        .value_kind:     global_buffer
      - .address_space:  global
        .offset:         16
        .size:           8
        .value_kind:     global_buffer
      - .address_space:  global
        .offset:         24
        .size:           8
        .value_kind:     global_buffer
      - .address_space:  global
        .offset:         32
        .size:           8
        .value_kind:     global_buffer
      - .address_space:  global
        .offset:         40
        .size:           8
        .value_kind:     global_buffer
      - .address_space:  global
        .offset:         48
        .size:           8
        .value_kind:     global_buffer
      - .address_space:  global
        .offset:         56
        .size:           8
        .value_kind:     global_buffer
      - .offset:         64
        .size:           4
        .value_kind:     by_value
      - .offset:         68
        .size:           4
        .value_kind:     by_value
      - .offset:         72
        .size:           4
        .value_kind:     by_value
      - .offset:         76
        .size:           4
        .value_kind:     by_value
      - .offset:         80
        .size:           4
        .value_kind:     by_value
      - .offset:         84
        .size:           4
        .value_kind:     by_value
      - .offset:         88
        .size:           4
        .value_kind:     by_value
      - .offset:         92
        .size:           12
        .value_kind:     by_value
      - .offset:         104
        .size:           4
        .value_kind:     by_value
      - .offset:         108
        .size:           4
        .value_kind:     by_value
      - .offset:         112
        .size:           4
        .value_kind:     by_value
      - .offset:         116
        .size:           4
        .value_kind:     by_value
      - .offset:         120
        .size:           4
        .value_kind:     by_value
      - .offset:         124
        .size:           4
        .value_kind:     by_value
      - .offset:         128
        .size:           4
        .value_kind:     by_value
      - .offset:         132
        .size:           4
        .value_kind:     by_value
      - .offset:         136
        .size:           4
        .value_kind:     by_value
      - .offset:         140
        .size:           4
        .value_kind:     by_value
      - .offset:         144
        .size:           4
        .value_kind:     by_value
      - .offset:         152
        .size:           8
        .value_kind:     by_value
      - .offset:         160
        .size:           4
        .value_kind:     by_value
      - .offset:         164
        .size:           4
        .value_kind:     by_value
      - .offset:         168
        .size:           8
        .value_kind:     by_value
      - .offset:         176
        .size:           4
        .value_kind:     by_value
      - .offset:         180
        .size:           4
        .value_kind:     by_value
      - .offset:         184
        .size:           4
        .value_kind:     by_value
      - .offset:         188
        .size:           4
        .value_kind:     by_value
      - .offset:         192
        .size:           4
        .value_kind:     by_value
      - .offset:         200
        .size:           8
        .value_kind:     by_value
      - .offset:         208
        .size:           4
        .value_kind:     hidden_block_count_x
      - .offset:         212
        .size:           4
        .value_kind:     hidden_block_count_y
      - .offset:         216
        .size:           4
        .value_kind:     hidden_block_count_z
      - .offset:         220
        .size:           2
        .value_kind:     hidden_group_size_x
      - .offset:         222
        .size:           2
        .value_kind:     hidden_group_size_y
      - .offset:         224
        .size:           2
        .value_kind:     hidden_group_size_z
      - .offset:         226
        .size:           2
        .value_kind:     hidden_remainder_x
      - .offset:         228
        .size:           2
        .value_kind:     hidden_remainder_y
      - .offset:         230
        .size:           2
        .value_kind:     hidden_remainder_z
      - .offset:         248
        .size:           8
        .value_kind:     hidden_global_offset_x
      - .offset:         256
        .size:           8
        .value_kind:     hidden_global_offset_y
      - .offset:         264
        .size:           8
        .value_kind:     hidden_global_offset_z
      - .offset:         272
        .size:           2
        .value_kind:     hidden_grid_dims
      - .offset:         328
        .size:           4
        .value_kind:     hidden_dynamic_lds_size
    .group_segment_fixed_size: 0
    .kernarg_segment_align: 8
    .kernarg_segment_size: 464
    .language:       OpenCL C
    .language_version:
      - 2
      - 0
    .max_flat_workgroup_size: 256
    .name:           _ZL18flash_attn_ext_f16ILi112ELi112ELi16ELi1ELb0ELb0EEvPKcS1_S1_S1_S1_PKiPfP15HIP_vector_typeIfLj2EEffffjfiS5_IjLj3EEiiiiiiiiiiiliiliiiiil
    .private_segment_fixed_size: 32
    .sgpr_count:     106
    .sgpr_spill_count: 73
    .symbol:         _ZL18flash_attn_ext_f16ILi112ELi112ELi16ELi1ELb0ELb0EEvPKcS1_S1_S1_S1_PKiPfP15HIP_vector_typeIfLj2EEffffjfiS5_IjLj3EEiiiiiiiiiiiliiliiiiil.kd
    .uniform_work_group_size: 1
    .uses_dynamic_stack: false
    .vgpr_count:     215
    .vgpr_spill_count: 0
    .wavefront_size: 64
  - .agpr_count:     0
    .args:
      - .address_space:  global
        .offset:         0
        .size:           8
        .value_kind:     global_buffer
      - .address_space:  global
        .offset:         8
        .size:           8
        .value_kind:     global_buffer
      - .address_space:  global
        .offset:         16
        .size:           8
        .value_kind:     global_buffer
      - .address_space:  global
        .offset:         24
        .size:           8
        .value_kind:     global_buffer
      - .address_space:  global
        .offset:         32
        .size:           8
        .value_kind:     global_buffer
      - .address_space:  global
        .offset:         40
        .size:           8
        .value_kind:     global_buffer
      - .address_space:  global
        .offset:         48
        .size:           8
        .value_kind:     global_buffer
      - .address_space:  global
        .offset:         56
        .size:           8
        .value_kind:     global_buffer
      - .offset:         64
        .size:           4
        .value_kind:     by_value
      - .offset:         68
        .size:           4
        .value_kind:     by_value
      - .offset:         72
        .size:           4
        .value_kind:     by_value
      - .offset:         76
        .size:           4
        .value_kind:     by_value
      - .offset:         80
        .size:           4
        .value_kind:     by_value
      - .offset:         84
        .size:           4
        .value_kind:     by_value
      - .offset:         88
        .size:           4
        .value_kind:     by_value
      - .offset:         92
        .size:           12
        .value_kind:     by_value
      - .offset:         104
        .size:           4
        .value_kind:     by_value
      - .offset:         108
        .size:           4
        .value_kind:     by_value
      - .offset:         112
        .size:           4
        .value_kind:     by_value
      - .offset:         116
        .size:           4
        .value_kind:     by_value
      - .offset:         120
        .size:           4
        .value_kind:     by_value
      - .offset:         124
        .size:           4
        .value_kind:     by_value
      - .offset:         128
        .size:           4
        .value_kind:     by_value
      - .offset:         132
        .size:           4
        .value_kind:     by_value
      - .offset:         136
        .size:           4
        .value_kind:     by_value
      - .offset:         140
        .size:           4
        .value_kind:     by_value
      - .offset:         144
        .size:           4
        .value_kind:     by_value
      - .offset:         152
        .size:           8
        .value_kind:     by_value
      - .offset:         160
        .size:           4
        .value_kind:     by_value
      - .offset:         164
        .size:           4
        .value_kind:     by_value
      - .offset:         168
        .size:           8
        .value_kind:     by_value
      - .offset:         176
        .size:           4
        .value_kind:     by_value
      - .offset:         180
        .size:           4
        .value_kind:     by_value
      - .offset:         184
        .size:           4
        .value_kind:     by_value
      - .offset:         188
        .size:           4
        .value_kind:     by_value
      - .offset:         192
        .size:           4
        .value_kind:     by_value
      - .offset:         200
        .size:           8
        .value_kind:     by_value
      - .offset:         208
        .size:           4
        .value_kind:     hidden_block_count_x
      - .offset:         212
        .size:           4
        .value_kind:     hidden_block_count_y
      - .offset:         216
        .size:           4
        .value_kind:     hidden_block_count_z
      - .offset:         220
        .size:           2
        .value_kind:     hidden_group_size_x
      - .offset:         222
        .size:           2
        .value_kind:     hidden_group_size_y
      - .offset:         224
        .size:           2
        .value_kind:     hidden_group_size_z
      - .offset:         226
        .size:           2
        .value_kind:     hidden_remainder_x
      - .offset:         228
        .size:           2
        .value_kind:     hidden_remainder_y
      - .offset:         230
        .size:           2
        .value_kind:     hidden_remainder_z
      - .offset:         248
        .size:           8
        .value_kind:     hidden_global_offset_x
      - .offset:         256
        .size:           8
        .value_kind:     hidden_global_offset_y
      - .offset:         264
        .size:           8
        .value_kind:     hidden_global_offset_z
      - .offset:         272
        .size:           2
        .value_kind:     hidden_grid_dims
      - .offset:         288
        .size:           8
        .value_kind:     hidden_hostcall_buffer
    .group_segment_fixed_size: 0
    .kernarg_segment_align: 8
    .kernarg_segment_size: 464
    .language:       OpenCL C
    .language_version:
      - 2
      - 0
    .max_flat_workgroup_size: 256
    .name:           _ZL18flash_attn_ext_f16ILi112ELi112ELi16ELi1ELb1ELb0EEvPKcS1_S1_S1_S1_PKiPfP15HIP_vector_typeIfLj2EEffffjfiS5_IjLj3EEiiiiiiiiiiiliiliiiiil
    .private_segment_fixed_size: 16
    .sgpr_count:     40
    .sgpr_spill_count: 0
    .symbol:         _ZL18flash_attn_ext_f16ILi112ELi112ELi16ELi1ELb1ELb0EEvPKcS1_S1_S1_S1_PKiPfP15HIP_vector_typeIfLj2EEffffjfiS5_IjLj3EEiiiiiiiiiiiliiliiiiil.kd
    .uniform_work_group_size: 1
    .uses_dynamic_stack: false
    .vgpr_count:     39
    .vgpr_spill_count: 0
    .wavefront_size: 64
  - .agpr_count:     0
    .args:
      - .address_space:  global
        .offset:         0
        .size:           8
        .value_kind:     global_buffer
      - .address_space:  global
        .offset:         8
        .size:           8
        .value_kind:     global_buffer
      - .offset:         16
        .size:           4
        .value_kind:     by_value
      - .offset:         20
        .size:           4
        .value_kind:     by_value
      - .offset:         24
        .size:           4
        .value_kind:     by_value
      - .offset:         28
        .size:           4
        .value_kind:     by_value
      - .offset:         32
        .size:           4
        .value_kind:     by_value
      - .offset:         36
        .size:           4
        .value_kind:     by_value
      - .offset:         40
        .size:           12
        .value_kind:     by_value
      - .offset:         52
        .size:           12
        .value_kind:     by_value
      - .offset:         64
        .size:           12
        .value_kind:     by_value
    .group_segment_fixed_size: 0
    .kernarg_segment_align: 8
    .kernarg_segment_size: 76
    .language:       OpenCL C
    .language_version:
      - 2
      - 0
    .max_flat_workgroup_size: 112
    .name:           _ZL33flash_attn_stream_k_fixup_uniformILi112ELi16ELi1EEvPfPK15HIP_vector_typeIfLj2EEiiiiiiS1_IjLj3EES5_S5_
    .private_segment_fixed_size: 0
    .sgpr_count:     24
    .sgpr_spill_count: 0
    .symbol:         _ZL33flash_attn_stream_k_fixup_uniformILi112ELi16ELi1EEvPfPK15HIP_vector_typeIfLj2EEiiiiiiS1_IjLj3EES5_S5_.kd
    .uniform_work_group_size: 1
    .uses_dynamic_stack: false
    .vgpr_count:     17
    .vgpr_spill_count: 0
    .wavefront_size: 64
  - .agpr_count:     0
    .args:
      - .address_space:  global
        .offset:         0
        .size:           8
        .value_kind:     global_buffer
      - .address_space:  global
        .offset:         8
        .size:           8
        .value_kind:     global_buffer
      - .offset:         16
        .size:           4
        .value_kind:     by_value
      - .offset:         20
        .size:           4
        .value_kind:     by_value
      - .offset:         24
        .size:           4
        .value_kind:     by_value
      - .offset:         28
        .size:           4
        .value_kind:     by_value
      - .offset:         32
        .size:           12
        .value_kind:     by_value
      - .offset:         44
        .size:           12
        .value_kind:     by_value
      - .offset:         56
        .size:           12
        .value_kind:     by_value
      - .offset:         68
        .size:           12
        .value_kind:     by_value
      - .offset:         80
        .size:           4
        .value_kind:     hidden_block_count_x
      - .offset:         84
        .size:           4
        .value_kind:     hidden_block_count_y
      - .offset:         88
        .size:           4
        .value_kind:     hidden_block_count_z
      - .offset:         92
        .size:           2
        .value_kind:     hidden_group_size_x
      - .offset:         94
        .size:           2
        .value_kind:     hidden_group_size_y
      - .offset:         96
        .size:           2
        .value_kind:     hidden_group_size_z
      - .offset:         98
        .size:           2
        .value_kind:     hidden_remainder_x
      - .offset:         100
        .size:           2
        .value_kind:     hidden_remainder_y
      - .offset:         102
        .size:           2
        .value_kind:     hidden_remainder_z
      - .offset:         120
        .size:           8
        .value_kind:     hidden_global_offset_x
      - .offset:         128
        .size:           8
        .value_kind:     hidden_global_offset_y
      - .offset:         136
        .size:           8
        .value_kind:     hidden_global_offset_z
      - .offset:         144
        .size:           2
        .value_kind:     hidden_grid_dims
    .group_segment_fixed_size: 0
    .kernarg_segment_align: 8
    .kernarg_segment_size: 336
    .language:       OpenCL C
    .language_version:
      - 2
      - 0
    .max_flat_workgroup_size: 112
    .name:           _ZL33flash_attn_stream_k_fixup_generalILi112ELi16ELi1EEvPfPK15HIP_vector_typeIfLj2EEiiiiS1_IjLj3EES5_S5_S5_
    .private_segment_fixed_size: 0
    .sgpr_count:     36
    .sgpr_spill_count: 0
    .symbol:         _ZL33flash_attn_stream_k_fixup_generalILi112ELi16ELi1EEvPfPK15HIP_vector_typeIfLj2EEiiiiS1_IjLj3EES5_S5_S5_.kd
    .uniform_work_group_size: 1
    .uses_dynamic_stack: false
    .vgpr_count:     22
    .vgpr_spill_count: 0
    .wavefront_size: 64
  - .agpr_count:     0
    .args:
      - .address_space:  global
        .offset:         0
        .size:           8
        .value_kind:     global_buffer
      - .address_space:  global
        .offset:         8
        .size:           8
        .value_kind:     global_buffer
      - .address_space:  global
        .offset:         16
        .size:           8
        .value_kind:     global_buffer
      - .offset:         24
        .size:           4
        .value_kind:     by_value
      - .offset:         32
        .size:           4
        .value_kind:     hidden_block_count_x
      - .offset:         36
        .size:           4
        .value_kind:     hidden_block_count_y
      - .offset:         40
        .size:           4
        .value_kind:     hidden_block_count_z
      - .offset:         44
        .size:           2
        .value_kind:     hidden_group_size_x
      - .offset:         46
        .size:           2
        .value_kind:     hidden_group_size_y
      - .offset:         48
        .size:           2
        .value_kind:     hidden_group_size_z
      - .offset:         50
        .size:           2
        .value_kind:     hidden_remainder_x
      - .offset:         52
        .size:           2
        .value_kind:     hidden_remainder_y
      - .offset:         54
        .size:           2
        .value_kind:     hidden_remainder_z
      - .offset:         72
        .size:           8
        .value_kind:     hidden_global_offset_x
      - .offset:         80
        .size:           8
        .value_kind:     hidden_global_offset_y
      - .offset:         88
        .size:           8
        .value_kind:     hidden_global_offset_z
      - .offset:         96
        .size:           2
        .value_kind:     hidden_grid_dims
      - .offset:         152
        .size:           4
        .value_kind:     hidden_dynamic_lds_size
    .group_segment_fixed_size: 0
    .kernarg_segment_align: 8
    .kernarg_segment_size: 288
    .language:       OpenCL C
    .language_version:
      - 2
      - 0
    .max_flat_workgroup_size: 112
    .name:           _ZL26flash_attn_combine_resultsILi112EEvPKfPK15HIP_vector_typeIfLj2EEPfi
    .private_segment_fixed_size: 0
    .sgpr_count:     33
    .sgpr_spill_count: 0
    .symbol:         _ZL26flash_attn_combine_resultsILi112EEvPKfPK15HIP_vector_typeIfLj2EEPfi.kd
    .uniform_work_group_size: 1
    .uses_dynamic_stack: false
    .vgpr_count:     51
    .vgpr_spill_count: 0
    .wavefront_size: 64
  - .agpr_count:     0
    .args:
      - .address_space:  global
        .offset:         0
        .size:           8
        .value_kind:     global_buffer
      - .address_space:  global
        .offset:         8
        .size:           8
        .value_kind:     global_buffer
      - .address_space:  global
        .offset:         16
        .size:           8
        .value_kind:     global_buffer
      - .address_space:  global
        .offset:         24
        .size:           8
        .value_kind:     global_buffer
      - .address_space:  global
        .offset:         32
        .size:           8
        .value_kind:     global_buffer
      - .address_space:  global
        .offset:         40
        .size:           8
        .value_kind:     global_buffer
      - .address_space:  global
        .offset:         48
        .size:           8
        .value_kind:     global_buffer
      - .address_space:  global
        .offset:         56
        .size:           8
        .value_kind:     global_buffer
      - .offset:         64
        .size:           4
        .value_kind:     by_value
      - .offset:         68
        .size:           4
        .value_kind:     by_value
      - .offset:         72
        .size:           4
        .value_kind:     by_value
      - .offset:         76
        .size:           4
        .value_kind:     by_value
      - .offset:         80
        .size:           4
        .value_kind:     by_value
      - .offset:         84
        .size:           4
        .value_kind:     by_value
      - .offset:         88
        .size:           4
        .value_kind:     by_value
      - .offset:         92
        .size:           12
        .value_kind:     by_value
      - .offset:         104
        .size:           4
        .value_kind:     by_value
      - .offset:         108
        .size:           4
        .value_kind:     by_value
      - .offset:         112
        .size:           4
        .value_kind:     by_value
      - .offset:         116
        .size:           4
        .value_kind:     by_value
      - .offset:         120
        .size:           4
        .value_kind:     by_value
      - .offset:         124
        .size:           4
        .value_kind:     by_value
      - .offset:         128
        .size:           4
        .value_kind:     by_value
      - .offset:         132
        .size:           4
        .value_kind:     by_value
      - .offset:         136
        .size:           4
        .value_kind:     by_value
      - .offset:         140
        .size:           4
        .value_kind:     by_value
      - .offset:         144
        .size:           4
        .value_kind:     by_value
      - .offset:         152
        .size:           8
        .value_kind:     by_value
      - .offset:         160
        .size:           4
        .value_kind:     by_value
      - .offset:         164
        .size:           4
        .value_kind:     by_value
      - .offset:         168
        .size:           8
        .value_kind:     by_value
      - .offset:         176
        .size:           4
        .value_kind:     by_value
      - .offset:         180
        .size:           4
        .value_kind:     by_value
      - .offset:         184
        .size:           4
        .value_kind:     by_value
      - .offset:         188
        .size:           4
        .value_kind:     by_value
      - .offset:         192
        .size:           4
        .value_kind:     by_value
      - .offset:         200
        .size:           8
        .value_kind:     by_value
      - .offset:         208
        .size:           4
        .value_kind:     hidden_block_count_x
      - .offset:         212
        .size:           4
        .value_kind:     hidden_block_count_y
      - .offset:         216
        .size:           4
        .value_kind:     hidden_block_count_z
      - .offset:         220
        .size:           2
        .value_kind:     hidden_group_size_x
      - .offset:         222
        .size:           2
        .value_kind:     hidden_group_size_y
      - .offset:         224
        .size:           2
        .value_kind:     hidden_group_size_z
      - .offset:         226
        .size:           2
        .value_kind:     hidden_remainder_x
      - .offset:         228
        .size:           2
        .value_kind:     hidden_remainder_y
      - .offset:         230
        .size:           2
        .value_kind:     hidden_remainder_z
      - .offset:         248
        .size:           8
        .value_kind:     hidden_global_offset_x
      - .offset:         256
        .size:           8
        .value_kind:     hidden_global_offset_y
      - .offset:         264
        .size:           8
        .value_kind:     hidden_global_offset_z
      - .offset:         272
        .size:           2
        .value_kind:     hidden_grid_dims
      - .offset:         328
        .size:           4
        .value_kind:     hidden_dynamic_lds_size
    .group_segment_fixed_size: 0
    .kernarg_segment_align: 8
    .kernarg_segment_size: 464
    .language:       OpenCL C
    .language_version:
      - 2
      - 0
    .max_flat_workgroup_size: 256
    .name:           _ZL18flash_attn_ext_f16ILi128ELi128ELi16ELi1ELb0ELb0EEvPKcS1_S1_S1_S1_PKiPfP15HIP_vector_typeIfLj2EEffffjfiS5_IjLj3EEiiiiiiiiiiiliiliiiiil
    .private_segment_fixed_size: 32
    .sgpr_count:     106
    .sgpr_spill_count: 69
    .symbol:         _ZL18flash_attn_ext_f16ILi128ELi128ELi16ELi1ELb0ELb0EEvPKcS1_S1_S1_S1_PKiPfP15HIP_vector_typeIfLj2EEffffjfiS5_IjLj3EEiiiiiiiiiiiliiliiiiil.kd
    .uniform_work_group_size: 1
    .uses_dynamic_stack: false
    .vgpr_count:     214
    .vgpr_spill_count: 0
    .wavefront_size: 64
  - .agpr_count:     0
    .args:
      - .address_space:  global
        .offset:         0
        .size:           8
        .value_kind:     global_buffer
      - .address_space:  global
        .offset:         8
        .size:           8
        .value_kind:     global_buffer
      - .address_space:  global
        .offset:         16
        .size:           8
        .value_kind:     global_buffer
      - .address_space:  global
        .offset:         24
        .size:           8
        .value_kind:     global_buffer
      - .address_space:  global
        .offset:         32
        .size:           8
        .value_kind:     global_buffer
      - .address_space:  global
        .offset:         40
        .size:           8
        .value_kind:     global_buffer
      - .address_space:  global
        .offset:         48
        .size:           8
        .value_kind:     global_buffer
      - .address_space:  global
        .offset:         56
        .size:           8
        .value_kind:     global_buffer
      - .offset:         64
        .size:           4
        .value_kind:     by_value
      - .offset:         68
        .size:           4
        .value_kind:     by_value
      - .offset:         72
        .size:           4
        .value_kind:     by_value
      - .offset:         76
        .size:           4
        .value_kind:     by_value
      - .offset:         80
        .size:           4
        .value_kind:     by_value
      - .offset:         84
        .size:           4
        .value_kind:     by_value
      - .offset:         88
        .size:           4
        .value_kind:     by_value
      - .offset:         92
        .size:           12
        .value_kind:     by_value
      - .offset:         104
        .size:           4
        .value_kind:     by_value
      - .offset:         108
        .size:           4
        .value_kind:     by_value
      - .offset:         112
        .size:           4
        .value_kind:     by_value
      - .offset:         116
        .size:           4
        .value_kind:     by_value
      - .offset:         120
        .size:           4
        .value_kind:     by_value
      - .offset:         124
        .size:           4
        .value_kind:     by_value
      - .offset:         128
        .size:           4
        .value_kind:     by_value
      - .offset:         132
        .size:           4
        .value_kind:     by_value
      - .offset:         136
        .size:           4
        .value_kind:     by_value
      - .offset:         140
        .size:           4
        .value_kind:     by_value
      - .offset:         144
        .size:           4
        .value_kind:     by_value
      - .offset:         152
        .size:           8
        .value_kind:     by_value
      - .offset:         160
        .size:           4
        .value_kind:     by_value
      - .offset:         164
        .size:           4
        .value_kind:     by_value
      - .offset:         168
        .size:           8
        .value_kind:     by_value
      - .offset:         176
        .size:           4
        .value_kind:     by_value
      - .offset:         180
        .size:           4
        .value_kind:     by_value
      - .offset:         184
        .size:           4
        .value_kind:     by_value
      - .offset:         188
        .size:           4
        .value_kind:     by_value
      - .offset:         192
        .size:           4
        .value_kind:     by_value
      - .offset:         200
        .size:           8
        .value_kind:     by_value
      - .offset:         208
        .size:           4
        .value_kind:     hidden_block_count_x
      - .offset:         212
        .size:           4
        .value_kind:     hidden_block_count_y
      - .offset:         216
        .size:           4
        .value_kind:     hidden_block_count_z
      - .offset:         220
        .size:           2
        .value_kind:     hidden_group_size_x
      - .offset:         222
        .size:           2
        .value_kind:     hidden_group_size_y
      - .offset:         224
        .size:           2
        .value_kind:     hidden_group_size_z
      - .offset:         226
        .size:           2
        .value_kind:     hidden_remainder_x
      - .offset:         228
        .size:           2
        .value_kind:     hidden_remainder_y
      - .offset:         230
        .size:           2
        .value_kind:     hidden_remainder_z
      - .offset:         248
        .size:           8
        .value_kind:     hidden_global_offset_x
      - .offset:         256
        .size:           8
        .value_kind:     hidden_global_offset_y
      - .offset:         264
        .size:           8
        .value_kind:     hidden_global_offset_z
      - .offset:         272
        .size:           2
        .value_kind:     hidden_grid_dims
      - .offset:         328
        .size:           4
        .value_kind:     hidden_dynamic_lds_size
    .group_segment_fixed_size: 0
    .kernarg_segment_align: 8
    .kernarg_segment_size: 464
    .language:       OpenCL C
    .language_version:
      - 2
      - 0
    .max_flat_workgroup_size: 256
    .name:           _ZL18flash_attn_ext_f16ILi128ELi128ELi16ELi1ELb1ELb0EEvPKcS1_S1_S1_S1_PKiPfP15HIP_vector_typeIfLj2EEffffjfiS5_IjLj3EEiiiiiiiiiiiliiliiiiil
    .private_segment_fixed_size: 32
    .sgpr_count:     106
    .sgpr_spill_count: 71
    .symbol:         _ZL18flash_attn_ext_f16ILi128ELi128ELi16ELi1ELb1ELb0EEvPKcS1_S1_S1_S1_PKiPfP15HIP_vector_typeIfLj2EEffffjfiS5_IjLj3EEiiiiiiiiiiiliiliiiiil.kd
    .uniform_work_group_size: 1
    .uses_dynamic_stack: false
    .vgpr_count:     220
    .vgpr_spill_count: 0
    .wavefront_size: 64
  - .agpr_count:     0
    .args:
      - .address_space:  global
        .offset:         0
        .size:           8
        .value_kind:     global_buffer
      - .address_space:  global
        .offset:         8
        .size:           8
        .value_kind:     global_buffer
      - .offset:         16
        .size:           4
        .value_kind:     by_value
      - .offset:         20
        .size:           4
        .value_kind:     by_value
      - .offset:         24
        .size:           4
        .value_kind:     by_value
      - .offset:         28
        .size:           4
        .value_kind:     by_value
      - .offset:         32
        .size:           4
        .value_kind:     by_value
      - .offset:         36
        .size:           4
        .value_kind:     by_value
      - .offset:         40
        .size:           12
        .value_kind:     by_value
      - .offset:         52
        .size:           12
        .value_kind:     by_value
      - .offset:         64
        .size:           12
        .value_kind:     by_value
    .group_segment_fixed_size: 0
    .kernarg_segment_align: 8
    .kernarg_segment_size: 76
    .language:       OpenCL C
    .language_version:
      - 2
      - 0
    .max_flat_workgroup_size: 128
    .name:           _ZL33flash_attn_stream_k_fixup_uniformILi128ELi16ELi1EEvPfPK15HIP_vector_typeIfLj2EEiiiiiiS1_IjLj3EES5_S5_
    .private_segment_fixed_size: 0
    .sgpr_count:     24
    .sgpr_spill_count: 0
    .symbol:         _ZL33flash_attn_stream_k_fixup_uniformILi128ELi16ELi1EEvPfPK15HIP_vector_typeIfLj2EEiiiiiiS1_IjLj3EES5_S5_.kd
    .uniform_work_group_size: 1
    .uses_dynamic_stack: false
    .vgpr_count:     17
    .vgpr_spill_count: 0
    .wavefront_size: 64
  - .agpr_count:     0
    .args:
      - .address_space:  global
        .offset:         0
        .size:           8
        .value_kind:     global_buffer
      - .address_space:  global
        .offset:         8
        .size:           8
        .value_kind:     global_buffer
      - .offset:         16
        .size:           4
        .value_kind:     by_value
      - .offset:         20
        .size:           4
        .value_kind:     by_value
      - .offset:         24
        .size:           4
        .value_kind:     by_value
      - .offset:         28
        .size:           4
        .value_kind:     by_value
      - .offset:         32
        .size:           12
        .value_kind:     by_value
      - .offset:         44
        .size:           12
        .value_kind:     by_value
      - .offset:         56
        .size:           12
        .value_kind:     by_value
      - .offset:         68
        .size:           12
        .value_kind:     by_value
      - .offset:         80
        .size:           4
        .value_kind:     hidden_block_count_x
      - .offset:         84
        .size:           4
        .value_kind:     hidden_block_count_y
      - .offset:         88
        .size:           4
        .value_kind:     hidden_block_count_z
      - .offset:         92
        .size:           2
        .value_kind:     hidden_group_size_x
      - .offset:         94
        .size:           2
        .value_kind:     hidden_group_size_y
      - .offset:         96
        .size:           2
        .value_kind:     hidden_group_size_z
      - .offset:         98
        .size:           2
        .value_kind:     hidden_remainder_x
      - .offset:         100
        .size:           2
        .value_kind:     hidden_remainder_y
      - .offset:         102
        .size:           2
        .value_kind:     hidden_remainder_z
      - .offset:         120
        .size:           8
        .value_kind:     hidden_global_offset_x
      - .offset:         128
        .size:           8
        .value_kind:     hidden_global_offset_y
      - .offset:         136
        .size:           8
        .value_kind:     hidden_global_offset_z
      - .offset:         144
        .size:           2
        .value_kind:     hidden_grid_dims
    .group_segment_fixed_size: 0
    .kernarg_segment_align: 8
    .kernarg_segment_size: 336
    .language:       OpenCL C
    .language_version:
      - 2
      - 0
    .max_flat_workgroup_size: 128
    .name:           _ZL33flash_attn_stream_k_fixup_generalILi128ELi16ELi1EEvPfPK15HIP_vector_typeIfLj2EEiiiiS1_IjLj3EES5_S5_S5_
    .private_segment_fixed_size: 0
    .sgpr_count:     36
    .sgpr_spill_count: 0
    .symbol:         _ZL33flash_attn_stream_k_fixup_generalILi128ELi16ELi1EEvPfPK15HIP_vector_typeIfLj2EEiiiiS1_IjLj3EES5_S5_S5_.kd
    .uniform_work_group_size: 1
    .uses_dynamic_stack: false
    .vgpr_count:     22
    .vgpr_spill_count: 0
    .wavefront_size: 64
  - .agpr_count:     0
    .args:
      - .address_space:  global
        .offset:         0
        .size:           8
        .value_kind:     global_buffer
      - .address_space:  global
        .offset:         8
        .size:           8
        .value_kind:     global_buffer
      - .address_space:  global
        .offset:         16
        .size:           8
        .value_kind:     global_buffer
      - .offset:         24
        .size:           4
        .value_kind:     by_value
      - .offset:         32
        .size:           4
        .value_kind:     hidden_block_count_x
      - .offset:         36
        .size:           4
        .value_kind:     hidden_block_count_y
      - .offset:         40
        .size:           4
        .value_kind:     hidden_block_count_z
      - .offset:         44
        .size:           2
        .value_kind:     hidden_group_size_x
      - .offset:         46
        .size:           2
        .value_kind:     hidden_group_size_y
      - .offset:         48
        .size:           2
        .value_kind:     hidden_group_size_z
      - .offset:         50
        .size:           2
        .value_kind:     hidden_remainder_x
      - .offset:         52
        .size:           2
        .value_kind:     hidden_remainder_y
      - .offset:         54
        .size:           2
        .value_kind:     hidden_remainder_z
      - .offset:         72
        .size:           8
        .value_kind:     hidden_global_offset_x
      - .offset:         80
        .size:           8
        .value_kind:     hidden_global_offset_y
      - .offset:         88
        .size:           8
        .value_kind:     hidden_global_offset_z
      - .offset:         96
        .size:           2
        .value_kind:     hidden_grid_dims
      - .offset:         152
        .size:           4
        .value_kind:     hidden_dynamic_lds_size
    .group_segment_fixed_size: 0
    .kernarg_segment_align: 8
    .kernarg_segment_size: 288
    .language:       OpenCL C
    .language_version:
      - 2
      - 0
    .max_flat_workgroup_size: 128
    .name:           _ZL26flash_attn_combine_resultsILi128EEvPKfPK15HIP_vector_typeIfLj2EEPfi
    .private_segment_fixed_size: 0
    .sgpr_count:     30
    .sgpr_spill_count: 0
    .symbol:         _ZL26flash_attn_combine_resultsILi128EEvPKfPK15HIP_vector_typeIfLj2EEPfi.kd
    .uniform_work_group_size: 1
    .uses_dynamic_stack: false
    .vgpr_count:     51
    .vgpr_spill_count: 0
    .wavefront_size: 64
  - .agpr_count:     78
    .args:
      - .address_space:  global
        .offset:         0
        .size:           8
        .value_kind:     global_buffer
      - .address_space:  global
        .offset:         8
        .size:           8
        .value_kind:     global_buffer
      - .address_space:  global
        .offset:         16
        .size:           8
        .value_kind:     global_buffer
      - .address_space:  global
        .offset:         24
        .size:           8
        .value_kind:     global_buffer
      - .address_space:  global
        .offset:         32
        .size:           8
        .value_kind:     global_buffer
      - .address_space:  global
        .offset:         40
        .size:           8
        .value_kind:     global_buffer
      - .address_space:  global
        .offset:         48
        .size:           8
        .value_kind:     global_buffer
      - .address_space:  global
        .offset:         56
        .size:           8
        .value_kind:     global_buffer
      - .offset:         64
        .size:           4
        .value_kind:     by_value
      - .offset:         68
        .size:           4
        .value_kind:     by_value
      - .offset:         72
        .size:           4
        .value_kind:     by_value
      - .offset:         76
        .size:           4
        .value_kind:     by_value
      - .offset:         80
        .size:           4
        .value_kind:     by_value
      - .offset:         84
        .size:           4
        .value_kind:     by_value
      - .offset:         88
        .size:           4
        .value_kind:     by_value
      - .offset:         92
        .size:           12
        .value_kind:     by_value
      - .offset:         104
        .size:           4
        .value_kind:     by_value
      - .offset:         108
        .size:           4
        .value_kind:     by_value
      - .offset:         112
        .size:           4
        .value_kind:     by_value
      - .offset:         116
        .size:           4
        .value_kind:     by_value
      - .offset:         120
        .size:           4
        .value_kind:     by_value
      - .offset:         124
        .size:           4
        .value_kind:     by_value
      - .offset:         128
        .size:           4
        .value_kind:     by_value
      - .offset:         132
        .size:           4
        .value_kind:     by_value
      - .offset:         136
        .size:           4
        .value_kind:     by_value
      - .offset:         140
        .size:           4
        .value_kind:     by_value
      - .offset:         144
        .size:           4
        .value_kind:     by_value
      - .offset:         152
        .size:           8
        .value_kind:     by_value
      - .offset:         160
        .size:           4
        .value_kind:     by_value
      - .offset:         164
        .size:           4
        .value_kind:     by_value
      - .offset:         168
        .size:           8
        .value_kind:     by_value
      - .offset:         176
        .size:           4
        .value_kind:     by_value
      - .offset:         180
        .size:           4
        .value_kind:     by_value
      - .offset:         184
        .size:           4
        .value_kind:     by_value
      - .offset:         188
        .size:           4
        .value_kind:     by_value
      - .offset:         192
        .size:           4
        .value_kind:     by_value
      - .offset:         200
        .size:           8
        .value_kind:     by_value
      - .offset:         208
        .size:           4
        .value_kind:     hidden_block_count_x
      - .offset:         212
        .size:           4
        .value_kind:     hidden_block_count_y
      - .offset:         216
        .size:           4
        .value_kind:     hidden_block_count_z
      - .offset:         220
        .size:           2
        .value_kind:     hidden_group_size_x
      - .offset:         222
        .size:           2
        .value_kind:     hidden_group_size_y
      - .offset:         224
        .size:           2
        .value_kind:     hidden_group_size_z
      - .offset:         226
        .size:           2
        .value_kind:     hidden_remainder_x
      - .offset:         228
        .size:           2
        .value_kind:     hidden_remainder_y
      - .offset:         230
        .size:           2
        .value_kind:     hidden_remainder_z
      - .offset:         248
        .size:           8
        .value_kind:     hidden_global_offset_x
      - .offset:         256
        .size:           8
        .value_kind:     hidden_global_offset_y
      - .offset:         264
        .size:           8
        .value_kind:     hidden_global_offset_z
      - .offset:         272
        .size:           2
        .value_kind:     hidden_grid_dims
      - .offset:         328
        .size:           4
        .value_kind:     hidden_dynamic_lds_size
    .group_segment_fixed_size: 0
    .kernarg_segment_align: 8
    .kernarg_segment_size: 464
    .language:       OpenCL C
    .language_version:
      - 2
      - 0
    .max_flat_workgroup_size: 256
    .name:           _ZL18flash_attn_ext_f16ILi256ELi256ELi16ELi1ELb0ELb0EEvPKcS1_S1_S1_S1_PKiPfP15HIP_vector_typeIfLj2EEffffjfiS5_IjLj3EEiiiiiiiiiiiliiliiiiil
    .private_segment_fixed_size: 32
    .sgpr_count:     106
    .sgpr_spill_count: 88
    .symbol:         _ZL18flash_attn_ext_f16ILi256ELi256ELi16ELi1ELb0ELb0EEvPKcS1_S1_S1_S1_PKiPfP15HIP_vector_typeIfLj2EEffffjfiS5_IjLj3EEiiiiiiiiiiiliiliiiiil.kd
    .uniform_work_group_size: 1
    .uses_dynamic_stack: false
    .vgpr_count:     334
    .vgpr_spill_count: 0
    .wavefront_size: 64
  - .agpr_count:     85
    .args:
      - .address_space:  global
        .offset:         0
        .size:           8
        .value_kind:     global_buffer
      - .address_space:  global
        .offset:         8
        .size:           8
        .value_kind:     global_buffer
      - .address_space:  global
        .offset:         16
        .size:           8
        .value_kind:     global_buffer
      - .address_space:  global
        .offset:         24
        .size:           8
        .value_kind:     global_buffer
      - .address_space:  global
        .offset:         32
        .size:           8
        .value_kind:     global_buffer
      - .address_space:  global
        .offset:         40
        .size:           8
        .value_kind:     global_buffer
      - .address_space:  global
        .offset:         48
        .size:           8
        .value_kind:     global_buffer
      - .address_space:  global
        .offset:         56
        .size:           8
        .value_kind:     global_buffer
      - .offset:         64
        .size:           4
        .value_kind:     by_value
      - .offset:         68
        .size:           4
        .value_kind:     by_value
      - .offset:         72
        .size:           4
        .value_kind:     by_value
      - .offset:         76
        .size:           4
        .value_kind:     by_value
      - .offset:         80
        .size:           4
        .value_kind:     by_value
      - .offset:         84
        .size:           4
        .value_kind:     by_value
      - .offset:         88
        .size:           4
        .value_kind:     by_value
      - .offset:         92
        .size:           12
        .value_kind:     by_value
      - .offset:         104
        .size:           4
        .value_kind:     by_value
      - .offset:         108
        .size:           4
        .value_kind:     by_value
      - .offset:         112
        .size:           4
        .value_kind:     by_value
      - .offset:         116
        .size:           4
        .value_kind:     by_value
      - .offset:         120
        .size:           4
        .value_kind:     by_value
      - .offset:         124
        .size:           4
        .value_kind:     by_value
      - .offset:         128
        .size:           4
        .value_kind:     by_value
      - .offset:         132
        .size:           4
        .value_kind:     by_value
      - .offset:         136
        .size:           4
        .value_kind:     by_value
      - .offset:         140
        .size:           4
        .value_kind:     by_value
      - .offset:         144
        .size:           4
        .value_kind:     by_value
      - .offset:         152
        .size:           8
        .value_kind:     by_value
      - .offset:         160
        .size:           4
        .value_kind:     by_value
      - .offset:         164
        .size:           4
        .value_kind:     by_value
      - .offset:         168
        .size:           8
        .value_kind:     by_value
      - .offset:         176
        .size:           4
        .value_kind:     by_value
      - .offset:         180
        .size:           4
        .value_kind:     by_value
      - .offset:         184
        .size:           4
        .value_kind:     by_value
      - .offset:         188
        .size:           4
        .value_kind:     by_value
      - .offset:         192
        .size:           4
        .value_kind:     by_value
      - .offset:         200
        .size:           8
        .value_kind:     by_value
      - .offset:         208
        .size:           4
        .value_kind:     hidden_block_count_x
      - .offset:         212
        .size:           4
        .value_kind:     hidden_block_count_y
      - .offset:         216
        .size:           4
        .value_kind:     hidden_block_count_z
      - .offset:         220
        .size:           2
        .value_kind:     hidden_group_size_x
      - .offset:         222
        .size:           2
        .value_kind:     hidden_group_size_y
      - .offset:         224
        .size:           2
        .value_kind:     hidden_group_size_z
      - .offset:         226
        .size:           2
        .value_kind:     hidden_remainder_x
      - .offset:         228
        .size:           2
        .value_kind:     hidden_remainder_y
      - .offset:         230
        .size:           2
        .value_kind:     hidden_remainder_z
      - .offset:         248
        .size:           8
        .value_kind:     hidden_global_offset_x
      - .offset:         256
        .size:           8
        .value_kind:     hidden_global_offset_y
      - .offset:         264
        .size:           8
        .value_kind:     hidden_global_offset_z
      - .offset:         272
        .size:           2
        .value_kind:     hidden_grid_dims
      - .offset:         328
        .size:           4
        .value_kind:     hidden_dynamic_lds_size
    .group_segment_fixed_size: 0
    .kernarg_segment_align: 8
    .kernarg_segment_size: 464
    .language:       OpenCL C
    .language_version:
      - 2
      - 0
    .max_flat_workgroup_size: 256
    .name:           _ZL18flash_attn_ext_f16ILi256ELi256ELi16ELi1ELb1ELb0EEvPKcS1_S1_S1_S1_PKiPfP15HIP_vector_typeIfLj2EEffffjfiS5_IjLj3EEiiiiiiiiiiiliiliiiiil
    .private_segment_fixed_size: 32
    .sgpr_count:     106
    .sgpr_spill_count: 91
    .symbol:         _ZL18flash_attn_ext_f16ILi256ELi256ELi16ELi1ELb1ELb0EEvPKcS1_S1_S1_S1_PKiPfP15HIP_vector_typeIfLj2EEffffjfiS5_IjLj3EEiiiiiiiiiiiliiliiiiil.kd
    .uniform_work_group_size: 1
    .uses_dynamic_stack: false
    .vgpr_count:     341
    .vgpr_spill_count: 0
    .wavefront_size: 64
  - .agpr_count:     0
    .args:
      - .address_space:  global
        .offset:         0
        .size:           8
        .value_kind:     global_buffer
      - .address_space:  global
        .offset:         8
        .size:           8
        .value_kind:     global_buffer
      - .offset:         16
        .size:           4
        .value_kind:     by_value
      - .offset:         20
        .size:           4
        .value_kind:     by_value
      - .offset:         24
        .size:           4
        .value_kind:     by_value
      - .offset:         28
        .size:           4
        .value_kind:     by_value
      - .offset:         32
        .size:           4
        .value_kind:     by_value
      - .offset:         36
        .size:           4
        .value_kind:     by_value
      - .offset:         40
        .size:           12
        .value_kind:     by_value
      - .offset:         52
        .size:           12
        .value_kind:     by_value
      - .offset:         64
        .size:           12
        .value_kind:     by_value
    .group_segment_fixed_size: 0
    .kernarg_segment_align: 8
    .kernarg_segment_size: 76
    .language:       OpenCL C
    .language_version:
      - 2
      - 0
    .max_flat_workgroup_size: 256
    .name:           _ZL33flash_attn_stream_k_fixup_uniformILi256ELi16ELi1EEvPfPK15HIP_vector_typeIfLj2EEiiiiiiS1_IjLj3EES5_S5_
    .private_segment_fixed_size: 0
    .sgpr_count:     24
    .sgpr_spill_count: 0
    .symbol:         _ZL33flash_attn_stream_k_fixup_uniformILi256ELi16ELi1EEvPfPK15HIP_vector_typeIfLj2EEiiiiiiS1_IjLj3EES5_S5_.kd
    .uniform_work_group_size: 1
    .uses_dynamic_stack: false
    .vgpr_count:     17
    .vgpr_spill_count: 0
    .wavefront_size: 64
  - .agpr_count:     0
    .args:
      - .address_space:  global
        .offset:         0
        .size:           8
        .value_kind:     global_buffer
      - .address_space:  global
        .offset:         8
        .size:           8
        .value_kind:     global_buffer
      - .offset:         16
        .size:           4
        .value_kind:     by_value
      - .offset:         20
        .size:           4
        .value_kind:     by_value
      - .offset:         24
        .size:           4
        .value_kind:     by_value
      - .offset:         28
        .size:           4
        .value_kind:     by_value
      - .offset:         32
        .size:           12
        .value_kind:     by_value
      - .offset:         44
        .size:           12
        .value_kind:     by_value
      - .offset:         56
        .size:           12
        .value_kind:     by_value
      - .offset:         68
        .size:           12
        .value_kind:     by_value
      - .offset:         80
        .size:           4
        .value_kind:     hidden_block_count_x
      - .offset:         84
        .size:           4
        .value_kind:     hidden_block_count_y
      - .offset:         88
        .size:           4
        .value_kind:     hidden_block_count_z
      - .offset:         92
        .size:           2
        .value_kind:     hidden_group_size_x
      - .offset:         94
        .size:           2
        .value_kind:     hidden_group_size_y
      - .offset:         96
        .size:           2
        .value_kind:     hidden_group_size_z
      - .offset:         98
        .size:           2
        .value_kind:     hidden_remainder_x
      - .offset:         100
        .size:           2
        .value_kind:     hidden_remainder_y
      - .offset:         102
        .size:           2
        .value_kind:     hidden_remainder_z
      - .offset:         120
        .size:           8
        .value_kind:     hidden_global_offset_x
      - .offset:         128
        .size:           8
        .value_kind:     hidden_global_offset_y
      - .offset:         136
        .size:           8
        .value_kind:     hidden_global_offset_z
      - .offset:         144
        .size:           2
        .value_kind:     hidden_grid_dims
    .group_segment_fixed_size: 0
    .kernarg_segment_align: 8
    .kernarg_segment_size: 336
    .language:       OpenCL C
    .language_version:
      - 2
      - 0
    .max_flat_workgroup_size: 256
    .name:           _ZL33flash_attn_stream_k_fixup_generalILi256ELi16ELi1EEvPfPK15HIP_vector_typeIfLj2EEiiiiS1_IjLj3EES5_S5_S5_
    .private_segment_fixed_size: 0
    .sgpr_count:     36
    .sgpr_spill_count: 0
    .symbol:         _ZL33flash_attn_stream_k_fixup_generalILi256ELi16ELi1EEvPfPK15HIP_vector_typeIfLj2EEiiiiS1_IjLj3EES5_S5_S5_.kd
    .uniform_work_group_size: 1
    .uses_dynamic_stack: false
    .vgpr_count:     22
    .vgpr_spill_count: 0
    .wavefront_size: 64
  - .agpr_count:     0
    .args:
      - .address_space:  global
        .offset:         0
        .size:           8
        .value_kind:     global_buffer
      - .address_space:  global
        .offset:         8
        .size:           8
        .value_kind:     global_buffer
      - .address_space:  global
        .offset:         16
        .size:           8
        .value_kind:     global_buffer
      - .offset:         24
        .size:           4
        .value_kind:     by_value
      - .offset:         32
        .size:           4
        .value_kind:     hidden_block_count_x
      - .offset:         36
        .size:           4
        .value_kind:     hidden_block_count_y
      - .offset:         40
        .size:           4
        .value_kind:     hidden_block_count_z
      - .offset:         44
        .size:           2
        .value_kind:     hidden_group_size_x
      - .offset:         46
        .size:           2
        .value_kind:     hidden_group_size_y
      - .offset:         48
        .size:           2
        .value_kind:     hidden_group_size_z
      - .offset:         50
        .size:           2
        .value_kind:     hidden_remainder_x
      - .offset:         52
        .size:           2
        .value_kind:     hidden_remainder_y
      - .offset:         54
        .size:           2
        .value_kind:     hidden_remainder_z
      - .offset:         72
        .size:           8
        .value_kind:     hidden_global_offset_x
      - .offset:         80
        .size:           8
        .value_kind:     hidden_global_offset_y
      - .offset:         88
        .size:           8
        .value_kind:     hidden_global_offset_z
      - .offset:         96
        .size:           2
        .value_kind:     hidden_grid_dims
      - .offset:         152
        .size:           4
        .value_kind:     hidden_dynamic_lds_size
    .group_segment_fixed_size: 0
    .kernarg_segment_align: 8
    .kernarg_segment_size: 288
    .language:       OpenCL C
    .language_version:
      - 2
      - 0
    .max_flat_workgroup_size: 256
    .name:           _ZL26flash_attn_combine_resultsILi256EEvPKfPK15HIP_vector_typeIfLj2EEPfi
    .private_segment_fixed_size: 0
    .sgpr_count:     30
    .sgpr_spill_count: 0
    .symbol:         _ZL26flash_attn_combine_resultsILi256EEvPKfPK15HIP_vector_typeIfLj2EEPfi.kd
    .uniform_work_group_size: 1
    .uses_dynamic_stack: false
    .vgpr_count:     51
    .vgpr_spill_count: 0
    .wavefront_size: 64
amdhsa.target:   amdgcn-amd-amdhsa--gfx90a
amdhsa.version:
  - 1
  - 2
...

	.end_amdgpu_metadata
